;; amdgpu-corpus repo=pytorch/pytorch kind=compiled arch=gfx1100 opt=O3
	.text
	.amdgcn_target "amdgcn-amd-amdhsa--gfx1100"
	.amdhsa_code_object_version 6
	.section	.text._ZN2at6native12_GLOBAL__N_124fused_dropout_kernel_vecIddjLi1ELi16EbEEvNS_4cuda6detail10TensorInfoIKT_T1_EENS5_IS6_S8_EENS5_IT4_S8_EES8_T0_NS_15PhiloxCudaStateE,"axG",@progbits,_ZN2at6native12_GLOBAL__N_124fused_dropout_kernel_vecIddjLi1ELi16EbEEvNS_4cuda6detail10TensorInfoIKT_T1_EENS5_IS6_S8_EENS5_IT4_S8_EES8_T0_NS_15PhiloxCudaStateE,comdat
	.globl	_ZN2at6native12_GLOBAL__N_124fused_dropout_kernel_vecIddjLi1ELi16EbEEvNS_4cuda6detail10TensorInfoIKT_T1_EENS5_IS6_S8_EENS5_IT4_S8_EES8_T0_NS_15PhiloxCudaStateE ; -- Begin function _ZN2at6native12_GLOBAL__N_124fused_dropout_kernel_vecIddjLi1ELi16EbEEvNS_4cuda6detail10TensorInfoIKT_T1_EENS5_IS6_S8_EENS5_IT4_S8_EES8_T0_NS_15PhiloxCudaStateE
	.p2align	8
	.type	_ZN2at6native12_GLOBAL__N_124fused_dropout_kernel_vecIddjLi1ELi16EbEEvNS_4cuda6detail10TensorInfoIKT_T1_EENS5_IS6_S8_EENS5_IT4_S8_EES8_T0_NS_15PhiloxCudaStateE,@function
_ZN2at6native12_GLOBAL__N_124fused_dropout_kernel_vecIddjLi1ELi16EbEEvNS_4cuda6detail10TensorInfoIKT_T1_EENS5_IS6_S8_EENS5_IT4_S8_EES8_T0_NS_15PhiloxCudaStateE: ; @_ZN2at6native12_GLOBAL__N_124fused_dropout_kernel_vecIddjLi1ELi16EbEEvNS_4cuda6detail10TensorInfoIKT_T1_EENS5_IS6_S8_EENS5_IT4_S8_EES8_T0_NS_15PhiloxCudaStateE
; %bb.0:
	s_clause 0x2
	s_load_b64 s[2:3], s[0:1], 0x2a0
	s_load_b128 s[16:19], s[0:1], 0x290
	s_load_b32 s4, s[0:1], 0x2b0
	s_waitcnt lgkmcnt(0)
	v_dual_mov_b32 v4, s3 :: v_dual_mov_b32 v3, s2
	v_dual_mov_b32 v10, s18 :: v_dual_mov_b32 v11, s19
	s_bitcmp0_b32 s4, 0
	s_cbranch_scc1 .LBB0_2
; %bb.1:
	v_dual_mov_b32 v1, s2 :: v_dual_mov_b32 v2, s3
	v_dual_mov_b32 v3, s18 :: v_dual_mov_b32 v4, s19
	s_load_b64 s[2:3], s[0:1], 0x2a8
	flat_load_b64 v[1:2], v[1:2]
	flat_load_b64 v[10:11], v[3:4]
	s_waitcnt vmcnt(1) lgkmcnt(0)
	v_add_co_u32 v3, vcc_lo, v1, s2
	v_add_co_ci_u32_e32 v4, vcc_lo, s3, v2, vcc_lo
.LBB0_2:
	s_clause 0x1
	s_load_b32 s4, s[0:1], 0x2c4
	s_load_b32 s24, s[0:1], 0x288
	s_add_u32 s2, s0, 0x2b8
	s_addc_u32 s3, s1, 0
	s_mov_b32 s5, exec_lo
	s_waitcnt lgkmcnt(0)
	s_and_b32 s4, s4, 0xffff
	s_delay_alu instid0(SALU_CYCLE_1) | instskip(NEXT) | instid1(VALU_DEP_1)
	v_mad_u64_u32 v[8:9], null, s15, s4, v[0:1]
	v_lshlrev_b32_e32 v12, 4, v8
	s_delay_alu instid0(VALU_DEP_1)
	v_cmpx_gt_u32_e64 s24, v12
	s_cbranch_execz .LBB0_45
; %bb.3:
	v_div_scale_f64 v[0:1], null, s[16:17], s[16:17], 1.0
	v_div_scale_f64 v[15:16], vcc_lo, 1.0, s[16:17], 1.0
	v_alignbit_b32 v24, v4, v3, 2
	v_mad_u64_u32 v[17:18], null, 0xcd9e8d57, v8, 0
	v_lshrrev_b32_e32 v9, 2, v4
	s_waitcnt vmcnt(0)
	v_dual_mov_b32 v39, v11 :: v_dual_add_nc_u32 v42, 0x96a522ad, v11
	v_mad_u64_u32 v[19:20], null, 0xd2511f53, v24, 0
	v_add_co_u32 v26, null, 0x9e3779b9, v10
	v_xor3_b32 v2, v10, v18, v9
	s_delay_alu instid0(VALU_DEP_4) | instskip(SKIP_2) | instid1(VALU_DEP_4)
	v_add_co_u32 v25, null, 0xbb67ae85, v39
	v_add_co_u32 v27, null, 0x3c6ef372, v10
	v_xor_b32_e32 v4, v20, v11
	v_mad_u64_u32 v[20:21], null, 0xd2511f53, v2, 0
	v_add_co_u32 v28, null, 0x76cf5d0a, v39
	s_delay_alu instid0(VALU_DEP_3) | instskip(SKIP_1) | instid1(VALU_DEP_4)
	v_mad_u64_u32 v[22:23], null, 0xcd9e8d57, v4, 0
	v_add_co_u32 v29, null, 0x32370b8f, v39
	v_xor3_b32 v2, v25, v21, v19
	v_add_co_u32 v30, null, 0xdaa66d2b, v10
	v_add_co_u32 v33, null, 0x1715609d, v10
	v_xor3_b32 v4, v23, v26, v17
	s_delay_alu instid0(VALU_DEP_4) | instskip(SKIP_2) | instid1(VALU_DEP_3)
	v_mad_u64_u32 v[17:18], null, 0xcd9e8d57, v2, 0
	v_add_co_u32 v34, null, 0xa9066899, v39
	v_rcp_f64_e32 v[5:6], v[0:1]
	v_mad_u64_u32 v[31:32], null, 0xd2511f53, v4, 0
	v_add_co_u32 v35, null, 0x646e171e, v39
	s_delay_alu instid0(VALU_DEP_4)
	v_xor3_b32 v2, v27, v18, v22
	v_add_co_u32 v36, null, 0xb54cda56, v10
	v_add_co_u32 v37, null, 0x5384540f, v10
	v_xor3_b32 v4, v32, v28, v20
	v_add_co_u32 v32, null, 0xed9eba14, v39
	v_add_co_u32 v38, null, 0x1fd5c5a3, v39
	s_delay_alu instid0(VALU_DEP_3)
	v_mad_u64_u32 v[18:19], null, 0xcd9e8d57, v4, 0
	s_load_b32 s2, s[2:3], 0x0
	v_add_co_u32 v39, null, 0xdb3d7428, v39
	v_add_co_u32 v40, null, 0xf1bbcdc8, v10
	s_clause 0x2
	s_load_b64 s[18:19], s[0:1], 0x0
	s_load_b64 s[20:21], s[0:1], 0xd8
	;; [unrolled: 1-line block ×3, first 2 shown]
	v_xor3_b32 v4, v19, v30, v17
	v_add_nc_u32_e32 v41, 0x8ff34781, v10
	v_and_b32_e32 v43, 3, v3
	s_mov_b32 s15, 0
	s_delay_alu instid0(VALU_DEP_3) | instskip(SKIP_2) | instid1(SALU_CYCLE_1)
	v_mad_u64_u32 v[19:20], null, 0xd2511f53, v4, 0
	s_waitcnt lgkmcnt(0)
	s_mul_i32 s2, s2, s4
	s_lshl_b32 s25, s2, 4
	s_delay_alu instid0(TRANS32_DEP_1) | instskip(NEXT) | instid1(VALU_DEP_1)
	v_fma_f64 v[13:14], -v[0:1], v[5:6], 1.0
	v_fma_f64 v[5:6], v[5:6], v[13:14], v[5:6]
	s_delay_alu instid0(VALU_DEP_1) | instskip(NEXT) | instid1(VALU_DEP_1)
	v_fma_f64 v[13:14], -v[0:1], v[5:6], 1.0
	v_fma_f64 v[5:6], v[5:6], v[13:14], v[5:6]
	s_delay_alu instid0(VALU_DEP_1) | instskip(NEXT) | instid1(VALU_DEP_1)
	v_mul_f64 v[13:14], v[15:16], v[5:6]
	v_fma_f64 v[0:1], -v[0:1], v[13:14], v[15:16]
	v_mad_u64_u32 v[15:16], null, 0xd2511f53, v2, 0
	s_delay_alu instid0(VALU_DEP_1) | instskip(SKIP_1) | instid1(VALU_DEP_3)
	v_xor3_b32 v2, v29, v16, v31
	v_add_co_u32 v31, null, 0x78dde6e4, v10
	v_xor3_b32 v7, v20, v32, v15
	s_delay_alu instid0(VALU_DEP_3) | instskip(NEXT) | instid1(VALU_DEP_1)
	v_mad_u64_u32 v[16:17], null, 0xcd9e8d57, v2, 0
	v_xor3_b32 v2, v31, v17, v18
	v_div_fmas_f64 v[0:1], v[0:1], v[5:6], v[13:14]
	s_delay_alu instid0(VALU_DEP_4) | instskip(NEXT) | instid1(VALU_DEP_3)
	v_mad_u64_u32 v[4:5], null, 0xcd9e8d57, v7, 0
	v_mad_u64_u32 v[6:7], null, 0xd2511f53, v2, 0
	s_delay_alu instid0(VALU_DEP_2) | instskip(NEXT) | instid1(VALU_DEP_2)
	v_xor3_b32 v2, v5, v33, v16
	v_xor3_b32 v5, v34, v7, v19
	s_delay_alu instid0(VALU_DEP_2) | instskip(NEXT) | instid1(VALU_DEP_2)
	v_mad_u64_u32 v[13:14], null, 0xd2511f53, v2, 0
	v_mad_u64_u32 v[16:17], null, 0xcd9e8d57, v5, 0
	s_delay_alu instid0(VALU_DEP_2) | instskip(NEXT) | instid1(VALU_DEP_2)
	v_xor3_b32 v2, v14, v35, v6
	v_xor3_b32 v14, v36, v17, v4
	s_delay_alu instid0(VALU_DEP_2) | instskip(NEXT) | instid1(VALU_DEP_2)
	v_mad_u64_u32 v[4:5], null, 0xcd9e8d57, v2, 0
	v_mad_u64_u32 v[6:7], null, 0xd2511f53, v14, 0
	s_delay_alu instid0(VALU_DEP_1) | instskip(SKIP_1) | instid1(VALU_DEP_4)
	v_xor3_b32 v2, v38, v7, v13
	v_div_fixup_f64 v[14:15], v[0:1], s[16:17], 1.0
	v_xor3_b32 v0, v5, v37, v16
	v_mov_b32_e32 v13, 0
	s_delay_alu instid0(VALU_DEP_2) | instskip(SKIP_1) | instid1(VALU_DEP_3)
	v_mad_u64_u32 v[16:17], null, 0xd2511f53, v0, 0
	v_mad_u64_u32 v[0:1], null, 0xcd9e8d57, v2, 0
	v_mov_b32_e32 v23, v13
	s_delay_alu instid0(VALU_DEP_3) | instskip(NEXT) | instid1(VALU_DEP_3)
	v_xor3_b32 v5, v17, v39, v6
	v_xor3_b32 v6, v40, v1, v4
	s_delay_alu instid0(VALU_DEP_2) | instskip(NEXT) | instid1(VALU_DEP_2)
	v_mad_u64_u32 v[1:2], null, 0xcd9e8d57, v5, 0
	v_mad_u64_u32 v[4:5], null, 0xd2511f53, v6, 0
	s_delay_alu instid0(VALU_DEP_2) | instskip(NEXT) | instid1(VALU_DEP_2)
	v_xor3_b32 v0, v0, v2, v41
	v_xor3_b32 v2, v5, v16, v42
	s_delay_alu instid0(VALU_DEP_3)
	v_mov_b32_e32 v3, v4
	s_branch .LBB0_6
.LBB0_4:                                ;   in Loop: Header=BB0_6 Depth=1
	s_or_b32 exec_lo, exec_lo, s1
	s_delay_alu instid0(VALU_DEP_1)
	v_mov_b32_e32 v22, v21
.LBB0_5:                                ;   in Loop: Header=BB0_6 Depth=1
	s_or_b32 exec_lo, exec_lo, s0
	v_lshlrev_b64 v[20:21], 3, v[12:13]
	v_cvt_f32_u32_e32 v4, v4
	v_cvt_f32_u32_e32 v90, v3
	;; [unrolled: 1-line block ×4, first 2 shown]
	s_delay_alu instid0(VALU_DEP_4)
	v_dual_mov_b32 v3, v13 :: v_dual_fmaak_f32 v4, 0x2f800000, v4, 0x2f800000
	v_add_co_u32 v80, vcc_lo, s18, v20
	v_add_co_ci_u32_e32 v81, vcc_lo, s19, v21, vcc_lo
	v_cvt_f32_u32_e32 v92, v19
	v_cvt_f32_u32_e32 v94, v48
	s_clause 0x7
	global_load_b128 v[52:55], v[80:81], off
	global_load_b128 v[56:59], v[80:81], off offset:16
	global_load_b128 v[60:63], v[80:81], off offset:32
	;; [unrolled: 1-line block ×7, first 2 shown]
	v_cvt_f32_u32_e32 v96, v47
	v_cvt_f32_u32_e32 v84, v18
	;; [unrolled: 1-line block ×4, first 2 shown]
	v_mov_b32_e32 v17, v13
	v_fmaak_f32 v85, 0x2f800000, v6, 0x2f800000
	v_cvt_f64_f32_e32 v[47:48], v4
	v_dual_fmaak_f32 v4, 0x2f800000, v49, 0x2f800000 :: v_dual_fmaak_f32 v89, 0x2f800000, v84, 0x2f800000
	v_cvt_f32_u32_e32 v45, v45
	v_cvt_f32_u32_e32 v18, v5
	;; [unrolled: 1-line block ×3, first 2 shown]
	s_delay_alu instid0(VALU_DEP_4)
	v_cvt_f64_f32_e32 v[86:87], v4
	v_fmaak_f32 v4, 0x2f800000, v88, 0x2f800000
	v_cvt_f64_f32_e32 v[84:85], v85
	v_dual_fmaak_f32 v45, 0x2f800000, v45, 0x2f800000 :: v_dual_fmaak_f32 v100, 0x2f800000, v96, 0x2f800000
	v_cvt_f32_u32_e32 v22, v22
	v_cvt_f32_u32_e32 v7, v51
	;; [unrolled: 1-line block ×3, first 2 shown]
	v_dual_mov_b32 v5, v13 :: v_dual_fmaak_f32 v50, 0x2f800000, v18, 0x2f800000
	v_fmaak_f32 v95, 0x2f800000, v90, 0x2f800000
	v_cvt_f64_f32_e32 v[90:91], v45
	v_fmaak_f32 v45, 0x2f800000, v92, 0x2f800000
	v_cvt_f64_f32_e32 v[92:93], v4
	;; [unrolled: 2-line block ×3, first 2 shown]
	v_dual_mov_b32 v44, v13 :: v_dual_fmaak_f32 v7, 0x2f800000, v7, 0x2f800000
	v_cvt_f64_f32_e32 v[96:97], v45
	v_dual_fmaak_f32 v45, 0x2f800000, v98, 0x2f800000 :: v_dual_mov_b32 v104, v13
	v_cvt_f64_f32_e32 v[98:99], v4
	v_fmaak_f32 v4, 0x2f800000, v22, 0x2f800000
	v_fmaak_f32 v22, 0x2f800000, v51, 0x2f800000
	v_dual_mov_b32 v46, v13 :: v_dual_fmaak_f32 v19, 0x2f800000, v19, 0x2f800000
	v_cvt_f64_f32_e32 v[88:89], v89
	v_cvt_f64_f32_e32 v[6:7], v7
	s_delay_alu instid0(VALU_DEP_4)
	v_cvt_f64_f32_e32 v[112:113], v22
	v_cvt_f64_f32_e32 v[94:95], v95
	;; [unrolled: 1-line block ×6, first 2 shown]
	v_cmp_gt_f64_e64 s1, s[16:17], v[47:48]
	v_mov_b32_e32 v116, v13
	v_mov_b32_e32 v126, v13
	;; [unrolled: 1-line block ×3, first 2 shown]
	v_cmp_gt_f64_e64 s4, s[16:17], v[86:87]
	v_mov_b32_e32 v110, v13
	v_cmp_gt_f64_e64 s3, s[16:17], v[84:85]
	v_mov_b32_e32 v118, v13
	v_mov_b32_e32 v120, v13
	;; [unrolled: 1-line block ×4, first 2 shown]
	v_cmp_gt_f64_e64 s6, s[16:17], v[90:91]
	v_cmp_gt_f64_e64 s7, s[16:17], v[92:93]
	;; [unrolled: 1-line block ×6, first 2 shown]
	v_cmp_gt_f64_e32 vcc_lo, s[16:17], v[6:7]
	v_cmp_gt_f64_e64 s14, s[16:17], v[112:113]
	v_cmp_gt_f64_e64 s8, s[16:17], v[94:95]
	v_cmp_gt_f64_e64 s0, s[16:17], v[18:19]
	v_cmp_gt_f64_e64 s11, s[16:17], v[100:101]
	v_cmp_gt_f64_e64 s12, s[16:17], v[102:103]
	v_cmp_gt_f64_e64 s13, s[16:17], v[106:107]
	v_cndmask_b32_e64 v7, 0, 1, s1
	v_cndmask_b32_e64 v4, 0, 0x3ff00000, s1
	;; [unrolled: 1-line block ×10, first 2 shown]
	s_delay_alu instid0(VALU_DEP_3) | instskip(SKIP_1) | instid1(VALU_DEP_2)
	v_lshlrev_b16 v19, 8, v19
	v_cndmask_b32_e64 v117, 0, 0x3ff00000, s10
	v_or_b32_e32 v7, v7, v19
	v_cndmask_b32_e64 v47, 0, 0x3ff00000, s5
	v_mov_b32_e32 v114, v13
	v_cndmask_b32_e64 v127, 0, 0x3ff00000, s14
	v_cndmask_b32_e64 v125, 0, 0x3ff00000, vcc_lo
	v_and_b32_e32 v7, 0xffff, v7
	v_cndmask_b32_e64 v111, 0, 0x3ff00000, s8
	v_cndmask_b32_e64 v119, 0, 0x3ff00000, s11
	;; [unrolled: 1-line block ×6, first 2 shown]
	s_waitcnt vmcnt(7)
	v_mul_f64 v[3:4], v[52:53], v[3:4]
	s_waitcnt vmcnt(6)
	v_mul_f64 v[17:18], v[56:57], v[17:18]
	v_mul_f64 v[48:49], v[58:59], v[44:45]
	s_waitcnt vmcnt(5)
	v_mul_f64 v[50:51], v[60:61], v[46:47]
	s_waitcnt vmcnt(3)
	v_mul_f64 v[60:61], v[70:71], v[116:117]
	v_cndmask_b32_e64 v44, 0, 1, vcc_lo
	v_cndmask_b32_e64 v45, 0, 1, s0
	s_waitcnt vmcnt(0)
	v_mul_f64 v[70:71], v[80:81], v[126:127]
	v_cndmask_b32_e64 v80, 0, 1, s10
	v_mul_f64 v[58:59], v[68:69], v[114:115]
	v_mul_f64 v[68:69], v[78:79], v[124:125]
	v_cndmask_b32_e64 v79, 0, 1, s9
	v_lshlrev_b16 v85, 8, v44
	v_lshlrev_b16 v86, 8, v45
	v_mul_f64 v[5:6], v[54:55], v[5:6]
	v_mul_f64 v[52:53], v[62:63], v[104:105]
	v_mul_f64 v[56:57], v[66:67], v[110:111]
	v_mul_f64 v[62:63], v[72:73], v[118:119]
	v_mul_f64 v[66:67], v[76:77], v[122:123]
	v_mul_f64 v[72:73], v[82:83], v[128:129]
	v_cndmask_b32_e64 v76, 0, 1, s6
	v_cndmask_b32_e64 v78, 0, 1, s8
	;; [unrolled: 1-line block ×6, first 2 shown]
	v_mul_f64 v[3:4], v[14:15], v[3:4]
	v_mul_f64 v[44:45], v[14:15], v[17:18]
	v_lshlrev_b16 v17, 8, v80
	v_mul_f64 v[46:47], v[14:15], v[48:49]
	v_mul_f64 v[48:49], v[14:15], v[50:51]
	v_lshlrev_b16 v18, 8, v82
	s_delay_alu instid0(VALU_DEP_4) | instskip(SKIP_1) | instid1(VALU_DEP_3)
	v_or_b32_e32 v17, v79, v17
	v_mov_b32_e32 v108, v13
	v_or_b32_e32 v18, v81, v18
	s_delay_alu instid0(VALU_DEP_3) | instskip(NEXT) | instid1(VALU_DEP_3)
	v_and_b32_e32 v17, 0xffff, v17
	v_mul_f64 v[54:55], v[64:65], v[108:109]
	v_mul_f64 v[64:65], v[74:75], v[120:121]
	;; [unrolled: 1-line block ×4, first 2 shown]
	v_cndmask_b32_e64 v74, 0, 1, s4
	v_cndmask_b32_e64 v75, 0, 1, s5
	v_lshlrev_b32_e32 v18, 16, v18
	s_delay_alu instid0(VALU_DEP_3) | instskip(NEXT) | instid1(VALU_DEP_1)
	v_lshlrev_b16 v74, 8, v74
	v_or_b32_e32 v19, v22, v74
	v_mul_f64 v[52:53], v[14:15], v[54:55]
	v_mul_f64 v[54:55], v[14:15], v[56:57]
	;; [unrolled: 1-line block ×10, first 2 shown]
	v_lshlrev_b16 v72, 8, v76
	v_lshlrev_b16 v73, 8, v78
	v_or_b32_e32 v76, v83, v85
	v_or_b32_e32 v78, v84, v86
	s_delay_alu instid0(VALU_DEP_4) | instskip(NEXT) | instid1(VALU_DEP_4)
	v_or_b32_e32 v72, v75, v72
	v_or_b32_e32 v73, v77, v73
	s_delay_alu instid0(VALU_DEP_4) | instskip(NEXT) | instid1(VALU_DEP_4)
	v_and_b32_e32 v22, 0xffff, v76
	v_lshlrev_b32_e32 v74, 16, v78
	v_lshlrev_b32_e32 v77, 16, v19
	v_and_b32_e32 v75, 0xffff, v72
	v_add_co_u32 v72, vcc_lo, s20, v20
	v_lshlrev_b32_e32 v76, 16, v73
	v_add_co_ci_u32_e32 v73, vcc_lo, s21, v21, vcc_lo
	v_or_b32_e32 v20, v22, v74
	v_or_b32_e32 v19, v17, v18
	s_delay_alu instid0(VALU_DEP_4)
	v_or_b32_e32 v18, v75, v76
	v_or_b32_e32 v17, v7, v77
	s_clause 0x7
	global_store_b128 v[72:73], v[3:6], off
	global_store_b128 v[72:73], v[44:47], off offset:16
	global_store_b128 v[72:73], v[48:51], off offset:32
	;; [unrolled: 1-line block ×7, first 2 shown]
	global_store_b128 v12, v[17:20], s[22:23]
	v_dual_mov_b32 v3, v16 :: v_dual_add_nc_u32 v12, s25, v12
	s_waitcnt_vscnt null, 0x0
	s_barrier
	buffer_gl0_inv
	v_cmp_le_u32_e32 vcc_lo, s24, v12
	s_or_b32 s15, vcc_lo, s15
	s_delay_alu instid0(SALU_CYCLE_1)
	s_and_not1_b32 exec_lo, exec_lo, s15
	s_cbranch_execz .LBB0_45
.LBB0_6:                                ; =>This Inner Loop Header: Depth=1
	v_add_co_u32 v6, vcc_lo, v24, 1
	s_delay_alu instid0(VALU_DEP_1) | instskip(SKIP_2) | instid1(VALU_DEP_1)
	v_cndmask_b32_e64 v4, 0, 1, vcc_lo
	v_add_co_ci_u32_e32 v17, vcc_lo, 0, v9, vcc_lo
	s_mov_b32 s0, exec_lo
	v_cmp_eq_u32_e32 vcc_lo, 0, v17
	s_delay_alu instid0(VALU_DEP_3) | instskip(SKIP_1) | instid1(VALU_DEP_2)
	v_cndmask_b32_e32 v7, 0, v4, vcc_lo
	v_mad_u64_u32 v[4:5], null, 0xd2511f53, v6, 0
	v_add_nc_u32_e32 v21, v7, v8
	s_delay_alu instid0(VALU_DEP_2) | instskip(NEXT) | instid1(VALU_DEP_2)
	v_xor_b32_e32 v8, v5, v11
	v_cmp_eq_u32_e32 vcc_lo, 0, v21
	v_mad_u64_u32 v[5:6], null, 0xcd9e8d57, v21, 0
	v_cndmask_b32_e32 v7, 0, v7, vcc_lo
	s_delay_alu instid0(VALU_DEP_2) | instskip(NEXT) | instid1(VALU_DEP_2)
	v_xor3_b32 v16, v6, v10, v17
	v_add_nc_u32_e32 v20, v7, v23
	s_delay_alu instid0(VALU_DEP_1) | instskip(NEXT) | instid1(VALU_DEP_1)
	v_xor_b32_e32 v8, v20, v8
	v_mad_u64_u32 v[6:7], null, 0xcd9e8d57, v8, 0
	s_delay_alu instid0(VALU_DEP_4) | instskip(NEXT) | instid1(VALU_DEP_2)
	v_mad_u64_u32 v[8:9], null, 0xd2511f53, v16, 0
	v_xor3_b32 v7, v26, v7, v5
	s_delay_alu instid0(VALU_DEP_2) | instskip(NEXT) | instid1(VALU_DEP_2)
	v_xor3_b32 v9, v25, v9, v4
	v_mad_u64_u32 v[4:5], null, 0xd2511f53, v7, 0
	s_delay_alu instid0(VALU_DEP_2) | instskip(NEXT) | instid1(VALU_DEP_2)
	v_mad_u64_u32 v[18:19], null, 0xcd9e8d57, v9, 0
	v_xor3_b32 v7, v28, v5, v8
	s_delay_alu instid0(VALU_DEP_2) | instskip(NEXT) | instid1(VALU_DEP_2)
	v_xor3_b32 v9, v27, v19, v6
	v_mad_u64_u32 v[5:6], null, 0xcd9e8d57, v7, 0
	s_delay_alu instid0(VALU_DEP_2) | instskip(NEXT) | instid1(VALU_DEP_2)
	;; [unrolled: 6-line block ×8, first 2 shown]
	v_mad_u64_u32 v[18:19], null, 0xd2511f53, v4, 0
	v_xor3_b32 v16, v9, v22, v41
	s_delay_alu instid0(VALU_DEP_2)
	v_xor3_b32 v9, v19, v5, v42
                                        ; implicit-def: $vgpr4_vgpr5_vgpr6_vgpr7
	v_cmpx_lt_i32_e32 1, v43
	s_xor_b32 s0, exec_lo, s0
	s_cbranch_execz .LBB0_12
; %bb.7:                                ;   in Loop: Header=BB0_6 Depth=1
	s_mov_b32 s1, exec_lo
                                        ; implicit-def: $vgpr4_vgpr5_vgpr6_vgpr7
	v_cmpx_lt_i32_e32 2, v43
	s_xor_b32 s1, exec_lo, s1
; %bb.8:                                ;   in Loop: Header=BB0_6 Depth=1
	v_dual_mov_b32 v6, v3 :: v_dual_mov_b32 v7, v16
                                        ; implicit-def: $vgpr0_vgpr1_vgpr2_vgpr3
	s_delay_alu instid0(VALU_DEP_1) | instskip(NEXT) | instid1(VALU_DEP_2)
	v_mov_b32_e32 v4, v6
	v_dual_mov_b32 v5, v7 :: v_dual_mov_b32 v6, v8
	v_mov_b32_e32 v7, v9
; %bb.9:                                ;   in Loop: Header=BB0_6 Depth=1
	s_and_not1_saveexec_b32 s1, s1
; %bb.10:                               ;   in Loop: Header=BB0_6 Depth=1
	v_dual_mov_b32 v4, v2 :: v_dual_mov_b32 v5, v3
	v_mov_b32_e32 v6, v16
	v_mov_b32_e32 v7, v8
; %bb.11:                               ;   in Loop: Header=BB0_6 Depth=1
	s_or_b32 exec_lo, exec_lo, s1
                                        ; implicit-def: $vgpr0_vgpr1_vgpr2_vgpr3
.LBB0_12:                               ;   in Loop: Header=BB0_6 Depth=1
	s_and_not1_saveexec_b32 s0, s0
	s_cbranch_execz .LBB0_16
; %bb.13:                               ;   in Loop: Header=BB0_6 Depth=1
	s_mov_b32 s1, exec_lo
	v_cmpx_eq_u32_e32 1, v43
; %bb.14:                               ;   in Loop: Header=BB0_6 Depth=1
	v_dual_mov_b32 v0, v1 :: v_dual_mov_b32 v1, v2
	v_dual_mov_b32 v2, v3 :: v_dual_mov_b32 v3, v16
; %bb.15:                               ;   in Loop: Header=BB0_6 Depth=1
	s_or_b32 exec_lo, exec_lo, s1
	s_delay_alu instid0(VALU_DEP_1) | instskip(NEXT) | instid1(VALU_DEP_3)
	v_dual_mov_b32 v7, v3 :: v_dual_mov_b32 v6, v2
	v_dual_mov_b32 v5, v1 :: v_dual_mov_b32 v4, v0
.LBB0_16:                               ;   in Loop: Header=BB0_6 Depth=1
	s_or_b32 exec_lo, exec_lo, s0
	v_add_nc_u32_e32 v2, 2, v24
	s_mov_b32 s0, exec_lo
	s_delay_alu instid0(VALU_DEP_1) | instskip(SKIP_2) | instid1(VALU_DEP_1)
	v_cmp_eq_u32_e32 vcc_lo, 0, v2
	v_cndmask_b32_e64 v0, 0, 1, vcc_lo
	v_add_co_ci_u32_e32 v17, vcc_lo, 0, v17, vcc_lo
	v_cmp_eq_u32_e32 vcc_lo, 0, v17
	s_delay_alu instid0(VALU_DEP_3) | instskip(NEXT) | instid1(VALU_DEP_1)
	v_cndmask_b32_e32 v3, 0, v0, vcc_lo
	v_add_nc_u32_e32 v21, v3, v21
	s_delay_alu instid0(VALU_DEP_1) | instskip(SKIP_3) | instid1(VALU_DEP_3)
	v_cmp_eq_u32_e32 vcc_lo, 0, v21
	v_cndmask_b32_e32 v19, 0, v3, vcc_lo
	v_mad_u64_u32 v[0:1], null, 0xd2511f53, v2, 0
	v_mad_u64_u32 v[2:3], null, 0xcd9e8d57, v21, 0
	v_add_nc_u32_e32 v22, v19, v20
	s_delay_alu instid0(VALU_DEP_3) | instskip(NEXT) | instid1(VALU_DEP_3)
	v_xor_b32_e32 v1, v1, v11
	v_xor3_b32 v3, v3, v10, v17
	s_delay_alu instid0(VALU_DEP_2) | instskip(NEXT) | instid1(VALU_DEP_2)
	v_xor_b32_e32 v1, v22, v1
	v_mad_u64_u32 v[19:20], null, 0xd2511f53, v3, 0
	s_delay_alu instid0(VALU_DEP_2) | instskip(NEXT) | instid1(VALU_DEP_2)
	v_mad_u64_u32 v[44:45], null, 0xcd9e8d57, v1, 0
	v_xor3_b32 v3, v25, v20, v0
	s_delay_alu instid0(VALU_DEP_2) | instskip(NEXT) | instid1(VALU_DEP_2)
	v_xor3_b32 v20, v26, v45, v2
	v_mad_u64_u32 v[0:1], null, 0xcd9e8d57, v3, 0
	s_delay_alu instid0(VALU_DEP_2) | instskip(NEXT) | instid1(VALU_DEP_2)
	v_mad_u64_u32 v[2:3], null, 0xd2511f53, v20, 0
	v_xor3_b32 v1, v27, v1, v44
	s_delay_alu instid0(VALU_DEP_2) | instskip(NEXT) | instid1(VALU_DEP_2)
	v_xor3_b32 v3, v28, v3, v19
	;; [unrolled: 6-line block ×7, first 2 shown]
	v_mad_u64_u32 v[45:46], null, 0xcd9e8d57, v1, 0
	s_delay_alu instid0(VALU_DEP_2) | instskip(NEXT) | instid1(VALU_DEP_2)
	v_mad_u64_u32 v[2:3], null, 0xd2511f53, v0, 0
	v_xor3_b32 v0, v40, v46, v44
                                        ; implicit-def: $vgpr44
	s_delay_alu instid0(VALU_DEP_2) | instskip(NEXT) | instid1(VALU_DEP_2)
	v_xor3_b32 v3, v39, v3, v19
	v_mad_u64_u32 v[19:20], null, 0xd2511f53, v0, 0
	s_delay_alu instid0(VALU_DEP_2) | instskip(NEXT) | instid1(VALU_DEP_2)
	v_mad_u64_u32 v[0:1], null, 0xcd9e8d57, v3, 0
                                        ; implicit-def: $vgpr3
	v_xor3_b32 v2, v20, v2, v42
	s_delay_alu instid0(VALU_DEP_2)
	v_xor3_b32 v1, v1, v45, v41
                                        ; implicit-def: $vgpr45
	v_cmpx_lt_i32_e32 1, v43
	s_xor_b32 s0, exec_lo, s0
	s_cbranch_execz .LBB0_22
; %bb.17:                               ;   in Loop: Header=BB0_6 Depth=1
	s_mov_b32 s1, exec_lo
	v_cmpx_lt_i32_e32 2, v43
	s_xor_b32 s1, exec_lo, s1
; %bb.18:                               ;   in Loop: Header=BB0_6 Depth=1
                                        ; implicit-def: $vgpr9
; %bb.19:                               ;   in Loop: Header=BB0_6 Depth=1
	s_delay_alu instid0(SALU_CYCLE_1)
	s_or_saveexec_b32 s1, s1
	v_dual_mov_b32 v3, v2 :: v_dual_mov_b32 v44, v0
	v_mov_b32_e32 v45, v1
	s_xor_b32 exec_lo, exec_lo, s1
; %bb.20:                               ;   in Loop: Header=BB0_6 Depth=1
	v_dual_mov_b32 v3, v0 :: v_dual_mov_b32 v44, v1
	v_dual_mov_b32 v45, v18 :: v_dual_mov_b32 v18, v9
; %bb.21:                               ;   in Loop: Header=BB0_6 Depth=1
	s_or_b32 exec_lo, exec_lo, s1
                                        ; implicit-def: $vgpr9
                                        ; implicit-def: $vgpr16
.LBB0_22:                               ;   in Loop: Header=BB0_6 Depth=1
	s_and_not1_saveexec_b32 s0, s0
	s_cbranch_execz .LBB0_26
; %bb.23:                               ;   in Loop: Header=BB0_6 Depth=1
	s_delay_alu instid0(VALU_DEP_1)
	v_dual_mov_b32 v3, v18 :: v_dual_mov_b32 v44, v9
	v_mov_b32_e32 v45, v8
	s_mov_b32 s1, exec_lo
	v_cmpx_eq_u32_e32 1, v43
; %bb.24:                               ;   in Loop: Header=BB0_6 Depth=1
	v_dual_mov_b32 v3, v1 :: v_dual_mov_b32 v44, v18
	v_dual_mov_b32 v45, v9 :: v_dual_mov_b32 v16, v8
; %bb.25:                               ;   in Loop: Header=BB0_6 Depth=1
	s_or_b32 exec_lo, exec_lo, s1
	s_delay_alu instid0(VALU_DEP_1)
	v_mov_b32_e32 v18, v16
.LBB0_26:                               ;   in Loop: Header=BB0_6 Depth=1
	s_or_b32 exec_lo, exec_lo, s0
	v_add_nc_u32_e32 v9, 3, v24
	s_mov_b32 s0, exec_lo
	s_delay_alu instid0(VALU_DEP_1) | instskip(SKIP_2) | instid1(VALU_DEP_1)
	v_cmp_eq_u32_e32 vcc_lo, 0, v9
	v_cndmask_b32_e64 v16, 0, 1, vcc_lo
	v_add_co_ci_u32_e32 v8, vcc_lo, 0, v17, vcc_lo
	v_cmp_eq_u32_e32 vcc_lo, 0, v8
	s_delay_alu instid0(VALU_DEP_3) | instskip(NEXT) | instid1(VALU_DEP_1)
	v_cndmask_b32_e32 v17, 0, v16, vcc_lo
	v_add_nc_u32_e32 v16, v17, v21
	v_mad_u64_u32 v[20:21], null, 0xd2511f53, v9, 0
	s_delay_alu instid0(VALU_DEP_2) | instskip(SKIP_1) | instid1(VALU_DEP_3)
	v_cmp_eq_u32_e32 vcc_lo, 0, v16
	v_mad_u64_u32 v[46:47], null, 0xcd9e8d57, v16, 0
	v_xor_b32_e32 v21, v21, v11
	v_cndmask_b32_e32 v9, 0, v17, vcc_lo
	s_delay_alu instid0(VALU_DEP_1) | instskip(NEXT) | instid1(VALU_DEP_4)
	v_add_nc_u32_e32 v17, v9, v22
	v_xor3_b32 v9, v47, v10, v8
	s_delay_alu instid0(VALU_DEP_2) | instskip(NEXT) | instid1(VALU_DEP_2)
	v_xor_b32_e32 v23, v17, v21
	v_mad_u64_u32 v[21:22], null, 0xd2511f53, v9, 0
	s_delay_alu instid0(VALU_DEP_2) | instskip(NEXT) | instid1(VALU_DEP_2)
	v_mad_u64_u32 v[47:48], null, 0xcd9e8d57, v23, 0
	v_xor3_b32 v9, v25, v22, v20
	s_delay_alu instid0(VALU_DEP_2) | instskip(NEXT) | instid1(VALU_DEP_2)
	v_xor3_b32 v20, v26, v48, v46
	v_mad_u64_u32 v[22:23], null, 0xcd9e8d57, v9, 0
	s_delay_alu instid0(VALU_DEP_2) | instskip(NEXT) | instid1(VALU_DEP_2)
	v_mad_u64_u32 v[48:49], null, 0xd2511f53, v20, 0
	v_xor3_b32 v9, v27, v23, v47
	s_delay_alu instid0(VALU_DEP_2) | instskip(NEXT) | instid1(VALU_DEP_2)
	v_xor3_b32 v23, v28, v49, v21
	v_mad_u64_u32 v[20:21], null, 0xd2511f53, v9, 0
	s_delay_alu instid0(VALU_DEP_2) | instskip(NEXT) | instid1(VALU_DEP_2)
	v_mad_u64_u32 v[46:47], null, 0xcd9e8d57, v23, 0
	v_xor3_b32 v9, v29, v21, v48
	s_delay_alu instid0(VALU_DEP_2) | instskip(NEXT) | instid1(VALU_DEP_2)
	v_xor3_b32 v23, v30, v47, v22
	v_mad_u64_u32 v[21:22], null, 0xcd9e8d57, v9, 0
	s_delay_alu instid0(VALU_DEP_2) | instskip(NEXT) | instid1(VALU_DEP_2)
	v_mad_u64_u32 v[47:48], null, 0xd2511f53, v23, 0
	v_xor3_b32 v9, v31, v22, v46
	s_delay_alu instid0(VALU_DEP_2) | instskip(NEXT) | instid1(VALU_DEP_2)
	v_xor3_b32 v20, v32, v48, v20
	v_mad_u64_u32 v[22:23], null, 0xd2511f53, v9, 0
	s_delay_alu instid0(VALU_DEP_2) | instskip(NEXT) | instid1(VALU_DEP_2)
	v_mad_u64_u32 v[48:49], null, 0xcd9e8d57, v20, 0
	v_xor3_b32 v9, v34, v23, v47
	s_delay_alu instid0(VALU_DEP_2) | instskip(NEXT) | instid1(VALU_DEP_2)
	v_xor3_b32 v23, v33, v49, v21
	v_mad_u64_u32 v[20:21], null, 0xcd9e8d57, v9, 0
	s_delay_alu instid0(VALU_DEP_2) | instskip(NEXT) | instid1(VALU_DEP_2)
	v_mad_u64_u32 v[46:47], null, 0xd2511f53, v23, 0
	v_xor3_b32 v9, v36, v21, v48
	s_delay_alu instid0(VALU_DEP_2) | instskip(NEXT) | instid1(VALU_DEP_2)
	v_xor3_b32 v23, v35, v47, v22
	v_mad_u64_u32 v[21:22], null, 0xd2511f53, v9, 0
	s_delay_alu instid0(VALU_DEP_2) | instskip(NEXT) | instid1(VALU_DEP_2)
	v_mad_u64_u32 v[47:48], null, 0xcd9e8d57, v23, 0
	v_xor3_b32 v9, v38, v22, v46
	s_delay_alu instid0(VALU_DEP_2) | instskip(NEXT) | instid1(VALU_DEP_2)
	v_xor3_b32 v20, v37, v48, v20
	v_mad_u64_u32 v[48:49], null, 0xcd9e8d57, v9, 0
	s_delay_alu instid0(VALU_DEP_2) | instskip(NEXT) | instid1(VALU_DEP_2)
	v_mad_u64_u32 v[50:51], null, 0xd2511f53, v20, 0
	v_xor3_b32 v9, v40, v49, v47
                                        ; implicit-def: $vgpr47
	s_delay_alu instid0(VALU_DEP_2) | instskip(NEXT) | instid1(VALU_DEP_2)
	v_xor3_b32 v46, v39, v51, v21
	v_mad_u64_u32 v[22:23], null, 0xd2511f53, v9, 0
	s_delay_alu instid0(VALU_DEP_2) | instskip(NEXT) | instid1(VALU_DEP_2)
	v_mad_u64_u32 v[20:21], null, 0xcd9e8d57, v46, 0
                                        ; implicit-def: $vgpr46
	v_xor3_b32 v49, v23, v50, v42
	s_delay_alu instid0(VALU_DEP_2)
	v_xor3_b32 v21, v21, v48, v41
                                        ; implicit-def: $vgpr48
	v_cmpx_lt_i32_e32 1, v43
	s_xor_b32 s0, exec_lo, s0
	s_cbranch_execz .LBB0_32
; %bb.27:                               ;   in Loop: Header=BB0_6 Depth=1
	s_mov_b32 s1, exec_lo
	v_cmpx_lt_i32_e32 2, v43
	s_xor_b32 s1, exec_lo, s1
; %bb.28:                               ;   in Loop: Header=BB0_6 Depth=1
                                        ; implicit-def: $vgpr2
; %bb.29:                               ;   in Loop: Header=BB0_6 Depth=1
	s_delay_alu instid0(SALU_CYCLE_1)
	s_or_saveexec_b32 s1, s1
	v_dual_mov_b32 v46, v49 :: v_dual_mov_b32 v47, v20
	v_mov_b32_e32 v48, v21
	s_xor_b32 exec_lo, exec_lo, s1
; %bb.30:                               ;   in Loop: Header=BB0_6 Depth=1
	v_dual_mov_b32 v46, v20 :: v_dual_mov_b32 v47, v21
	v_dual_mov_b32 v48, v19 :: v_dual_mov_b32 v19, v2
; %bb.31:                               ;   in Loop: Header=BB0_6 Depth=1
	s_or_b32 exec_lo, exec_lo, s1
                                        ; implicit-def: $vgpr2
                                        ; implicit-def: $vgpr0
                                        ; implicit-def: $vgpr1
.LBB0_32:                               ;   in Loop: Header=BB0_6 Depth=1
	s_and_not1_saveexec_b32 s0, s0
	s_cbranch_execz .LBB0_36
; %bb.33:                               ;   in Loop: Header=BB0_6 Depth=1
	s_delay_alu instid0(VALU_DEP_1)
	v_dual_mov_b32 v46, v19 :: v_dual_mov_b32 v47, v2
	v_mov_b32_e32 v48, v0
	s_mov_b32 s1, exec_lo
	v_cmpx_eq_u32_e32 1, v43
; %bb.34:                               ;   in Loop: Header=BB0_6 Depth=1
	v_dual_mov_b32 v46, v21 :: v_dual_mov_b32 v47, v19
	v_dual_mov_b32 v48, v2 :: v_dual_mov_b32 v1, v0
; %bb.35:                               ;   in Loop: Header=BB0_6 Depth=1
	s_or_b32 exec_lo, exec_lo, s1
	s_delay_alu instid0(VALU_DEP_1)
	v_mov_b32_e32 v19, v1
.LBB0_36:                               ;   in Loop: Header=BB0_6 Depth=1
	s_or_b32 exec_lo, exec_lo, s0
	v_add_nc_u32_e32 v24, 4, v24
	s_mov_b32 s0, exec_lo
	s_delay_alu instid0(VALU_DEP_1) | instskip(SKIP_2) | instid1(VALU_DEP_1)
	v_cmp_eq_u32_e32 vcc_lo, 0, v24
	v_cndmask_b32_e64 v0, 0, 1, vcc_lo
	v_add_co_ci_u32_e32 v9, vcc_lo, 0, v8, vcc_lo
	v_cmp_eq_u32_e32 vcc_lo, 0, v9
	s_delay_alu instid0(VALU_DEP_3) | instskip(NEXT) | instid1(VALU_DEP_1)
	v_cndmask_b32_e32 v0, 0, v0, vcc_lo
	v_add_nc_u32_e32 v8, v0, v16
	s_delay_alu instid0(VALU_DEP_1) | instskip(SKIP_1) | instid1(VALU_DEP_1)
	v_cmp_eq_u32_e32 vcc_lo, 0, v8
	v_cndmask_b32_e32 v0, 0, v0, vcc_lo
	v_add_nc_u32_e32 v23, v0, v17
	v_mad_u64_u32 v[0:1], null, 0xd2511f53, v24, 0
	v_mad_u64_u32 v[16:17], null, 0xcd9e8d57, v8, 0
	s_delay_alu instid0(VALU_DEP_2) | instskip(NEXT) | instid1(VALU_DEP_2)
	v_xor_b32_e32 v1, v1, v11
	v_xor3_b32 v17, v17, v10, v9
	s_delay_alu instid0(VALU_DEP_2) | instskip(NEXT) | instid1(VALU_DEP_1)
	v_xor_b32_e32 v50, v23, v1
	v_mad_u64_u32 v[1:2], null, 0xcd9e8d57, v50, 0
	s_delay_alu instid0(VALU_DEP_3) | instskip(NEXT) | instid1(VALU_DEP_2)
	v_mad_u64_u32 v[50:51], null, 0xd2511f53, v17, 0
	v_xor3_b32 v2, v26, v2, v16
	s_delay_alu instid0(VALU_DEP_2) | instskip(NEXT) | instid1(VALU_DEP_2)
	v_xor3_b32 v0, v25, v51, v0
	v_mad_u64_u32 v[16:17], null, 0xd2511f53, v2, 0
	s_delay_alu instid0(VALU_DEP_2) | instskip(NEXT) | instid1(VALU_DEP_2)
	v_mad_u64_u32 v[51:52], null, 0xcd9e8d57, v0, 0
	v_xor3_b32 v2, v28, v17, v50
	s_delay_alu instid0(VALU_DEP_2) | instskip(NEXT) | instid1(VALU_DEP_2)
	v_xor3_b32 v17, v27, v52, v1
	v_mad_u64_u32 v[0:1], null, 0xcd9e8d57, v2, 0
	s_delay_alu instid0(VALU_DEP_2) | instskip(NEXT) | instid1(VALU_DEP_2)
	;; [unrolled: 6-line block ×8, first 2 shown]
	v_mad_u64_u32 v[16:17], null, 0xd2511f53, v50, 0
                                        ; implicit-def: $vgpr50
	v_xor3_b32 v0, v2, v53, v41
	s_delay_alu instid0(VALU_DEP_2)
	v_xor3_b32 v2, v17, v51, v42
                                        ; implicit-def: $vgpr17
                                        ; implicit-def: $vgpr51
	v_cmpx_lt_i32_e32 1, v43
	s_xor_b32 s0, exec_lo, s0
	s_cbranch_execz .LBB0_42
; %bb.37:                               ;   in Loop: Header=BB0_6 Depth=1
	s_mov_b32 s1, exec_lo
	v_cmpx_lt_i32_e32 2, v43
	s_xor_b32 s1, exec_lo, s1
; %bb.38:                               ;   in Loop: Header=BB0_6 Depth=1
                                        ; implicit-def: $vgpr49
; %bb.39:                               ;   in Loop: Header=BB0_6 Depth=1
	s_delay_alu instid0(SALU_CYCLE_1)
	s_or_saveexec_b32 s1, s1
	v_dual_mov_b32 v17, v2 :: v_dual_mov_b32 v50, v1
	v_mov_b32_e32 v51, v0
	s_xor_b32 exec_lo, exec_lo, s1
; %bb.40:                               ;   in Loop: Header=BB0_6 Depth=1
	v_dual_mov_b32 v17, v1 :: v_dual_mov_b32 v50, v0
	v_dual_mov_b32 v51, v22 :: v_dual_mov_b32 v22, v49
; %bb.41:                               ;   in Loop: Header=BB0_6 Depth=1
	s_or_b32 exec_lo, exec_lo, s1
                                        ; implicit-def: $vgpr49
                                        ; implicit-def: $vgpr20
                                        ; implicit-def: $vgpr21
.LBB0_42:                               ;   in Loop: Header=BB0_6 Depth=1
	s_and_not1_saveexec_b32 s0, s0
	s_cbranch_execz .LBB0_5
; %bb.43:                               ;   in Loop: Header=BB0_6 Depth=1
	s_delay_alu instid0(VALU_DEP_1)
	v_dual_mov_b32 v17, v22 :: v_dual_mov_b32 v50, v49
	v_mov_b32_e32 v51, v20
	s_mov_b32 s1, exec_lo
	v_cmpx_eq_u32_e32 1, v43
	s_cbranch_execz .LBB0_4
; %bb.44:                               ;   in Loop: Header=BB0_6 Depth=1
	v_dual_mov_b32 v17, v0 :: v_dual_mov_b32 v50, v22
	v_mov_b32_e32 v51, v49
	v_mov_b32_e32 v21, v20
	s_branch .LBB0_4
.LBB0_45:
	s_endpgm
	.section	.rodata,"a",@progbits
	.p2align	6, 0x0
	.amdhsa_kernel _ZN2at6native12_GLOBAL__N_124fused_dropout_kernel_vecIddjLi1ELi16EbEEvNS_4cuda6detail10TensorInfoIKT_T1_EENS5_IS6_S8_EENS5_IT4_S8_EES8_T0_NS_15PhiloxCudaStateE
		.amdhsa_group_segment_fixed_size 0
		.amdhsa_private_segment_fixed_size 0
		.amdhsa_kernarg_size 952
		.amdhsa_user_sgpr_count 15
		.amdhsa_user_sgpr_dispatch_ptr 0
		.amdhsa_user_sgpr_queue_ptr 0
		.amdhsa_user_sgpr_kernarg_segment_ptr 1
		.amdhsa_user_sgpr_dispatch_id 0
		.amdhsa_user_sgpr_private_segment_size 0
		.amdhsa_wavefront_size32 1
		.amdhsa_uses_dynamic_stack 0
		.amdhsa_enable_private_segment 0
		.amdhsa_system_sgpr_workgroup_id_x 1
		.amdhsa_system_sgpr_workgroup_id_y 0
		.amdhsa_system_sgpr_workgroup_id_z 0
		.amdhsa_system_sgpr_workgroup_info 0
		.amdhsa_system_vgpr_workitem_id 0
		.amdhsa_next_free_vgpr 130
		.amdhsa_next_free_sgpr 26
		.amdhsa_reserve_vcc 1
		.amdhsa_float_round_mode_32 0
		.amdhsa_float_round_mode_16_64 0
		.amdhsa_float_denorm_mode_32 3
		.amdhsa_float_denorm_mode_16_64 3
		.amdhsa_dx10_clamp 1
		.amdhsa_ieee_mode 1
		.amdhsa_fp16_overflow 0
		.amdhsa_workgroup_processor_mode 1
		.amdhsa_memory_ordered 1
		.amdhsa_forward_progress 0
		.amdhsa_shared_vgpr_count 0
		.amdhsa_exception_fp_ieee_invalid_op 0
		.amdhsa_exception_fp_denorm_src 0
		.amdhsa_exception_fp_ieee_div_zero 0
		.amdhsa_exception_fp_ieee_overflow 0
		.amdhsa_exception_fp_ieee_underflow 0
		.amdhsa_exception_fp_ieee_inexact 0
		.amdhsa_exception_int_div_zero 0
	.end_amdhsa_kernel
	.section	.text._ZN2at6native12_GLOBAL__N_124fused_dropout_kernel_vecIddjLi1ELi16EbEEvNS_4cuda6detail10TensorInfoIKT_T1_EENS5_IS6_S8_EENS5_IT4_S8_EES8_T0_NS_15PhiloxCudaStateE,"axG",@progbits,_ZN2at6native12_GLOBAL__N_124fused_dropout_kernel_vecIddjLi1ELi16EbEEvNS_4cuda6detail10TensorInfoIKT_T1_EENS5_IS6_S8_EENS5_IT4_S8_EES8_T0_NS_15PhiloxCudaStateE,comdat
.Lfunc_end0:
	.size	_ZN2at6native12_GLOBAL__N_124fused_dropout_kernel_vecIddjLi1ELi16EbEEvNS_4cuda6detail10TensorInfoIKT_T1_EENS5_IS6_S8_EENS5_IT4_S8_EES8_T0_NS_15PhiloxCudaStateE, .Lfunc_end0-_ZN2at6native12_GLOBAL__N_124fused_dropout_kernel_vecIddjLi1ELi16EbEEvNS_4cuda6detail10TensorInfoIKT_T1_EENS5_IS6_S8_EENS5_IT4_S8_EES8_T0_NS_15PhiloxCudaStateE
                                        ; -- End function
	.section	.AMDGPU.csdata,"",@progbits
; Kernel info:
; codeLenInByte = 5216
; NumSgprs: 28
; NumVgprs: 130
; ScratchSize: 0
; MemoryBound: 0
; FloatMode: 240
; IeeeMode: 1
; LDSByteSize: 0 bytes/workgroup (compile time only)
; SGPRBlocks: 3
; VGPRBlocks: 16
; NumSGPRsForWavesPerEU: 28
; NumVGPRsForWavesPerEU: 130
; Occupancy: 10
; WaveLimiterHint : 1
; COMPUTE_PGM_RSRC2:SCRATCH_EN: 0
; COMPUTE_PGM_RSRC2:USER_SGPR: 15
; COMPUTE_PGM_RSRC2:TRAP_HANDLER: 0
; COMPUTE_PGM_RSRC2:TGID_X_EN: 1
; COMPUTE_PGM_RSRC2:TGID_Y_EN: 0
; COMPUTE_PGM_RSRC2:TGID_Z_EN: 0
; COMPUTE_PGM_RSRC2:TIDIG_COMP_CNT: 0
	.section	.text._ZN2at6native12_GLOBAL__N_124fused_dropout_kernel_vecIddjLi1ELi8EbEEvNS_4cuda6detail10TensorInfoIKT_T1_EENS5_IS6_S8_EENS5_IT4_S8_EES8_T0_NS_15PhiloxCudaStateE,"axG",@progbits,_ZN2at6native12_GLOBAL__N_124fused_dropout_kernel_vecIddjLi1ELi8EbEEvNS_4cuda6detail10TensorInfoIKT_T1_EENS5_IS6_S8_EENS5_IT4_S8_EES8_T0_NS_15PhiloxCudaStateE,comdat
	.globl	_ZN2at6native12_GLOBAL__N_124fused_dropout_kernel_vecIddjLi1ELi8EbEEvNS_4cuda6detail10TensorInfoIKT_T1_EENS5_IS6_S8_EENS5_IT4_S8_EES8_T0_NS_15PhiloxCudaStateE ; -- Begin function _ZN2at6native12_GLOBAL__N_124fused_dropout_kernel_vecIddjLi1ELi8EbEEvNS_4cuda6detail10TensorInfoIKT_T1_EENS5_IS6_S8_EENS5_IT4_S8_EES8_T0_NS_15PhiloxCudaStateE
	.p2align	8
	.type	_ZN2at6native12_GLOBAL__N_124fused_dropout_kernel_vecIddjLi1ELi8EbEEvNS_4cuda6detail10TensorInfoIKT_T1_EENS5_IS6_S8_EENS5_IT4_S8_EES8_T0_NS_15PhiloxCudaStateE,@function
_ZN2at6native12_GLOBAL__N_124fused_dropout_kernel_vecIddjLi1ELi8EbEEvNS_4cuda6detail10TensorInfoIKT_T1_EENS5_IS6_S8_EENS5_IT4_S8_EES8_T0_NS_15PhiloxCudaStateE: ; @_ZN2at6native12_GLOBAL__N_124fused_dropout_kernel_vecIddjLi1ELi8EbEEvNS_4cuda6detail10TensorInfoIKT_T1_EENS5_IS6_S8_EENS5_IT4_S8_EES8_T0_NS_15PhiloxCudaStateE
; %bb.0:
	s_clause 0x2
	s_load_b64 s[2:3], s[0:1], 0x2a0
	s_load_b128 s[8:11], s[0:1], 0x290
	s_load_b32 s4, s[0:1], 0x2b0
	s_waitcnt lgkmcnt(0)
	v_dual_mov_b32 v4, s3 :: v_dual_mov_b32 v3, s2
	v_dual_mov_b32 v10, s10 :: v_dual_mov_b32 v11, s11
	s_bitcmp0_b32 s4, 0
	s_cbranch_scc1 .LBB1_2
; %bb.1:
	v_dual_mov_b32 v1, s2 :: v_dual_mov_b32 v2, s3
	v_dual_mov_b32 v3, s10 :: v_dual_mov_b32 v4, s11
	s_load_b64 s[2:3], s[0:1], 0x2a8
	flat_load_b64 v[1:2], v[1:2]
	flat_load_b64 v[10:11], v[3:4]
	s_waitcnt vmcnt(1) lgkmcnt(0)
	v_add_co_u32 v3, vcc_lo, v1, s2
	v_add_co_ci_u32_e32 v4, vcc_lo, s3, v2, vcc_lo
.LBB1_2:
	s_clause 0x1
	s_load_b32 s4, s[0:1], 0x2c4
	s_load_b32 s7, s[0:1], 0x288
	s_add_u32 s2, s0, 0x2b8
	s_addc_u32 s3, s1, 0
	s_mov_b32 s5, exec_lo
	s_waitcnt lgkmcnt(0)
	s_and_b32 s4, s4, 0xffff
	s_delay_alu instid0(SALU_CYCLE_1) | instskip(NEXT) | instid1(VALU_DEP_1)
	v_mad_u64_u32 v[16:17], null, s15, s4, v[0:1]
	v_lshlrev_b32_e32 v12, 3, v16
	s_delay_alu instid0(VALU_DEP_1)
	v_cmpx_gt_u32_e64 s7, v12
	s_cbranch_execz .LBB1_25
; %bb.3:
	v_div_scale_f64 v[0:1], null, s[8:9], s[8:9], 1.0
	v_div_scale_f64 v[13:14], vcc_lo, 1.0, s[8:9], 1.0
	v_alignbit_b32 v21, v4, v3, 2
	v_mad_u64_u32 v[17:18], null, 0xcd9e8d57, v16, 0
	v_lshrrev_b32_e32 v20, 2, v4
	s_waitcnt vmcnt(0)
	v_dual_mov_b32 v36, v11 :: v_dual_add_nc_u32 v39, 0x96a522ad, v11
	v_mad_u64_u32 v[24:25], null, 0xd2511f53, v21, 0
	v_add_co_u32 v23, null, 0x9e3779b9, v10
	v_xor3_b32 v2, v10, v18, v20
	s_delay_alu instid0(VALU_DEP_4) | instskip(SKIP_2) | instid1(VALU_DEP_4)
	v_add_co_u32 v22, null, 0xbb67ae85, v36
	v_add_co_u32 v32, null, 0x646e171e, v36
	v_xor_b32_e32 v4, v25, v11
	v_mad_u64_u32 v[18:19], null, 0xd2511f53, v2, 0
	v_add_co_u32 v25, null, 0x76cf5d0a, v36
	s_delay_alu instid0(VALU_DEP_3) | instskip(SKIP_1) | instid1(VALU_DEP_4)
	v_mad_u64_u32 v[26:27], null, 0xcd9e8d57, v4, 0
	v_add_co_u32 v33, null, 0xb54cda56, v10
	v_xor3_b32 v2, v22, v19, v24
	v_add_co_u32 v24, null, 0x3c6ef372, v10
	v_add_co_u32 v34, null, 0x5384540f, v10
	v_xor3_b32 v4, v27, v23, v17
	s_delay_alu instid0(VALU_DEP_4) | instskip(SKIP_2) | instid1(VALU_DEP_3)
	v_mad_u64_u32 v[28:29], null, 0xcd9e8d57, v2, 0
	v_add_co_u32 v27, null, 0xdaa66d2b, v10
	v_rcp_f64_e32 v[5:6], v[0:1]
	v_mad_u64_u32 v[30:31], null, 0xd2511f53, v4, 0
	v_add_co_u32 v35, null, 0x1fd5c5a3, v36
	s_delay_alu instid0(VALU_DEP_4)
	v_xor3_b32 v2, v24, v29, v26
	v_add_co_u32 v26, null, 0x32370b8f, v36
	v_add_co_u32 v29, null, 0xed9eba14, v36
	v_xor3_b32 v4, v31, v25, v18
	v_add_co_u32 v31, null, 0xa9066899, v36
	s_load_b32 s2, s[2:3], 0x0
	v_add_co_u32 v36, null, 0xdb3d7428, v36
	s_delay_alu instid0(VALU_DEP_3)
	v_mad_u64_u32 v[17:18], null, 0xcd9e8d57, v4, 0
	v_add_co_u32 v37, null, 0xf1bbcdc8, v10
	s_clause 0x2
	s_load_b64 s[10:11], s[0:1], 0x0
	s_load_b64 s[12:13], s[0:1], 0xd8
	;; [unrolled: 1-line block ×3, first 2 shown]
	v_add_nc_u32_e32 v38, 0x8ff34781, v10
	s_mov_b32 s16, 0
	v_xor3_b32 v4, v18, v27, v28
	v_add_co_u32 v28, null, 0x78dde6e4, v10
	s_delay_alu instid0(VALU_DEP_2) | instskip(SKIP_2) | instid1(SALU_CYCLE_1)
	v_mad_u64_u32 v[18:19], null, 0xd2511f53, v4, 0
	s_waitcnt lgkmcnt(0)
	s_mul_i32 s2, s2, s4
	s_lshl_b32 s17, s2, 3
	s_delay_alu instid0(TRANS32_DEP_1) | instskip(NEXT) | instid1(VALU_DEP_1)
	v_fma_f64 v[7:8], -v[0:1], v[5:6], 1.0
	v_fma_f64 v[5:6], v[5:6], v[7:8], v[5:6]
	s_delay_alu instid0(VALU_DEP_1) | instskip(NEXT) | instid1(VALU_DEP_1)
	v_fma_f64 v[7:8], -v[0:1], v[5:6], 1.0
	v_fma_f64 v[5:6], v[5:6], v[7:8], v[5:6]
	s_delay_alu instid0(VALU_DEP_1) | instskip(NEXT) | instid1(VALU_DEP_1)
	v_mul_f64 v[7:8], v[13:14], v[5:6]
	v_fma_f64 v[0:1], -v[0:1], v[7:8], v[13:14]
	v_mad_u64_u32 v[13:14], null, 0xd2511f53, v2, 0
	s_delay_alu instid0(VALU_DEP_1) | instskip(NEXT) | instid1(VALU_DEP_2)
	v_xor3_b32 v2, v26, v14, v30
	v_xor3_b32 v9, v19, v29, v13
	v_add_co_u32 v30, null, 0x1715609d, v10
	s_delay_alu instid0(VALU_DEP_3) | instskip(NEXT) | instid1(VALU_DEP_1)
	v_mad_u64_u32 v[14:15], null, 0xcd9e8d57, v2, 0
	v_xor3_b32 v2, v28, v15, v17
	v_div_fmas_f64 v[0:1], v[0:1], v[5:6], v[7:8]
	v_mad_u64_u32 v[4:5], null, 0xcd9e8d57, v9, 0
	s_delay_alu instid0(VALU_DEP_3) | instskip(NEXT) | instid1(VALU_DEP_2)
	v_mad_u64_u32 v[6:7], null, 0xd2511f53, v2, 0
	v_xor3_b32 v2, v5, v30, v14
	s_delay_alu instid0(VALU_DEP_2) | instskip(NEXT) | instid1(VALU_DEP_2)
	v_xor3_b32 v5, v31, v7, v18
	v_mad_u64_u32 v[7:8], null, 0xd2511f53, v2, 0
	s_delay_alu instid0(VALU_DEP_2) | instskip(NEXT) | instid1(VALU_DEP_2)
	v_mad_u64_u32 v[13:14], null, 0xcd9e8d57, v5, 0
	v_xor3_b32 v2, v8, v32, v6
	s_delay_alu instid0(VALU_DEP_2) | instskip(NEXT) | instid1(VALU_DEP_2)
	v_xor3_b32 v6, v33, v14, v4
	v_mad_u64_u32 v[4:5], null, 0xcd9e8d57, v2, 0
	s_delay_alu instid0(VALU_DEP_2) | instskip(NEXT) | instid1(VALU_DEP_1)
	v_mad_u64_u32 v[8:9], null, 0xd2511f53, v6, 0
	v_xor3_b32 v2, v35, v9, v7
	v_div_fixup_f64 v[14:15], v[0:1], s[8:9], 1.0
	s_delay_alu instid0(VALU_DEP_4) | instskip(SKIP_1) | instid1(VALU_DEP_2)
	v_xor3_b32 v0, v5, v34, v13
	v_mov_b32_e32 v13, 0
	v_mad_u64_u32 v[5:6], null, 0xd2511f53, v0, 0
	v_mad_u64_u32 v[0:1], null, 0xcd9e8d57, v2, 0
	s_delay_alu instid0(VALU_DEP_3) | instskip(NEXT) | instid1(VALU_DEP_3)
	v_mov_b32_e32 v41, v13
	v_xor3_b32 v6, v6, v36, v8
	s_delay_alu instid0(VALU_DEP_3) | instskip(NEXT) | instid1(VALU_DEP_2)
	v_xor3_b32 v4, v37, v1, v4
	v_mad_u64_u32 v[1:2], null, 0xcd9e8d57, v6, 0
	s_delay_alu instid0(VALU_DEP_2) | instskip(SKIP_1) | instid1(VALU_DEP_3)
	v_mad_u64_u32 v[6:7], null, 0xd2511f53, v4, 0
	v_and_b32_e32 v40, 3, v3
	v_xor3_b32 v0, v0, v2, v38
	s_delay_alu instid0(VALU_DEP_3) | instskip(NEXT) | instid1(VALU_DEP_4)
	v_mov_b32_e32 v3, v6
	v_xor3_b32 v2, v7, v5, v39
	s_branch .LBB1_6
.LBB1_4:                                ;   in Loop: Header=BB1_6 Depth=1
	s_or_b32 exec_lo, exec_lo, s1
	s_delay_alu instid0(VALU_DEP_1)
	v_mov_b32_e32 v19, v42
.LBB1_5:                                ;   in Loop: Header=BB1_6 Depth=1
	s_or_b32 exec_lo, exec_lo, s0
	v_lshlrev_b64 v[8:9], 3, v[12:13]
	v_cvt_f32_u32_e32 v6, v6
	v_cvt_f32_u32_e32 v7, v7
	;; [unrolled: 1-line block ×5, first 2 shown]
	v_add_co_u32 v56, vcc_lo, s10, v8
	v_add_co_ci_u32_e32 v57, vcc_lo, s11, v9, vcc_lo
	v_dual_fmaak_f32 v18, 0x2f800000, v6, 0x2f800000 :: v_dual_fmaak_f32 v7, 0x2f800000, v7, 0x2f800000
	s_delay_alu instid0(VALU_DEP_4)
	v_dual_fmaak_f32 v61, 0x2f800000, v19, 0x2f800000 :: v_dual_fmaak_f32 v66, 0x2f800000, v62, 0x2f800000
	s_clause 0x3
	global_load_b128 v[44:47], v[56:57], off
	global_load_b128 v[48:51], v[56:57], off offset:16
	global_load_b128 v[52:55], v[56:57], off offset:32
	;; [unrolled: 1-line block ×3, first 2 shown]
	v_cvt_f64_f32_e32 v[18:19], v18
	v_cvt_f32_u32_e32 v4, v4
	v_cvt_f32_u32_e32 v5, v5
	v_cvt_f32_u32_e32 v42, v43
	v_mov_b32_e32 v68, v13
	v_cvt_f64_f32_e32 v[66:67], v66
	s_delay_alu instid0(VALU_DEP_4) | instskip(NEXT) | instid1(VALU_DEP_4)
	v_dual_fmaak_f32 v4, 0x2f800000, v4, 0x2f800000 :: v_dual_fmaak_f32 v5, 0x2f800000, v5, 0x2f800000
	v_fmaak_f32 v63, 0x2f800000, v42, 0x2f800000
	v_cvt_f64_f32_e32 v[42:43], v7
	v_dual_fmaak_f32 v7, 0x2f800000, v60, 0x2f800000 :: v_dual_mov_b32 v70, v13
	s_delay_alu instid0(VALU_DEP_4)
	v_cvt_f64_f32_e32 v[5:6], v5
	v_cvt_f64_f32_e32 v[3:4], v4
	;; [unrolled: 1-line block ×5, first 2 shown]
	v_mov_b32_e32 v72, v13
	v_mov_b32_e32 v76, v13
	;; [unrolled: 1-line block ×5, first 2 shown]
	v_cmp_gt_f64_e64 s1, s[8:9], v[18:19]
	v_cmp_gt_f64_e64 s6, s[8:9], v[66:67]
	;; [unrolled: 1-line block ×4, first 2 shown]
	v_cmp_gt_f64_e32 vcc_lo, s[8:9], v[3:4]
	v_cmp_gt_f64_e64 s3, s[8:9], v[60:61]
	v_cmp_gt_f64_e64 s4, s[8:9], v[62:63]
	;; [unrolled: 1-line block ×3, first 2 shown]
	v_cndmask_b32_e64 v73, 0, 0x3ff00000, s1
	v_cndmask_b32_e64 v83, 0, 0x3ff00000, s6
	v_cndmask_b32_e64 v75, 0, 0x3ff00000, s2
	v_cndmask_b32_e64 v71, 0, 0x3ff00000, s0
	v_cndmask_b32_e64 v7, 0, 1, vcc_lo
	v_cndmask_b32_e64 v69, 0, 0x3ff00000, vcc_lo
	v_cndmask_b32_e64 v77, 0, 0x3ff00000, s3
	v_cndmask_b32_e64 v79, 0, 0x3ff00000, s4
	v_cndmask_b32_e64 v81, 0, 0x3ff00000, s5
	s_waitcnt vmcnt(3)
	v_mul_f64 v[3:4], v[44:45], v[68:69]
	s_waitcnt vmcnt(2)
	v_mul_f64 v[18:19], v[48:49], v[72:73]
	v_mul_f64 v[5:6], v[46:47], v[70:71]
	s_waitcnt vmcnt(1)
	v_mul_f64 v[46:47], v[52:53], v[76:77]
	;; [unrolled: 3-line block ×3, first 2 shown]
	v_cndmask_b32_e64 v54, 0, 1, s4
	v_cndmask_b32_e64 v55, 0, 1, s6
	;; [unrolled: 1-line block ×3, first 2 shown]
	s_delay_alu instid0(VALU_DEP_3) | instskip(NEXT) | instid1(VALU_DEP_3)
	v_lshlrev_b16 v54, 8, v54
	v_lshlrev_b16 v55, 8, v55
	s_delay_alu instid0(VALU_DEP_1)
	v_or_b32_e32 v55, v58, v55
	v_mul_f64 v[3:4], v[14:15], v[3:4]
	v_mul_f64 v[42:43], v[14:15], v[18:19]
	v_cndmask_b32_e64 v18, 0, 1, s0
	v_mul_f64 v[5:6], v[14:15], v[5:6]
	v_mul_f64 v[46:47], v[14:15], v[46:47]
	;; [unrolled: 1-line block ×4, first 2 shown]
	v_lshlrev_b16 v18, 8, v18
	v_cndmask_b32_e64 v19, 0, 1, s1
	s_delay_alu instid0(VALU_DEP_2) | instskip(SKIP_1) | instid1(VALU_DEP_1)
	v_or_b32_e32 v7, v7, v18
	v_mov_b32_e32 v74, v13
	v_mul_f64 v[44:45], v[50:51], v[74:75]
	v_mul_f64 v[50:51], v[56:57], v[80:81]
	v_cndmask_b32_e64 v56, 0, 1, s2
	v_cndmask_b32_e64 v57, 0, 1, s3
	s_delay_alu instid0(VALU_DEP_2) | instskip(NEXT) | instid1(VALU_DEP_2)
	v_lshlrev_b16 v56, 8, v56
	v_or_b32_e32 v54, v57, v54
	s_delay_alu instid0(VALU_DEP_2) | instskip(NEXT) | instid1(VALU_DEP_2)
	v_or_b32_e32 v18, v19, v56
	v_and_b32_e32 v19, 0xffff, v54
	v_lshlrev_b32_e32 v54, 16, v55
	v_and_b32_e32 v55, 0xffff, v7
	v_add_co_u32 v7, vcc_lo, s12, v8
	v_lshlrev_b32_e32 v18, 16, v18
	v_add_co_ci_u32_e32 v8, vcc_lo, s13, v9, vcc_lo
	v_or_b32_e32 v19, v19, v54
	s_delay_alu instid0(VALU_DEP_3)
	v_or_b32_e32 v18, v55, v18
	v_mul_f64 v[44:45], v[14:15], v[44:45]
	v_mul_f64 v[50:51], v[14:15], v[50:51]
	s_clause 0x3
	global_store_b128 v[7:8], v[3:6], off
	global_store_b128 v[7:8], v[42:45], off offset:16
	global_store_b128 v[7:8], v[46:49], off offset:32
	global_store_b128 v[7:8], v[50:53], off offset:48
	global_store_b64 v12, v[18:19], s[14:15]
	v_dual_mov_b32 v3, v17 :: v_dual_add_nc_u32 v12, s17, v12
	s_waitcnt_vscnt null, 0x0
	s_barrier
	buffer_gl0_inv
	v_cmp_le_u32_e32 vcc_lo, s7, v12
	s_or_b32 s16, vcc_lo, s16
	s_delay_alu instid0(SALU_CYCLE_1)
	s_and_not1_b32 exec_lo, exec_lo, s16
	s_cbranch_execz .LBB1_25
.LBB1_6:                                ; =>This Inner Loop Header: Depth=1
	v_add_co_u32 v6, vcc_lo, v21, 1
	s_delay_alu instid0(VALU_DEP_1) | instskip(SKIP_2) | instid1(VALU_DEP_1)
	v_cndmask_b32_e64 v4, 0, 1, vcc_lo
	v_add_co_ci_u32_e32 v17, vcc_lo, 0, v20, vcc_lo
	s_mov_b32 s0, exec_lo
	v_cmp_eq_u32_e32 vcc_lo, 0, v17
	s_delay_alu instid0(VALU_DEP_3) | instskip(SKIP_1) | instid1(VALU_DEP_2)
	v_cndmask_b32_e32 v7, 0, v4, vcc_lo
	v_mad_u64_u32 v[4:5], null, 0xd2511f53, v6, 0
	v_add_nc_u32_e32 v16, v7, v16
	s_delay_alu instid0(VALU_DEP_2) | instskip(NEXT) | instid1(VALU_DEP_2)
	v_xor_b32_e32 v8, v5, v11
	v_cmp_eq_u32_e32 vcc_lo, 0, v16
	v_cndmask_b32_e32 v7, 0, v7, vcc_lo
	v_mad_u64_u32 v[5:6], null, 0xcd9e8d57, v16, 0
	s_delay_alu instid0(VALU_DEP_2) | instskip(NEXT) | instid1(VALU_DEP_2)
	v_add_nc_u32_e32 v18, v7, v41
	v_xor3_b32 v19, v6, v10, v17
	s_delay_alu instid0(VALU_DEP_2) | instskip(NEXT) | instid1(VALU_DEP_1)
	v_xor_b32_e32 v8, v18, v8
	v_mad_u64_u32 v[6:7], null, 0xcd9e8d57, v8, 0
	s_delay_alu instid0(VALU_DEP_3) | instskip(NEXT) | instid1(VALU_DEP_2)
	v_mad_u64_u32 v[8:9], null, 0xd2511f53, v19, 0
	v_xor3_b32 v7, v23, v7, v5
	s_delay_alu instid0(VALU_DEP_2) | instskip(NEXT) | instid1(VALU_DEP_2)
	v_xor3_b32 v9, v22, v9, v4
	v_mad_u64_u32 v[4:5], null, 0xd2511f53, v7, 0
	s_delay_alu instid0(VALU_DEP_2) | instskip(NEXT) | instid1(VALU_DEP_2)
	v_mad_u64_u32 v[19:20], null, 0xcd9e8d57, v9, 0
	v_xor3_b32 v7, v25, v5, v8
	s_delay_alu instid0(VALU_DEP_2) | instskip(NEXT) | instid1(VALU_DEP_2)
	v_xor3_b32 v9, v24, v20, v6
	v_mad_u64_u32 v[5:6], null, 0xcd9e8d57, v7, 0
	s_delay_alu instid0(VALU_DEP_2) | instskip(NEXT) | instid1(VALU_DEP_2)
	;; [unrolled: 6-line block ×8, first 2 shown]
	v_mad_u64_u32 v[19:20], null, 0xd2511f53, v4, 0
	v_xor3_b32 v42, v9, v41, v38
	s_delay_alu instid0(VALU_DEP_2)
	v_xor3_b32 v9, v20, v5, v39
                                        ; implicit-def: $vgpr4_vgpr5_vgpr6_vgpr7
	v_cmpx_lt_i32_e32 1, v40
	s_xor_b32 s0, exec_lo, s0
	s_cbranch_execz .LBB1_12
; %bb.7:                                ;   in Loop: Header=BB1_6 Depth=1
	s_mov_b32 s1, exec_lo
                                        ; implicit-def: $vgpr4_vgpr5_vgpr6_vgpr7
	v_cmpx_lt_i32_e32 2, v40
	s_xor_b32 s1, exec_lo, s1
; %bb.8:                                ;   in Loop: Header=BB1_6 Depth=1
	v_dual_mov_b32 v6, v3 :: v_dual_mov_b32 v7, v42
                                        ; implicit-def: $vgpr0_vgpr1_vgpr2_vgpr3
	s_delay_alu instid0(VALU_DEP_1) | instskip(NEXT) | instid1(VALU_DEP_2)
	v_mov_b32_e32 v4, v6
	v_dual_mov_b32 v5, v7 :: v_dual_mov_b32 v6, v8
	v_mov_b32_e32 v7, v9
; %bb.9:                                ;   in Loop: Header=BB1_6 Depth=1
	s_and_not1_saveexec_b32 s1, s1
; %bb.10:                               ;   in Loop: Header=BB1_6 Depth=1
	v_dual_mov_b32 v4, v2 :: v_dual_mov_b32 v5, v3
	v_dual_mov_b32 v6, v42 :: v_dual_mov_b32 v7, v8
; %bb.11:                               ;   in Loop: Header=BB1_6 Depth=1
	s_or_b32 exec_lo, exec_lo, s1
                                        ; implicit-def: $vgpr0_vgpr1_vgpr2_vgpr3
.LBB1_12:                               ;   in Loop: Header=BB1_6 Depth=1
	s_and_not1_saveexec_b32 s0, s0
	s_cbranch_execz .LBB1_16
; %bb.13:                               ;   in Loop: Header=BB1_6 Depth=1
	s_mov_b32 s1, exec_lo
	v_cmpx_eq_u32_e32 1, v40
; %bb.14:                               ;   in Loop: Header=BB1_6 Depth=1
	v_dual_mov_b32 v0, v1 :: v_dual_mov_b32 v1, v2
	v_dual_mov_b32 v2, v3 :: v_dual_mov_b32 v3, v42
; %bb.15:                               ;   in Loop: Header=BB1_6 Depth=1
	s_or_b32 exec_lo, exec_lo, s1
	s_delay_alu instid0(VALU_DEP_1) | instskip(NEXT) | instid1(VALU_DEP_3)
	v_dual_mov_b32 v7, v3 :: v_dual_mov_b32 v6, v2
	v_dual_mov_b32 v5, v1 :: v_dual_mov_b32 v4, v0
.LBB1_16:                               ;   in Loop: Header=BB1_6 Depth=1
	s_or_b32 exec_lo, exec_lo, s0
	v_add_nc_u32_e32 v21, 2, v21
	s_mov_b32 s0, exec_lo
	s_delay_alu instid0(VALU_DEP_1) | instskip(SKIP_2) | instid1(VALU_DEP_1)
	v_cmp_eq_u32_e32 vcc_lo, 0, v21
	v_cndmask_b32_e64 v0, 0, 1, vcc_lo
	v_add_co_ci_u32_e32 v20, vcc_lo, 0, v17, vcc_lo
	v_cmp_eq_u32_e32 vcc_lo, 0, v20
	s_delay_alu instid0(VALU_DEP_3) | instskip(NEXT) | instid1(VALU_DEP_1)
	v_cndmask_b32_e32 v0, 0, v0, vcc_lo
	v_add_nc_u32_e32 v16, v0, v16
	s_delay_alu instid0(VALU_DEP_1) | instskip(SKIP_2) | instid1(VALU_DEP_2)
	v_cmp_eq_u32_e32 vcc_lo, 0, v16
	v_mad_u64_u32 v[2:3], null, 0xcd9e8d57, v16, 0
	v_cndmask_b32_e32 v0, 0, v0, vcc_lo
	v_xor3_b32 v3, v3, v10, v20
	s_delay_alu instid0(VALU_DEP_2) | instskip(SKIP_1) | instid1(VALU_DEP_3)
	v_add_nc_u32_e32 v41, v0, v18
	v_mad_u64_u32 v[0:1], null, 0xd2511f53, v21, 0
	v_mad_u64_u32 v[43:44], null, 0xd2511f53, v3, 0
	s_delay_alu instid0(VALU_DEP_2) | instskip(NEXT) | instid1(VALU_DEP_1)
	v_xor_b32_e32 v1, v1, v11
	v_xor_b32_e32 v1, v41, v1
	s_delay_alu instid0(VALU_DEP_1) | instskip(NEXT) | instid1(VALU_DEP_1)
	v_mad_u64_u32 v[17:18], null, 0xcd9e8d57, v1, 0
	v_xor3_b32 v2, v23, v18, v2
	v_xor3_b32 v18, v22, v44, v0
	s_delay_alu instid0(VALU_DEP_2) | instskip(NEXT) | instid1(VALU_DEP_2)
	v_mad_u64_u32 v[0:1], null, 0xd2511f53, v2, 0
	v_mad_u64_u32 v[2:3], null, 0xcd9e8d57, v18, 0
	s_delay_alu instid0(VALU_DEP_2) | instskip(NEXT) | instid1(VALU_DEP_2)
	v_xor3_b32 v1, v25, v1, v43
	v_xor3_b32 v3, v24, v3, v17
	s_delay_alu instid0(VALU_DEP_2) | instskip(NEXT) | instid1(VALU_DEP_2)
	v_mad_u64_u32 v[17:18], null, 0xcd9e8d57, v1, 0
	v_mad_u64_u32 v[43:44], null, 0xd2511f53, v3, 0
	s_delay_alu instid0(VALU_DEP_2) | instskip(NEXT) | instid1(VALU_DEP_2)
	;; [unrolled: 6-line block ×7, first 2 shown]
	v_xor3_b32 v3, v36, v45, v43
	v_xor3_b32 v43, v37, v1, v17
	s_delay_alu instid0(VALU_DEP_2) | instskip(NEXT) | instid1(VALU_DEP_2)
	v_mad_u64_u32 v[1:2], null, 0xcd9e8d57, v3, 0
	v_mad_u64_u32 v[17:18], null, 0xd2511f53, v43, 0
                                        ; implicit-def: $vgpr3
                                        ; implicit-def: $vgpr43
	s_delay_alu instid0(VALU_DEP_2) | instskip(NEXT) | instid1(VALU_DEP_2)
	v_xor3_b32 v0, v2, v0, v38
	v_xor3_b32 v2, v18, v44, v39
                                        ; implicit-def: $vgpr18
	v_cmpx_lt_i32_e32 1, v40
	s_xor_b32 s0, exec_lo, s0
	s_cbranch_execz .LBB1_22
; %bb.17:                               ;   in Loop: Header=BB1_6 Depth=1
	s_mov_b32 s1, exec_lo
	v_cmpx_lt_i32_e32 2, v40
	s_xor_b32 s1, exec_lo, s1
; %bb.18:                               ;   in Loop: Header=BB1_6 Depth=1
                                        ; implicit-def: $vgpr9
; %bb.19:                               ;   in Loop: Header=BB1_6 Depth=1
	s_delay_alu instid0(SALU_CYCLE_1)
	s_or_saveexec_b32 s1, s1
	v_dual_mov_b32 v3, v2 :: v_dual_mov_b32 v18, v1
	v_mov_b32_e32 v43, v0
	s_xor_b32 exec_lo, exec_lo, s1
; %bb.20:                               ;   in Loop: Header=BB1_6 Depth=1
	v_dual_mov_b32 v3, v1 :: v_dual_mov_b32 v18, v0
	v_mov_b32_e32 v43, v19
	v_mov_b32_e32 v19, v9
; %bb.21:                               ;   in Loop: Header=BB1_6 Depth=1
	s_or_b32 exec_lo, exec_lo, s1
                                        ; implicit-def: $vgpr9
                                        ; implicit-def: $vgpr42
.LBB1_22:                               ;   in Loop: Header=BB1_6 Depth=1
	s_and_not1_saveexec_b32 s0, s0
	s_cbranch_execz .LBB1_5
; %bb.23:                               ;   in Loop: Header=BB1_6 Depth=1
	s_delay_alu instid0(VALU_DEP_1)
	v_dual_mov_b32 v3, v19 :: v_dual_mov_b32 v18, v9
	v_mov_b32_e32 v43, v8
	s_mov_b32 s1, exec_lo
	v_cmpx_eq_u32_e32 1, v40
	s_cbranch_execz .LBB1_4
; %bb.24:                               ;   in Loop: Header=BB1_6 Depth=1
	v_dual_mov_b32 v3, v0 :: v_dual_mov_b32 v18, v19
	v_dual_mov_b32 v43, v9 :: v_dual_mov_b32 v42, v8
	s_branch .LBB1_4
.LBB1_25:
	s_endpgm
	.section	.rodata,"a",@progbits
	.p2align	6, 0x0
	.amdhsa_kernel _ZN2at6native12_GLOBAL__N_124fused_dropout_kernel_vecIddjLi1ELi8EbEEvNS_4cuda6detail10TensorInfoIKT_T1_EENS5_IS6_S8_EENS5_IT4_S8_EES8_T0_NS_15PhiloxCudaStateE
		.amdhsa_group_segment_fixed_size 0
		.amdhsa_private_segment_fixed_size 0
		.amdhsa_kernarg_size 952
		.amdhsa_user_sgpr_count 15
		.amdhsa_user_sgpr_dispatch_ptr 0
		.amdhsa_user_sgpr_queue_ptr 0
		.amdhsa_user_sgpr_kernarg_segment_ptr 1
		.amdhsa_user_sgpr_dispatch_id 0
		.amdhsa_user_sgpr_private_segment_size 0
		.amdhsa_wavefront_size32 1
		.amdhsa_uses_dynamic_stack 0
		.amdhsa_enable_private_segment 0
		.amdhsa_system_sgpr_workgroup_id_x 1
		.amdhsa_system_sgpr_workgroup_id_y 0
		.amdhsa_system_sgpr_workgroup_id_z 0
		.amdhsa_system_sgpr_workgroup_info 0
		.amdhsa_system_vgpr_workitem_id 0
		.amdhsa_next_free_vgpr 84
		.amdhsa_next_free_sgpr 18
		.amdhsa_reserve_vcc 1
		.amdhsa_float_round_mode_32 0
		.amdhsa_float_round_mode_16_64 0
		.amdhsa_float_denorm_mode_32 3
		.amdhsa_float_denorm_mode_16_64 3
		.amdhsa_dx10_clamp 1
		.amdhsa_ieee_mode 1
		.amdhsa_fp16_overflow 0
		.amdhsa_workgroup_processor_mode 1
		.amdhsa_memory_ordered 1
		.amdhsa_forward_progress 0
		.amdhsa_shared_vgpr_count 0
		.amdhsa_exception_fp_ieee_invalid_op 0
		.amdhsa_exception_fp_denorm_src 0
		.amdhsa_exception_fp_ieee_div_zero 0
		.amdhsa_exception_fp_ieee_overflow 0
		.amdhsa_exception_fp_ieee_underflow 0
		.amdhsa_exception_fp_ieee_inexact 0
		.amdhsa_exception_int_div_zero 0
	.end_amdhsa_kernel
	.section	.text._ZN2at6native12_GLOBAL__N_124fused_dropout_kernel_vecIddjLi1ELi8EbEEvNS_4cuda6detail10TensorInfoIKT_T1_EENS5_IS6_S8_EENS5_IT4_S8_EES8_T0_NS_15PhiloxCudaStateE,"axG",@progbits,_ZN2at6native12_GLOBAL__N_124fused_dropout_kernel_vecIddjLi1ELi8EbEEvNS_4cuda6detail10TensorInfoIKT_T1_EENS5_IS6_S8_EENS5_IT4_S8_EES8_T0_NS_15PhiloxCudaStateE,comdat
.Lfunc_end1:
	.size	_ZN2at6native12_GLOBAL__N_124fused_dropout_kernel_vecIddjLi1ELi8EbEEvNS_4cuda6detail10TensorInfoIKT_T1_EENS5_IS6_S8_EENS5_IT4_S8_EES8_T0_NS_15PhiloxCudaStateE, .Lfunc_end1-_ZN2at6native12_GLOBAL__N_124fused_dropout_kernel_vecIddjLi1ELi8EbEEvNS_4cuda6detail10TensorInfoIKT_T1_EENS5_IS6_S8_EENS5_IT4_S8_EES8_T0_NS_15PhiloxCudaStateE
                                        ; -- End function
	.section	.AMDGPU.csdata,"",@progbits
; Kernel info:
; codeLenInByte = 3196
; NumSgprs: 20
; NumVgprs: 84
; ScratchSize: 0
; MemoryBound: 0
; FloatMode: 240
; IeeeMode: 1
; LDSByteSize: 0 bytes/workgroup (compile time only)
; SGPRBlocks: 2
; VGPRBlocks: 10
; NumSGPRsForWavesPerEU: 20
; NumVGPRsForWavesPerEU: 84
; Occupancy: 16
; WaveLimiterHint : 1
; COMPUTE_PGM_RSRC2:SCRATCH_EN: 0
; COMPUTE_PGM_RSRC2:USER_SGPR: 15
; COMPUTE_PGM_RSRC2:TRAP_HANDLER: 0
; COMPUTE_PGM_RSRC2:TGID_X_EN: 1
; COMPUTE_PGM_RSRC2:TGID_Y_EN: 0
; COMPUTE_PGM_RSRC2:TGID_Z_EN: 0
; COMPUTE_PGM_RSRC2:TIDIG_COMP_CNT: 0
	.section	.text._ZN2at6native12_GLOBAL__N_124fused_dropout_kernel_vecIddjLi1ELi4EbEEvNS_4cuda6detail10TensorInfoIKT_T1_EENS5_IS6_S8_EENS5_IT4_S8_EES8_T0_NS_15PhiloxCudaStateE,"axG",@progbits,_ZN2at6native12_GLOBAL__N_124fused_dropout_kernel_vecIddjLi1ELi4EbEEvNS_4cuda6detail10TensorInfoIKT_T1_EENS5_IS6_S8_EENS5_IT4_S8_EES8_T0_NS_15PhiloxCudaStateE,comdat
	.globl	_ZN2at6native12_GLOBAL__N_124fused_dropout_kernel_vecIddjLi1ELi4EbEEvNS_4cuda6detail10TensorInfoIKT_T1_EENS5_IS6_S8_EENS5_IT4_S8_EES8_T0_NS_15PhiloxCudaStateE ; -- Begin function _ZN2at6native12_GLOBAL__N_124fused_dropout_kernel_vecIddjLi1ELi4EbEEvNS_4cuda6detail10TensorInfoIKT_T1_EENS5_IS6_S8_EENS5_IT4_S8_EES8_T0_NS_15PhiloxCudaStateE
	.p2align	8
	.type	_ZN2at6native12_GLOBAL__N_124fused_dropout_kernel_vecIddjLi1ELi4EbEEvNS_4cuda6detail10TensorInfoIKT_T1_EENS5_IS6_S8_EENS5_IT4_S8_EES8_T0_NS_15PhiloxCudaStateE,@function
_ZN2at6native12_GLOBAL__N_124fused_dropout_kernel_vecIddjLi1ELi4EbEEvNS_4cuda6detail10TensorInfoIKT_T1_EENS5_IS6_S8_EENS5_IT4_S8_EES8_T0_NS_15PhiloxCudaStateE: ; @_ZN2at6native12_GLOBAL__N_124fused_dropout_kernel_vecIddjLi1ELi4EbEEvNS_4cuda6detail10TensorInfoIKT_T1_EENS5_IS6_S8_EENS5_IT4_S8_EES8_T0_NS_15PhiloxCudaStateE
; %bb.0:
	s_clause 0x2
	s_load_b64 s[2:3], s[0:1], 0x2a0
	s_load_b128 s[4:7], s[0:1], 0x290
	s_load_b32 s8, s[0:1], 0x2b0
	s_waitcnt lgkmcnt(0)
	v_dual_mov_b32 v1, s2 :: v_dual_mov_b32 v2, s3
	v_dual_mov_b32 v9, s7 :: v_dual_mov_b32 v8, s6
	s_bitcmp0_b32 s8, 0
	s_cbranch_scc1 .LBB2_2
; %bb.1:
	v_dual_mov_b32 v1, s2 :: v_dual_mov_b32 v2, s3
	v_dual_mov_b32 v3, s6 :: v_dual_mov_b32 v4, s7
	s_load_b64 s[2:3], s[0:1], 0x2a8
	flat_load_b64 v[1:2], v[1:2]
	flat_load_b64 v[8:9], v[3:4]
	s_waitcnt vmcnt(1) lgkmcnt(0)
	v_add_co_u32 v1, vcc_lo, v1, s2
	v_add_co_ci_u32_e32 v2, vcc_lo, s3, v2, vcc_lo
.LBB2_2:
	s_clause 0x1
	s_load_b32 s6, s[0:1], 0x2c4
	s_load_b32 s12, s[0:1], 0x288
	s_add_u32 s2, s0, 0x2b8
	s_addc_u32 s3, s1, 0
	s_waitcnt lgkmcnt(0)
	s_and_b32 s13, s6, 0xffff
	s_mov_b32 s6, exec_lo
	v_mad_u64_u32 v[10:11], null, s15, s13, v[0:1]
	s_delay_alu instid0(VALU_DEP_1) | instskip(NEXT) | instid1(VALU_DEP_1)
	v_lshlrev_b32_e32 v11, 2, v10
	v_cmpx_gt_u32_e64 s12, v11
	s_cbranch_execz .LBB2_15
; %bb.3:
	v_div_scale_f64 v[3:4], null, s[4:5], s[4:5], 1.0
	v_div_scale_f64 v[14:15], vcc_lo, 1.0, s[4:5], 1.0
	v_alignbit_b32 v17, v2, v1, 2
	v_lshrrev_b32_e32 v18, 2, v2
	v_mad_u64_u32 v[21:22], null, 0xcd9e8d57, v10, 0
	s_waitcnt vmcnt(0)
	v_add_co_u32 v20, null, 0x9e3779b9, v8
	v_mad_u64_u32 v[23:24], null, 0xd2511f53, v17, 0
	v_dual_mov_b32 v33, v9 :: v_dual_add_nc_u32 v36, 0x96a522ad, v9
	s_delay_alu instid0(VALU_DEP_4) | instskip(SKIP_2) | instid1(VALU_DEP_4)
	v_xor3_b32 v0, v8, v22, v18
	s_load_b32 s2, s[2:3], 0x0
	v_add_co_u32 v34, null, 0xf1bbcdc8, v8
	v_xor_b32_e32 v2, v24, v9
	s_delay_alu instid0(VALU_DEP_3) | instskip(SKIP_1) | instid1(VALU_DEP_3)
	v_mad_u64_u32 v[24:25], null, 0xd2511f53, v0, 0
	v_add_co_u32 v19, null, 0xbb67ae85, v33
	v_mad_u64_u32 v[26:27], null, 0xcd9e8d57, v2, 0
	v_add_co_u32 v22, null, 0x76cf5d0a, v33
	s_delay_alu instid0(VALU_DEP_3) | instskip(SKIP_3) | instid1(VALU_DEP_4)
	v_xor3_b32 v0, v19, v25, v23
	v_add_co_u32 v23, null, 0x32370b8f, v33
	v_add_co_u32 v25, null, 0x78dde6e4, v8
	v_xor3_b32 v2, v27, v20, v21
	v_mad_u64_u32 v[27:28], null, 0xcd9e8d57, v0, 0
	v_add_co_u32 v21, null, 0x3c6ef372, v8
	s_delay_alu instid0(VALU_DEP_3)
	v_mad_u64_u32 v[29:30], null, 0xd2511f53, v2, 0
	v_rcp_f64_e32 v[5:6], v[3:4]
	s_clause 0x2
	s_load_b64 s[6:7], s[0:1], 0x0
	s_load_b64 s[8:9], s[0:1], 0xd8
	;; [unrolled: 1-line block ×3, first 2 shown]
	v_xor3_b32 v0, v21, v28, v26
	v_add_co_u32 v26, null, 0xed9eba14, v33
	v_add_co_u32 v28, null, 0xa9066899, v33
	v_add_nc_u32_e32 v35, 0x8ff34781, v8
	s_waitcnt lgkmcnt(0)
	s_mul_i32 s2, s2, s13
	s_mov_b32 s3, 0
	s_lshl_b32 s13, s2, 2
	s_waitcnt_depctr 0xfff
	v_fma_f64 v[12:13], -v[3:4], v[5:6], 1.0
	s_delay_alu instid0(VALU_DEP_1) | instskip(NEXT) | instid1(VALU_DEP_1)
	v_fma_f64 v[5:6], v[5:6], v[12:13], v[5:6]
	v_fma_f64 v[12:13], -v[3:4], v[5:6], 1.0
	s_delay_alu instid0(VALU_DEP_1) | instskip(NEXT) | instid1(VALU_DEP_1)
	v_fma_f64 v[5:6], v[5:6], v[12:13], v[5:6]
	v_mul_f64 v[12:13], v[14:15], v[5:6]
	s_delay_alu instid0(VALU_DEP_1) | instskip(SKIP_3) | instid1(VALU_DEP_3)
	v_fma_f64 v[2:3], -v[3:4], v[12:13], v[14:15]
	v_xor3_b32 v4, v30, v22, v24
	v_mad_u64_u32 v[14:15], null, 0xd2511f53, v0, 0
	v_add_co_u32 v24, null, 0xdaa66d2b, v8
	v_mad_u64_u32 v[30:31], null, 0xcd9e8d57, v4, 0
	s_delay_alu instid0(VALU_DEP_3) | instskip(SKIP_1) | instid1(VALU_DEP_3)
	v_xor3_b32 v0, v23, v15, v29
	v_add_co_u32 v29, null, 0x646e171e, v33
	v_xor3_b32 v4, v31, v24, v27
	s_delay_alu instid0(VALU_DEP_3) | instskip(SKIP_1) | instid1(VALU_DEP_3)
	v_mad_u64_u32 v[15:16], null, 0xcd9e8d57, v0, 0
	v_add_co_u32 v27, null, 0x1715609d, v8
	v_mad_u64_u32 v[31:32], null, 0xd2511f53, v4, 0
	s_delay_alu instid0(VALU_DEP_3) | instskip(SKIP_1) | instid1(VALU_DEP_3)
	v_xor3_b32 v0, v25, v16, v30
	v_add_co_u32 v30, null, 0xb54cda56, v8
	v_xor3_b32 v7, v32, v26, v14
	v_add_co_u32 v32, null, 0x1fd5c5a3, v33
	v_add_co_u32 v33, null, 0xdb3d7428, v33
	v_div_fmas_f64 v[2:3], v[2:3], v[5:6], v[12:13]
	s_delay_alu instid0(VALU_DEP_4) | instskip(SKIP_1) | instid1(VALU_DEP_2)
	v_mad_u64_u32 v[4:5], null, 0xcd9e8d57, v7, 0
	v_mad_u64_u32 v[6:7], null, 0xd2511f53, v0, 0
	v_xor3_b32 v0, v5, v27, v15
	s_delay_alu instid0(VALU_DEP_2) | instskip(SKIP_1) | instid1(VALU_DEP_3)
	v_xor3_b32 v5, v28, v7, v31
	v_add_co_u32 v31, null, 0x5384540f, v8
	v_mad_u64_u32 v[12:13], null, 0xd2511f53, v0, 0
	s_delay_alu instid0(VALU_DEP_3) | instskip(NEXT) | instid1(VALU_DEP_2)
	v_mad_u64_u32 v[15:16], null, 0xcd9e8d57, v5, 0
	v_xor3_b32 v0, v13, v29, v6
	s_delay_alu instid0(VALU_DEP_2) | instskip(NEXT) | instid1(VALU_DEP_2)
	v_xor3_b32 v13, v30, v16, v4
	v_mad_u64_u32 v[4:5], null, 0xcd9e8d57, v0, 0
	s_delay_alu instid0(VALU_DEP_2) | instskip(NEXT) | instid1(VALU_DEP_2)
	v_mad_u64_u32 v[6:7], null, 0xd2511f53, v13, 0
	v_xor3_b32 v0, v5, v31, v15
	s_delay_alu instid0(VALU_DEP_2) | instskip(SKIP_2) | instid1(VALU_DEP_4)
	v_xor3_b32 v5, v32, v7, v12
	v_mov_b32_e32 v12, 0
	v_div_fixup_f64 v[13:14], v[2:3], s[4:5], 1.0
	v_mad_u64_u32 v[2:3], null, 0xd2511f53, v0, 0
	s_delay_alu instid0(VALU_DEP_4) | instskip(NEXT) | instid1(VALU_DEP_4)
	v_mad_u64_u32 v[15:16], null, 0xcd9e8d57, v5, 0
	v_dual_mov_b32 v38, v12 :: v_dual_and_b32 v37, 3, v1
	s_delay_alu instid0(VALU_DEP_3) | instskip(NEXT) | instid1(VALU_DEP_3)
	v_xor3_b32 v0, v3, v33, v6
	v_xor3_b32 v3, v34, v16, v4
	s_delay_alu instid0(VALU_DEP_2) | instskip(NEXT) | instid1(VALU_DEP_2)
	v_mad_u64_u32 v[4:5], null, 0xcd9e8d57, v0, 0
	v_mad_u64_u32 v[6:7], null, 0xd2511f53, v3, 0
	s_delay_alu instid0(VALU_DEP_2) | instskip(NEXT) | instid1(VALU_DEP_2)
	v_xor3_b32 v3, v15, v5, v35
	v_xor3_b32 v5, v7, v2, v36
	s_branch .LBB2_6
.LBB2_4:                                ;   in Loop: Header=BB2_6 Depth=1
	s_or_b32 exec_lo, exec_lo, s1
.LBB2_5:                                ;   in Loop: Header=BB2_6 Depth=1
	s_delay_alu instid0(SALU_CYCLE_1)
	s_or_b32 exec_lo, exec_lo, s0
	v_lshlrev_b64 v[47:48], 3, v[11:12]
	v_cvt_f32_u32_e32 v3, v3
	v_cvt_f32_u32_e32 v4, v4
	;; [unrolled: 1-line block ×4, first 2 shown]
	v_mov_b32_e32 v53, v12
	v_add_co_u32 v43, vcc_lo, s6, v47
	v_add_co_ci_u32_e32 v44, vcc_lo, s7, v48, vcc_lo
	v_dual_fmaak_f32 v3, 0x2f800000, v3, 0x2f800000 :: v_dual_fmaak_f32 v16, 0x2f800000, v5, 0x2f800000
	v_fmaak_f32 v7, 0x2f800000, v4, 0x2f800000
	s_clause 0x1
	global_load_b128 v[39:42], v[43:44], off
	global_load_b128 v[43:46], v[43:44], off offset:16
	v_fmaak_f32 v51, 0x2f800000, v6, 0x2f800000
	v_cvt_f64_f32_e32 v[3:4], v3
	v_cvt_f64_f32_e32 v[49:50], v16
	;; [unrolled: 1-line block ×3, first 2 shown]
	v_mov_b32_e32 v55, v12
	v_cvt_f64_f32_e32 v[51:52], v51
	v_mov_b32_e32 v57, v12
	v_mov_b32_e32 v59, v12
	v_cmp_gt_f64_e32 vcc_lo, s[4:5], v[3:4]
	v_cmp_gt_f64_e64 s1, s[4:5], v[49:50]
	v_cmp_gt_f64_e64 s0, s[4:5], v[5:6]
	;; [unrolled: 1-line block ×3, first 2 shown]
	v_cndmask_b32_e64 v54, 0, 0x3ff00000, vcc_lo
	s_delay_alu instid0(VALU_DEP_4) | instskip(NEXT) | instid1(VALU_DEP_4)
	v_cndmask_b32_e64 v58, 0, 0x3ff00000, s1
	v_cndmask_b32_e64 v56, 0, 0x3ff00000, s0
	;; [unrolled: 1-line block ×5, first 2 shown]
	s_delay_alu instid0(VALU_DEP_3) | instskip(NEXT) | instid1(VALU_DEP_2)
	v_lshlrev_b16 v7, 8, v7
	v_lshlrev_b16 v16, 8, v16
	s_waitcnt vmcnt(1)
	v_mul_f64 v[3:4], v[39:40], v[53:54]
	v_mul_f64 v[5:6], v[41:42], v[55:56]
	s_waitcnt vmcnt(0)
	v_mul_f64 v[39:40], v[43:44], v[57:58]
	v_mul_f64 v[41:42], v[45:46], v[59:60]
	v_cndmask_b32_e64 v43, 0, 1, vcc_lo
	v_cndmask_b32_e64 v44, 0, 1, s1
	s_delay_alu instid0(VALU_DEP_2) | instskip(NEXT) | instid1(VALU_DEP_2)
	v_or_b32_e32 v7, v43, v7
	v_or_b32_e32 v16, v44, v16
	v_add_co_u32 v43, vcc_lo, s8, v47
	v_add_co_ci_u32_e32 v44, vcc_lo, s9, v48, vcc_lo
	s_delay_alu instid0(VALU_DEP_3) | instskip(SKIP_1) | instid1(VALU_DEP_1)
	v_lshlrev_b32_e32 v16, 16, v16
	v_and_b32_e32 v7, 0xffff, v7
	v_or_b32_e32 v7, v7, v16
	v_mul_f64 v[3:4], v[13:14], v[3:4]
	v_mul_f64 v[5:6], v[13:14], v[5:6]
	;; [unrolled: 1-line block ×4, first 2 shown]
	s_clause 0x1
	global_store_b128 v[43:44], v[3:6], off
	global_store_b128 v[43:44], v[39:42], off offset:16
	global_store_b32 v11, v7, s[10:11]
	v_add_nc_u32_e32 v11, s13, v11
	v_mov_b32_e32 v3, v15
	s_waitcnt_vscnt null, 0x0
	s_barrier
	buffer_gl0_inv
	v_cmp_le_u32_e32 vcc_lo, s12, v11
	v_mov_b32_e32 v6, v3
	v_dual_mov_b32 v5, v2 :: v_dual_mov_b32 v4, v1
	v_mov_b32_e32 v3, v0
	s_or_b32 s3, vcc_lo, s3
	s_delay_alu instid0(SALU_CYCLE_1)
	s_and_not1_b32 exec_lo, exec_lo, s3
	s_cbranch_execz .LBB2_15
.LBB2_6:                                ; =>This Inner Loop Header: Depth=1
	v_add_co_u32 v17, vcc_lo, v17, 1
	s_delay_alu instid0(VALU_DEP_1) | instskip(SKIP_2) | instid1(VALU_DEP_1)
	v_cndmask_b32_e64 v0, 0, 1, vcc_lo
	v_add_co_ci_u32_e32 v18, vcc_lo, 0, v18, vcc_lo
	s_mov_b32 s0, exec_lo
	v_cmp_eq_u32_e32 vcc_lo, 0, v18
	s_delay_alu instid0(VALU_DEP_3) | instskip(NEXT) | instid1(VALU_DEP_1)
	v_cndmask_b32_e32 v0, 0, v0, vcc_lo
	v_add_nc_u32_e32 v10, v0, v10
	s_delay_alu instid0(VALU_DEP_1) | instskip(SKIP_2) | instid1(VALU_DEP_2)
	v_cmp_eq_u32_e32 vcc_lo, 0, v10
	v_mad_u64_u32 v[15:16], null, 0xcd9e8d57, v10, 0
	v_cndmask_b32_e32 v0, 0, v0, vcc_lo
	v_xor3_b32 v7, v16, v8, v18
	s_delay_alu instid0(VALU_DEP_2) | instskip(SKIP_1) | instid1(VALU_DEP_1)
	v_add_nc_u32_e32 v38, v0, v38
	v_mad_u64_u32 v[0:1], null, 0xd2511f53, v17, 0
	v_xor_b32_e32 v1, v1, v9
	s_delay_alu instid0(VALU_DEP_1) | instskip(SKIP_1) | instid1(VALU_DEP_2)
	v_xor_b32_e32 v16, v38, v1
	v_mad_u64_u32 v[1:2], null, 0xd2511f53, v7, 0
	v_mad_u64_u32 v[39:40], null, 0xcd9e8d57, v16, 0
	s_delay_alu instid0(VALU_DEP_2) | instskip(NEXT) | instid1(VALU_DEP_2)
	v_xor3_b32 v0, v19, v2, v0
	v_xor3_b32 v2, v20, v40, v15
	s_delay_alu instid0(VALU_DEP_2) | instskip(NEXT) | instid1(VALU_DEP_2)
	v_mad_u64_u32 v[15:16], null, 0xcd9e8d57, v0, 0
	v_mad_u64_u32 v[40:41], null, 0xd2511f53, v2, 0
	s_delay_alu instid0(VALU_DEP_2) | instskip(NEXT) | instid1(VALU_DEP_2)
	v_xor3_b32 v2, v21, v16, v39
	v_xor3_b32 v7, v22, v41, v1
	s_delay_alu instid0(VALU_DEP_2) | instskip(NEXT) | instid1(VALU_DEP_2)
	;; [unrolled: 6-line block ×8, first 2 shown]
	v_mad_u64_u32 v[15:16], null, 0xd2511f53, v0, 0
	v_mad_u64_u32 v[1:2], null, 0xcd9e8d57, v7, 0
	s_delay_alu instid0(VALU_DEP_2) | instskip(NEXT) | instid1(VALU_DEP_2)
	v_xor3_b32 v7, v16, v42, v36
	v_xor3_b32 v0, v2, v40, v35
	s_delay_alu instid0(VALU_DEP_2)
	v_mov_b32_e32 v2, v7
	v_cmpx_lt_i32_e32 1, v37
	s_xor_b32 s0, exec_lo, s0
	s_cbranch_execz .LBB2_12
; %bb.7:                                ;   in Loop: Header=BB2_6 Depth=1
	s_mov_b32 s1, exec_lo
	v_cmpx_lt_i32_e32 2, v37
	s_xor_b32 s1, exec_lo, s1
; %bb.8:                                ;   in Loop: Header=BB2_6 Depth=1
	v_dual_mov_b32 v4, v6 :: v_dual_mov_b32 v5, v0
	v_mov_b32_e32 v6, v1
	s_delay_alu instid0(VALU_DEP_2) | instskip(NEXT) | instid1(VALU_DEP_3)
	v_mov_b32_e32 v3, v4
	v_mov_b32_e32 v4, v5
	s_delay_alu instid0(VALU_DEP_3)
	v_mov_b32_e32 v5, v6
	v_mov_b32_e32 v6, v7
; %bb.9:                                ;   in Loop: Header=BB2_6 Depth=1
	s_and_not1_saveexec_b32 s1, s1
; %bb.10:                               ;   in Loop: Header=BB2_6 Depth=1
	s_delay_alu instid0(VALU_DEP_1)
	v_dual_mov_b32 v3, v5 :: v_dual_mov_b32 v4, v6
	v_dual_mov_b32 v5, v0 :: v_dual_mov_b32 v6, v1
; %bb.11:                               ;   in Loop: Header=BB2_6 Depth=1
	s_or_b32 exec_lo, exec_lo, s1
.LBB2_12:                               ;   in Loop: Header=BB2_6 Depth=1
	s_and_not1_saveexec_b32 s0, s0
	s_cbranch_execz .LBB2_5
; %bb.13:                               ;   in Loop: Header=BB2_6 Depth=1
	s_mov_b32 s1, exec_lo
	v_cmpx_eq_u32_e32 1, v37
	s_cbranch_execz .LBB2_4
; %bb.14:                               ;   in Loop: Header=BB2_6 Depth=1
	v_dual_mov_b32 v3, v4 :: v_dual_mov_b32 v4, v5
	v_dual_mov_b32 v5, v6 :: v_dual_mov_b32 v6, v0
	s_branch .LBB2_4
.LBB2_15:
	s_endpgm
	.section	.rodata,"a",@progbits
	.p2align	6, 0x0
	.amdhsa_kernel _ZN2at6native12_GLOBAL__N_124fused_dropout_kernel_vecIddjLi1ELi4EbEEvNS_4cuda6detail10TensorInfoIKT_T1_EENS5_IS6_S8_EENS5_IT4_S8_EES8_T0_NS_15PhiloxCudaStateE
		.amdhsa_group_segment_fixed_size 0
		.amdhsa_private_segment_fixed_size 0
		.amdhsa_kernarg_size 952
		.amdhsa_user_sgpr_count 15
		.amdhsa_user_sgpr_dispatch_ptr 0
		.amdhsa_user_sgpr_queue_ptr 0
		.amdhsa_user_sgpr_kernarg_segment_ptr 1
		.amdhsa_user_sgpr_dispatch_id 0
		.amdhsa_user_sgpr_private_segment_size 0
		.amdhsa_wavefront_size32 1
		.amdhsa_uses_dynamic_stack 0
		.amdhsa_enable_private_segment 0
		.amdhsa_system_sgpr_workgroup_id_x 1
		.amdhsa_system_sgpr_workgroup_id_y 0
		.amdhsa_system_sgpr_workgroup_id_z 0
		.amdhsa_system_sgpr_workgroup_info 0
		.amdhsa_system_vgpr_workitem_id 0
		.amdhsa_next_free_vgpr 61
		.amdhsa_next_free_sgpr 16
		.amdhsa_reserve_vcc 1
		.amdhsa_float_round_mode_32 0
		.amdhsa_float_round_mode_16_64 0
		.amdhsa_float_denorm_mode_32 3
		.amdhsa_float_denorm_mode_16_64 3
		.amdhsa_dx10_clamp 1
		.amdhsa_ieee_mode 1
		.amdhsa_fp16_overflow 0
		.amdhsa_workgroup_processor_mode 1
		.amdhsa_memory_ordered 1
		.amdhsa_forward_progress 0
		.amdhsa_shared_vgpr_count 0
		.amdhsa_exception_fp_ieee_invalid_op 0
		.amdhsa_exception_fp_denorm_src 0
		.amdhsa_exception_fp_ieee_div_zero 0
		.amdhsa_exception_fp_ieee_overflow 0
		.amdhsa_exception_fp_ieee_underflow 0
		.amdhsa_exception_fp_ieee_inexact 0
		.amdhsa_exception_int_div_zero 0
	.end_amdhsa_kernel
	.section	.text._ZN2at6native12_GLOBAL__N_124fused_dropout_kernel_vecIddjLi1ELi4EbEEvNS_4cuda6detail10TensorInfoIKT_T1_EENS5_IS6_S8_EENS5_IT4_S8_EES8_T0_NS_15PhiloxCudaStateE,"axG",@progbits,_ZN2at6native12_GLOBAL__N_124fused_dropout_kernel_vecIddjLi1ELi4EbEEvNS_4cuda6detail10TensorInfoIKT_T1_EENS5_IS6_S8_EENS5_IT4_S8_EES8_T0_NS_15PhiloxCudaStateE,comdat
.Lfunc_end2:
	.size	_ZN2at6native12_GLOBAL__N_124fused_dropout_kernel_vecIddjLi1ELi4EbEEvNS_4cuda6detail10TensorInfoIKT_T1_EENS5_IS6_S8_EENS5_IT4_S8_EES8_T0_NS_15PhiloxCudaStateE, .Lfunc_end2-_ZN2at6native12_GLOBAL__N_124fused_dropout_kernel_vecIddjLi1ELi4EbEEvNS_4cuda6detail10TensorInfoIKT_T1_EENS5_IS6_S8_EENS5_IT4_S8_EES8_T0_NS_15PhiloxCudaStateE
                                        ; -- End function
	.section	.AMDGPU.csdata,"",@progbits
; Kernel info:
; codeLenInByte = 2188
; NumSgprs: 18
; NumVgprs: 61
; ScratchSize: 0
; MemoryBound: 0
; FloatMode: 240
; IeeeMode: 1
; LDSByteSize: 0 bytes/workgroup (compile time only)
; SGPRBlocks: 2
; VGPRBlocks: 7
; NumSGPRsForWavesPerEU: 18
; NumVGPRsForWavesPerEU: 61
; Occupancy: 16
; WaveLimiterHint : 1
; COMPUTE_PGM_RSRC2:SCRATCH_EN: 0
; COMPUTE_PGM_RSRC2:USER_SGPR: 15
; COMPUTE_PGM_RSRC2:TRAP_HANDLER: 0
; COMPUTE_PGM_RSRC2:TGID_X_EN: 1
; COMPUTE_PGM_RSRC2:TGID_Y_EN: 0
; COMPUTE_PGM_RSRC2:TGID_Z_EN: 0
; COMPUTE_PGM_RSRC2:TIDIG_COMP_CNT: 0
	.section	.text._ZN2at6native12_GLOBAL__N_124fused_dropout_kernel_vecIddjLi1ELi2EbEEvNS_4cuda6detail10TensorInfoIKT_T1_EENS5_IS6_S8_EENS5_IT4_S8_EES8_T0_NS_15PhiloxCudaStateE,"axG",@progbits,_ZN2at6native12_GLOBAL__N_124fused_dropout_kernel_vecIddjLi1ELi2EbEEvNS_4cuda6detail10TensorInfoIKT_T1_EENS5_IS6_S8_EENS5_IT4_S8_EES8_T0_NS_15PhiloxCudaStateE,comdat
	.globl	_ZN2at6native12_GLOBAL__N_124fused_dropout_kernel_vecIddjLi1ELi2EbEEvNS_4cuda6detail10TensorInfoIKT_T1_EENS5_IS6_S8_EENS5_IT4_S8_EES8_T0_NS_15PhiloxCudaStateE ; -- Begin function _ZN2at6native12_GLOBAL__N_124fused_dropout_kernel_vecIddjLi1ELi2EbEEvNS_4cuda6detail10TensorInfoIKT_T1_EENS5_IS6_S8_EENS5_IT4_S8_EES8_T0_NS_15PhiloxCudaStateE
	.p2align	8
	.type	_ZN2at6native12_GLOBAL__N_124fused_dropout_kernel_vecIddjLi1ELi2EbEEvNS_4cuda6detail10TensorInfoIKT_T1_EENS5_IS6_S8_EENS5_IT4_S8_EES8_T0_NS_15PhiloxCudaStateE,@function
_ZN2at6native12_GLOBAL__N_124fused_dropout_kernel_vecIddjLi1ELi2EbEEvNS_4cuda6detail10TensorInfoIKT_T1_EENS5_IS6_S8_EENS5_IT4_S8_EES8_T0_NS_15PhiloxCudaStateE: ; @_ZN2at6native12_GLOBAL__N_124fused_dropout_kernel_vecIddjLi1ELi2EbEEvNS_4cuda6detail10TensorInfoIKT_T1_EENS5_IS6_S8_EENS5_IT4_S8_EES8_T0_NS_15PhiloxCudaStateE
; %bb.0:
	s_clause 0x2
	s_load_b64 s[2:3], s[0:1], 0x2a0
	s_load_b128 s[4:7], s[0:1], 0x290
	s_load_b32 s8, s[0:1], 0x2b0
	s_waitcnt lgkmcnt(0)
	v_dual_mov_b32 v4, s3 :: v_dual_mov_b32 v3, s2
	v_dual_mov_b32 v9, s7 :: v_dual_mov_b32 v8, s6
	s_bitcmp0_b32 s8, 0
	s_cbranch_scc1 .LBB3_2
; %bb.1:
	v_dual_mov_b32 v1, s2 :: v_dual_mov_b32 v2, s3
	v_dual_mov_b32 v3, s6 :: v_dual_mov_b32 v4, s7
	s_load_b64 s[2:3], s[0:1], 0x2a8
	flat_load_b64 v[1:2], v[1:2]
	flat_load_b64 v[8:9], v[3:4]
	s_waitcnt vmcnt(1) lgkmcnt(0)
	v_add_co_u32 v3, vcc_lo, v1, s2
	v_add_co_ci_u32_e32 v4, vcc_lo, s3, v2, vcc_lo
.LBB3_2:
	s_clause 0x1
	s_load_b32 s6, s[0:1], 0x2c4
	s_load_b32 s10, s[0:1], 0x288
	s_add_u32 s2, s0, 0x2b8
	s_addc_u32 s3, s1, 0
	s_waitcnt lgkmcnt(0)
	s_and_b32 s11, s6, 0xffff
	s_mov_b32 s6, exec_lo
	v_mad_u64_u32 v[10:11], null, s15, s11, v[0:1]
	s_delay_alu instid0(VALU_DEP_1) | instskip(NEXT) | instid1(VALU_DEP_1)
	v_lshlrev_b32_e32 v11, 1, v10
	v_cmpx_gt_u32_e64 s10, v11
	s_cbranch_execz .LBB3_15
; %bb.3:
	v_div_scale_f64 v[0:1], null, s[4:5], s[4:5], 1.0
	v_div_scale_f64 v[14:15], vcc_lo, 1.0, s[4:5], 1.0
	v_alignbit_b32 v17, v4, v3, 2
	v_mad_u64_u32 v[21:22], null, 0xcd9e8d57, v10, 0
	v_lshrrev_b32_e32 v18, 2, v4
	s_waitcnt vmcnt(0)
	v_dual_mov_b32 v33, v9 :: v_dual_add_nc_u32 v36, 0x96a522ad, v9
	v_mad_u64_u32 v[23:24], null, 0xd2511f53, v17, 0
	v_add_co_u32 v20, null, 0x9e3779b9, v8
	v_xor3_b32 v2, v8, v22, v18
	s_delay_alu instid0(VALU_DEP_4) | instskip(SKIP_2) | instid1(VALU_DEP_4)
	v_add_co_u32 v19, null, 0xbb67ae85, v33
	v_add_co_u32 v22, null, 0x76cf5d0a, v33
	v_xor_b32_e32 v4, v24, v9
	v_mad_u64_u32 v[24:25], null, 0xd2511f53, v2, 0
	s_load_b32 s12, s[2:3], 0x0
	v_add_co_u32 v34, null, 0xf1bbcdc8, v8
	s_delay_alu instid0(VALU_DEP_3)
	v_mad_u64_u32 v[26:27], null, 0xcd9e8d57, v4, 0
	s_clause 0x2
	s_load_b64 s[2:3], s[0:1], 0x0
	s_load_b64 s[6:7], s[0:1], 0xd8
	s_load_b64 s[8:9], s[0:1], 0x1b0
	v_xor3_b32 v2, v19, v25, v23
	v_add_co_u32 v23, null, 0x32370b8f, v33
	v_add_co_u32 v25, null, 0x78dde6e4, v8
	v_xor3_b32 v4, v27, v20, v21
	s_delay_alu instid0(VALU_DEP_4) | instskip(SKIP_2) | instid1(VALU_DEP_3)
	v_mad_u64_u32 v[27:28], null, 0xcd9e8d57, v2, 0
	v_add_co_u32 v21, null, 0x3c6ef372, v8
	v_rcp_f64_e32 v[5:6], v[0:1]
	v_mad_u64_u32 v[29:30], null, 0xd2511f53, v4, 0
	v_add_nc_u32_e32 v35, 0x8ff34781, v8
	s_delay_alu instid0(VALU_DEP_3)
	v_xor3_b32 v2, v21, v28, v26
	v_add_co_u32 v26, null, 0xed9eba14, v33
	v_add_co_u32 v28, null, 0xa9066899, v33
	v_xor3_b32 v4, v30, v22, v24
	v_add_co_u32 v24, null, 0xdaa66d2b, v8
	s_waitcnt lgkmcnt(0)
	s_mul_i32 s12, s12, s11
	s_mov_b32 s1, 0
	v_mad_u64_u32 v[30:31], null, 0xcd9e8d57, v4, 0
	s_lshl_b32 s11, s12, 1
	s_delay_alu instid0(VALU_DEP_1) | instskip(SKIP_1) | instid1(VALU_DEP_2)
	v_xor3_b32 v4, v31, v24, v27
	v_add_co_u32 v27, null, 0x1715609d, v8
	v_mad_u64_u32 v[31:32], null, 0xd2511f53, v4, 0
	s_delay_alu instid0(TRANS32_DEP_1) | instskip(NEXT) | instid1(VALU_DEP_1)
	v_fma_f64 v[12:13], -v[0:1], v[5:6], 1.0
	v_fma_f64 v[5:6], v[5:6], v[12:13], v[5:6]
	s_delay_alu instid0(VALU_DEP_1) | instskip(NEXT) | instid1(VALU_DEP_1)
	v_fma_f64 v[12:13], -v[0:1], v[5:6], 1.0
	v_fma_f64 v[5:6], v[5:6], v[12:13], v[5:6]
	s_delay_alu instid0(VALU_DEP_1) | instskip(NEXT) | instid1(VALU_DEP_1)
	v_mul_f64 v[12:13], v[14:15], v[5:6]
	v_fma_f64 v[0:1], -v[0:1], v[12:13], v[14:15]
	v_mad_u64_u32 v[14:15], null, 0xd2511f53, v2, 0
	s_delay_alu instid0(VALU_DEP_1) | instskip(NEXT) | instid1(VALU_DEP_2)
	v_xor3_b32 v2, v23, v15, v29
	v_xor3_b32 v7, v32, v26, v14
	v_add_co_u32 v29, null, 0x646e171e, v33
	v_add_co_u32 v32, null, 0x1fd5c5a3, v33
	s_delay_alu instid0(VALU_DEP_4) | instskip(SKIP_1) | instid1(VALU_DEP_2)
	v_mad_u64_u32 v[15:16], null, 0xcd9e8d57, v2, 0
	v_add_co_u32 v33, null, 0xdb3d7428, v33
	v_xor3_b32 v2, v25, v16, v30
	v_add_co_u32 v30, null, 0xb54cda56, v8
	v_div_fmas_f64 v[0:1], v[0:1], v[5:6], v[12:13]
	v_mad_u64_u32 v[4:5], null, 0xcd9e8d57, v7, 0
	s_delay_alu instid0(VALU_DEP_4) | instskip(NEXT) | instid1(VALU_DEP_2)
	v_mad_u64_u32 v[6:7], null, 0xd2511f53, v2, 0
	v_xor3_b32 v2, v5, v27, v15
	s_delay_alu instid0(VALU_DEP_2) | instskip(SKIP_1) | instid1(VALU_DEP_3)
	v_xor3_b32 v5, v28, v7, v31
	v_add_co_u32 v31, null, 0x5384540f, v8
	v_mad_u64_u32 v[12:13], null, 0xd2511f53, v2, 0
	s_delay_alu instid0(VALU_DEP_3) | instskip(NEXT) | instid1(VALU_DEP_2)
	v_mad_u64_u32 v[15:16], null, 0xcd9e8d57, v5, 0
	v_xor3_b32 v2, v13, v29, v6
	s_delay_alu instid0(VALU_DEP_2) | instskip(NEXT) | instid1(VALU_DEP_2)
	v_xor3_b32 v13, v30, v16, v4
	v_mad_u64_u32 v[4:5], null, 0xcd9e8d57, v2, 0
	s_delay_alu instid0(VALU_DEP_2) | instskip(NEXT) | instid1(VALU_DEP_1)
	v_mad_u64_u32 v[6:7], null, 0xd2511f53, v13, 0
	v_xor3_b32 v2, v32, v7, v12
	v_mov_b32_e32 v12, 0
	v_div_fixup_f64 v[13:14], v[0:1], s[4:5], 1.0
	v_xor3_b32 v0, v5, v31, v15
	s_delay_alu instid0(VALU_DEP_3) | instskip(NEXT) | instid1(VALU_DEP_2)
	v_dual_mov_b32 v38, v12 :: v_dual_and_b32 v37, 3, v3
	v_mad_u64_u32 v[15:16], null, 0xd2511f53, v0, 0
	v_mad_u64_u32 v[0:1], null, 0xcd9e8d57, v2, 0
	s_delay_alu instid0(VALU_DEP_2) | instskip(NEXT) | instid1(VALU_DEP_2)
	v_xor3_b32 v5, v16, v33, v6
	v_xor3_b32 v6, v34, v1, v4
	s_delay_alu instid0(VALU_DEP_2) | instskip(NEXT) | instid1(VALU_DEP_2)
	v_mad_u64_u32 v[1:2], null, 0xcd9e8d57, v5, 0
	v_mad_u64_u32 v[4:5], null, 0xd2511f53, v6, 0
	s_delay_alu instid0(VALU_DEP_2) | instskip(NEXT) | instid1(VALU_DEP_2)
	v_xor3_b32 v0, v0, v2, v35
	v_xor3_b32 v2, v5, v15, v36
	s_delay_alu instid0(VALU_DEP_3)
	v_mov_b32_e32 v3, v4
	s_branch .LBB3_6
.LBB3_4:                                ;   in Loop: Header=BB3_6 Depth=1
	s_or_b32 exec_lo, exec_lo, s12
.LBB3_5:                                ;   in Loop: Header=BB3_6 Depth=1
	s_delay_alu instid0(SALU_CYCLE_1)
	s_or_b32 exec_lo, exec_lo, s0
	v_lshlrev_b64 v[43:44], 3, v[11:12]
	v_cvt_f32_u32_e32 v0, v0
	v_cvt_f32_u32_e32 v1, v1
	v_mov_b32_e32 v45, v12
	v_mov_b32_e32 v47, v12
	v_add_co_u32 v2, vcc_lo, s2, v43
	v_add_co_ci_u32_e32 v3, vcc_lo, s3, v44, vcc_lo
	v_fmaak_f32 v0, 0x2f800000, v0, 0x2f800000
	global_load_b128 v[39:42], v[2:3], off
	v_fmaak_f32 v2, 0x2f800000, v1, 0x2f800000
	v_cvt_f64_f32_e32 v[0:1], v0
	s_delay_alu instid0(VALU_DEP_2) | instskip(NEXT) | instid1(VALU_DEP_2)
	v_cvt_f64_f32_e32 v[2:3], v2
	v_cmp_gt_f64_e32 vcc_lo, s[4:5], v[0:1]
	s_delay_alu instid0(VALU_DEP_2) | instskip(SKIP_2) | instid1(VALU_DEP_3)
	v_cmp_gt_f64_e64 s0, s[4:5], v[2:3]
	v_cndmask_b32_e64 v46, 0, 0x3ff00000, vcc_lo
	v_cndmask_b32_e64 v16, 0, 1, vcc_lo
	v_cndmask_b32_e64 v48, 0, 0x3ff00000, s0
	v_cndmask_b32_e64 v7, 0, 1, s0
	s_delay_alu instid0(VALU_DEP_1) | instskip(NEXT) | instid1(VALU_DEP_1)
	v_lshlrev_b16 v7, 8, v7
	v_or_b32_e32 v7, v16, v7
	s_waitcnt vmcnt(0)
	v_mul_f64 v[0:1], v[39:40], v[45:46]
	v_mul_f64 v[2:3], v[41:42], v[47:48]
	v_add_co_u32 v39, vcc_lo, s6, v43
	v_add_co_ci_u32_e32 v40, vcc_lo, s7, v44, vcc_lo
	s_delay_alu instid0(VALU_DEP_4) | instskip(NEXT) | instid1(VALU_DEP_4)
	v_mul_f64 v[0:1], v[13:14], v[0:1]
	v_mul_f64 v[2:3], v[13:14], v[2:3]
	global_store_b128 v[39:40], v[0:3], off
	global_store_b16 v11, v7, s[8:9]
	v_mov_b32_e32 v7, v15
	v_dual_mov_b32 v0, v4 :: v_dual_add_nc_u32 v11, s11, v11
	v_dual_mov_b32 v1, v5 :: v_dual_mov_b32 v2, v6
	s_delay_alu instid0(VALU_DEP_3) | instskip(NEXT) | instid1(VALU_DEP_3)
	v_mov_b32_e32 v3, v7
	v_cmp_le_u32_e32 vcc_lo, s10, v11
	s_waitcnt_vscnt null, 0x0
	s_barrier
	buffer_gl0_inv
	s_or_b32 s1, vcc_lo, s1
	s_delay_alu instid0(SALU_CYCLE_1)
	s_and_not1_b32 exec_lo, exec_lo, s1
	s_cbranch_execz .LBB3_15
.LBB3_6:                                ; =>This Inner Loop Header: Depth=1
	v_add_co_u32 v17, vcc_lo, v17, 1
	s_delay_alu instid0(VALU_DEP_1) | instskip(SKIP_2) | instid1(VALU_DEP_1)
	v_cndmask_b32_e64 v4, 0, 1, vcc_lo
	v_add_co_ci_u32_e32 v18, vcc_lo, 0, v18, vcc_lo
	s_mov_b32 s0, exec_lo
	v_cmp_eq_u32_e32 vcc_lo, 0, v18
	s_delay_alu instid0(VALU_DEP_3) | instskip(NEXT) | instid1(VALU_DEP_1)
	v_cndmask_b32_e32 v4, 0, v4, vcc_lo
	v_add_nc_u32_e32 v10, v4, v10
	s_delay_alu instid0(VALU_DEP_1) | instskip(SKIP_2) | instid1(VALU_DEP_2)
	v_cmp_eq_u32_e32 vcc_lo, 0, v10
	v_mad_u64_u32 v[6:7], null, 0xcd9e8d57, v10, 0
	v_cndmask_b32_e32 v4, 0, v4, vcc_lo
	v_xor3_b32 v7, v7, v8, v18
	s_delay_alu instid0(VALU_DEP_2) | instskip(SKIP_1) | instid1(VALU_DEP_3)
	v_add_nc_u32_e32 v38, v4, v38
	v_mad_u64_u32 v[4:5], null, 0xd2511f53, v17, 0
	v_mad_u64_u32 v[39:40], null, 0xd2511f53, v7, 0
	s_delay_alu instid0(VALU_DEP_2) | instskip(NEXT) | instid1(VALU_DEP_1)
	v_xor_b32_e32 v5, v5, v9
	v_xor_b32_e32 v5, v38, v5
	s_delay_alu instid0(VALU_DEP_1) | instskip(NEXT) | instid1(VALU_DEP_1)
	v_mad_u64_u32 v[15:16], null, 0xcd9e8d57, v5, 0
	v_xor3_b32 v6, v20, v16, v6
	v_xor3_b32 v16, v19, v40, v4
	s_delay_alu instid0(VALU_DEP_2) | instskip(NEXT) | instid1(VALU_DEP_2)
	v_mad_u64_u32 v[4:5], null, 0xd2511f53, v6, 0
	v_mad_u64_u32 v[6:7], null, 0xcd9e8d57, v16, 0
	s_delay_alu instid0(VALU_DEP_2) | instskip(NEXT) | instid1(VALU_DEP_2)
	v_xor3_b32 v5, v22, v5, v39
	v_xor3_b32 v7, v21, v7, v15
	s_delay_alu instid0(VALU_DEP_2) | instskip(NEXT) | instid1(VALU_DEP_2)
	v_mad_u64_u32 v[15:16], null, 0xcd9e8d57, v5, 0
	v_mad_u64_u32 v[39:40], null, 0xd2511f53, v7, 0
	s_delay_alu instid0(VALU_DEP_2) | instskip(NEXT) | instid1(VALU_DEP_2)
	;; [unrolled: 6-line block ×8, first 2 shown]
	v_xor3_b32 v4, v6, v4, v35
	v_xor3_b32 v6, v16, v40, v36
	v_cmpx_lt_i32_e32 1, v37
	s_xor_b32 s0, exec_lo, s0
	s_cbranch_execz .LBB3_12
; %bb.7:                                ;   in Loop: Header=BB3_6 Depth=1
	s_mov_b32 s12, exec_lo
	v_cmpx_lt_i32_e32 2, v37
	s_xor_b32 s12, exec_lo, s12
; %bb.8:                                ;   in Loop: Header=BB3_6 Depth=1
	v_dual_mov_b32 v0, v3 :: v_dual_mov_b32 v1, v4
; %bb.9:                                ;   in Loop: Header=BB3_6 Depth=1
	s_and_not1_saveexec_b32 s12, s12
; %bb.10:                               ;   in Loop: Header=BB3_6 Depth=1
	v_dual_mov_b32 v0, v2 :: v_dual_mov_b32 v1, v3
; %bb.11:                               ;   in Loop: Header=BB3_6 Depth=1
	s_or_b32 exec_lo, exec_lo, s12
.LBB3_12:                               ;   in Loop: Header=BB3_6 Depth=1
	s_and_not1_saveexec_b32 s0, s0
	s_cbranch_execz .LBB3_5
; %bb.13:                               ;   in Loop: Header=BB3_6 Depth=1
	s_mov_b32 s12, exec_lo
	v_cmpx_eq_u32_e32 1, v37
	s_cbranch_execz .LBB3_4
; %bb.14:                               ;   in Loop: Header=BB3_6 Depth=1
	v_dual_mov_b32 v0, v1 :: v_dual_mov_b32 v1, v2
	s_branch .LBB3_4
.LBB3_15:
	s_endpgm
	.section	.rodata,"a",@progbits
	.p2align	6, 0x0
	.amdhsa_kernel _ZN2at6native12_GLOBAL__N_124fused_dropout_kernel_vecIddjLi1ELi2EbEEvNS_4cuda6detail10TensorInfoIKT_T1_EENS5_IS6_S8_EENS5_IT4_S8_EES8_T0_NS_15PhiloxCudaStateE
		.amdhsa_group_segment_fixed_size 0
		.amdhsa_private_segment_fixed_size 0
		.amdhsa_kernarg_size 952
		.amdhsa_user_sgpr_count 15
		.amdhsa_user_sgpr_dispatch_ptr 0
		.amdhsa_user_sgpr_queue_ptr 0
		.amdhsa_user_sgpr_kernarg_segment_ptr 1
		.amdhsa_user_sgpr_dispatch_id 0
		.amdhsa_user_sgpr_private_segment_size 0
		.amdhsa_wavefront_size32 1
		.amdhsa_uses_dynamic_stack 0
		.amdhsa_enable_private_segment 0
		.amdhsa_system_sgpr_workgroup_id_x 1
		.amdhsa_system_sgpr_workgroup_id_y 0
		.amdhsa_system_sgpr_workgroup_id_z 0
		.amdhsa_system_sgpr_workgroup_info 0
		.amdhsa_system_vgpr_workitem_id 0
		.amdhsa_next_free_vgpr 49
		.amdhsa_next_free_sgpr 16
		.amdhsa_reserve_vcc 1
		.amdhsa_float_round_mode_32 0
		.amdhsa_float_round_mode_16_64 0
		.amdhsa_float_denorm_mode_32 3
		.amdhsa_float_denorm_mode_16_64 3
		.amdhsa_dx10_clamp 1
		.amdhsa_ieee_mode 1
		.amdhsa_fp16_overflow 0
		.amdhsa_workgroup_processor_mode 1
		.amdhsa_memory_ordered 1
		.amdhsa_forward_progress 0
		.amdhsa_shared_vgpr_count 0
		.amdhsa_exception_fp_ieee_invalid_op 0
		.amdhsa_exception_fp_denorm_src 0
		.amdhsa_exception_fp_ieee_div_zero 0
		.amdhsa_exception_fp_ieee_overflow 0
		.amdhsa_exception_fp_ieee_underflow 0
		.amdhsa_exception_fp_ieee_inexact 0
		.amdhsa_exception_int_div_zero 0
	.end_amdhsa_kernel
	.section	.text._ZN2at6native12_GLOBAL__N_124fused_dropout_kernel_vecIddjLi1ELi2EbEEvNS_4cuda6detail10TensorInfoIKT_T1_EENS5_IS6_S8_EENS5_IT4_S8_EES8_T0_NS_15PhiloxCudaStateE,"axG",@progbits,_ZN2at6native12_GLOBAL__N_124fused_dropout_kernel_vecIddjLi1ELi2EbEEvNS_4cuda6detail10TensorInfoIKT_T1_EENS5_IS6_S8_EENS5_IT4_S8_EES8_T0_NS_15PhiloxCudaStateE,comdat
.Lfunc_end3:
	.size	_ZN2at6native12_GLOBAL__N_124fused_dropout_kernel_vecIddjLi1ELi2EbEEvNS_4cuda6detail10TensorInfoIKT_T1_EENS5_IS6_S8_EENS5_IT4_S8_EES8_T0_NS_15PhiloxCudaStateE, .Lfunc_end3-_ZN2at6native12_GLOBAL__N_124fused_dropout_kernel_vecIddjLi1ELi2EbEEvNS_4cuda6detail10TensorInfoIKT_T1_EENS5_IS6_S8_EENS5_IT4_S8_EES8_T0_NS_15PhiloxCudaStateE
                                        ; -- End function
	.section	.AMDGPU.csdata,"",@progbits
; Kernel info:
; codeLenInByte = 1956
; NumSgprs: 18
; NumVgprs: 49
; ScratchSize: 0
; MemoryBound: 0
; FloatMode: 240
; IeeeMode: 1
; LDSByteSize: 0 bytes/workgroup (compile time only)
; SGPRBlocks: 2
; VGPRBlocks: 6
; NumSGPRsForWavesPerEU: 18
; NumVGPRsForWavesPerEU: 49
; Occupancy: 16
; WaveLimiterHint : 1
; COMPUTE_PGM_RSRC2:SCRATCH_EN: 0
; COMPUTE_PGM_RSRC2:USER_SGPR: 15
; COMPUTE_PGM_RSRC2:TRAP_HANDLER: 0
; COMPUTE_PGM_RSRC2:TGID_X_EN: 1
; COMPUTE_PGM_RSRC2:TGID_Y_EN: 0
; COMPUTE_PGM_RSRC2:TGID_Z_EN: 0
; COMPUTE_PGM_RSRC2:TIDIG_COMP_CNT: 0
	.section	.text._ZN2at6native12_GLOBAL__N_120fused_dropout_kernelIddjLi1ELi1EbEEvNS_4cuda6detail10TensorInfoIKT_T1_EENS5_IS6_S8_EENS5_IT4_S8_EES8_T0_NS_15PhiloxCudaStateE,"axG",@progbits,_ZN2at6native12_GLOBAL__N_120fused_dropout_kernelIddjLi1ELi1EbEEvNS_4cuda6detail10TensorInfoIKT_T1_EENS5_IS6_S8_EENS5_IT4_S8_EES8_T0_NS_15PhiloxCudaStateE,comdat
	.globl	_ZN2at6native12_GLOBAL__N_120fused_dropout_kernelIddjLi1ELi1EbEEvNS_4cuda6detail10TensorInfoIKT_T1_EENS5_IS6_S8_EENS5_IT4_S8_EES8_T0_NS_15PhiloxCudaStateE ; -- Begin function _ZN2at6native12_GLOBAL__N_120fused_dropout_kernelIddjLi1ELi1EbEEvNS_4cuda6detail10TensorInfoIKT_T1_EENS5_IS6_S8_EENS5_IT4_S8_EES8_T0_NS_15PhiloxCudaStateE
	.p2align	8
	.type	_ZN2at6native12_GLOBAL__N_120fused_dropout_kernelIddjLi1ELi1EbEEvNS_4cuda6detail10TensorInfoIKT_T1_EENS5_IS6_S8_EENS5_IT4_S8_EES8_T0_NS_15PhiloxCudaStateE,@function
_ZN2at6native12_GLOBAL__N_120fused_dropout_kernelIddjLi1ELi1EbEEvNS_4cuda6detail10TensorInfoIKT_T1_EENS5_IS6_S8_EENS5_IT4_S8_EES8_T0_NS_15PhiloxCudaStateE: ; @_ZN2at6native12_GLOBAL__N_120fused_dropout_kernelIddjLi1ELi1EbEEvNS_4cuda6detail10TensorInfoIKT_T1_EENS5_IS6_S8_EENS5_IT4_S8_EES8_T0_NS_15PhiloxCudaStateE
; %bb.0:
	s_clause 0x2
	s_load_b64 s[2:3], s[0:1], 0x2a0
	s_load_b128 s[4:7], s[0:1], 0x290
	s_load_b32 s8, s[0:1], 0x2b0
	s_waitcnt lgkmcnt(0)
	v_dual_mov_b32 v1, s2 :: v_dual_mov_b32 v2, s3
	v_dual_mov_b32 v21, s7 :: v_dual_mov_b32 v20, s6
	s_bitcmp0_b32 s8, 0
	s_cbranch_scc1 .LBB4_2
; %bb.1:
	v_dual_mov_b32 v1, s2 :: v_dual_mov_b32 v2, s3
	v_dual_mov_b32 v3, s6 :: v_dual_mov_b32 v4, s7
	s_load_b64 s[2:3], s[0:1], 0x2a8
	flat_load_b64 v[1:2], v[1:2]
	flat_load_b64 v[20:21], v[3:4]
	s_waitcnt vmcnt(1) lgkmcnt(0)
	v_add_co_u32 v1, vcc_lo, v1, s2
	v_add_co_ci_u32_e32 v2, vcc_lo, s3, v2, vcc_lo
.LBB4_2:
	s_clause 0x2
	s_load_b32 s2, s[0:1], 0x2c4
	s_load_b32 s3, s[0:1], 0x2b8
	;; [unrolled: 1-line block ×3, first 2 shown]
	s_waitcnt lgkmcnt(0)
	s_and_b32 s2, s2, 0xffff
	s_add_i32 s8, s13, -1
	s_mul_i32 s6, s3, s2
	s_mul_i32 s14, s15, s2
	s_lshl_b32 s12, s6, 2
	v_add_nc_u32_e32 v28, s14, v0
	v_cvt_f32_u32_e32 v3, s12
	s_sub_i32 s7, 0, s12
	s_delay_alu instid0(VALU_DEP_1) | instskip(SKIP_2) | instid1(VALU_DEP_1)
	v_rcp_iflag_f32_e32 v3, v3
	s_waitcnt_depctr 0xfff
	v_mul_f32_e32 v3, 0x4f7ffffe, v3
	v_cvt_u32_f32_e32 v3, v3
	s_delay_alu instid0(VALU_DEP_1) | instskip(NEXT) | instid1(VALU_DEP_1)
	v_readfirstlane_b32 s6, v3
	s_mul_i32 s7, s7, s6
	s_delay_alu instid0(SALU_CYCLE_1) | instskip(NEXT) | instid1(SALU_CYCLE_1)
	s_mul_hi_u32 s7, s6, s7
	s_add_i32 s6, s6, s7
	s_delay_alu instid0(SALU_CYCLE_1) | instskip(NEXT) | instid1(SALU_CYCLE_1)
	s_mul_hi_u32 s6, s8, s6
	s_mul_i32 s7, s6, s12
	s_delay_alu instid0(SALU_CYCLE_1)
	s_sub_i32 s7, s8, s7
	s_add_i32 s8, s6, 1
	s_sub_i32 s9, s7, s12
	s_cmp_ge_u32 s7, s12
	s_cselect_b32 s6, s8, s6
	s_cselect_b32 s7, s9, s7
	s_add_i32 s8, s6, 1
	s_cmp_ge_u32 s7, s12
	s_cselect_b32 s6, s8, s6
	s_delay_alu instid0(SALU_CYCLE_1) | instskip(NEXT) | instid1(SALU_CYCLE_1)
	s_add_i32 s6, s6, 1
	s_mul_i32 s16, s12, s6
	s_mov_b32 s6, exec_lo
	v_cmpx_gt_u32_e64 s16, v28
	s_cbranch_execz .LBB4_31
; %bb.3:
	v_div_scale_f64 v[3:4], null, s[4:5], s[4:5], 1.0
	v_div_scale_f64 v[9:10], vcc_lo, 1.0, s[4:5], 1.0
	v_alignbit_b32 v29, v2, v1, 2
	v_lshrrev_b32_e32 v30, 2, v2
	s_waitcnt vmcnt(0)
	v_dual_mov_b32 v22, v21 :: v_dual_add_nc_u32 v47, 0x8ff34781, v20
	v_add_co_u32 v32, null, 0x9e3779b9, v20
	v_mad_u64_u32 v[11:12], null, 0xd2511f53, v29, 0
	s_delay_alu instid0(VALU_DEP_3)
	v_add_co_u32 v31, null, 0xbb67ae85, v22
	v_add_co_u32 v33, null, 0x3c6ef372, v20
	;; [unrolled: 1-line block ×13, first 2 shown]
	v_rcp_f64_e32 v[5:6], v[3:4]
	v_add_co_u32 v43, null, 0x5384540f, v20
	s_clause 0x3
	s_load_b32 s20, s[0:1], 0x144
	s_load_b64 s[10:11], s[0:1], 0x1b0
	s_load_b64 s[8:9], s[0:1], 0xd8
	s_load_b32 s21, s[0:1], 0x6c
	v_add_co_u32 v46, null, 0xf1bbcdc8, v20
	s_load_b64 s[6:7], s[0:1], 0x0
	s_lshl_b32 s1, s3, 1
	v_dual_mov_b32 v25, 0 :: v_dual_add_nc_u32 v48, 0x96a522ad, v21
	s_add_i32 s18, s15, s1
	s_mul_i32 s1, s3, 3
	s_mul_i32 s18, s18, s2
	s_add_i32 s19, s15, s1
	s_add_i32 s15, s15, s3
	s_mul_i32 s19, s19, s2
	s_mul_i32 s15, s15, s2
	s_mov_b32 s17, 0
	s_mov_b32 s22, 0
	s_mov_b32 s23, 0
	v_mov_b32_e32 v58, 0
	s_waitcnt lgkmcnt(0)
	v_mul_lo_u32 v50, s20, v28
	s_mul_i32 s0, s3, s20
	v_mul_lo_u32 v51, s21, v28
	s_mul_i32 s1, s3, s21
	s_mul_i32 s0, s0, s2
	;; [unrolled: 1-line block ×3, first 2 shown]
	s_delay_alu instid0(TRANS32_DEP_1) | instskip(NEXT) | instid1(VALU_DEP_1)
	v_fma_f64 v[7:8], -v[3:4], v[5:6], 1.0
	v_fma_f64 v[5:6], v[5:6], v[7:8], v[5:6]
	s_delay_alu instid0(VALU_DEP_1) | instskip(NEXT) | instid1(VALU_DEP_1)
	v_fma_f64 v[7:8], -v[3:4], v[5:6], 1.0
	v_fma_f64 v[5:6], v[5:6], v[7:8], v[5:6]
	v_mad_u64_u32 v[7:8], null, 0xcd9e8d57, v28, 0
	s_delay_alu instid0(VALU_DEP_1) | instskip(SKIP_1) | instid1(VALU_DEP_2)
	v_xor3_b32 v2, v20, v8, v30
	v_xor_b32_e32 v8, v12, v21
	v_mad_u64_u32 v[12:13], null, 0xd2511f53, v2, 0
	s_delay_alu instid0(VALU_DEP_2) | instskip(NEXT) | instid1(VALU_DEP_2)
	v_mad_u64_u32 v[14:15], null, 0xcd9e8d57, v8, 0
	v_xor3_b32 v2, v31, v13, v11
	s_delay_alu instid0(VALU_DEP_2) | instskip(NEXT) | instid1(VALU_DEP_2)
	v_xor3_b32 v11, v15, v32, v7
	v_mad_u64_u32 v[7:8], null, 0xcd9e8d57, v2, 0
	s_delay_alu instid0(VALU_DEP_2) | instskip(NEXT) | instid1(VALU_DEP_2)
	v_mad_u64_u32 v[18:19], null, 0xd2511f53, v11, 0
	v_xor3_b32 v2, v33, v8, v14
	s_delay_alu instid0(VALU_DEP_2) | instskip(SKIP_1) | instid1(VALU_DEP_3)
	v_xor3_b32 v8, v19, v34, v12
	v_mul_f64 v[16:17], v[9:10], v[5:6]
	v_mad_u64_u32 v[11:12], null, 0xd2511f53, v2, 0
	s_delay_alu instid0(VALU_DEP_3) | instskip(NEXT) | instid1(VALU_DEP_2)
	v_mad_u64_u32 v[13:14], null, 0xcd9e8d57, v8, 0
	v_xor3_b32 v12, v35, v12, v18
	s_delay_alu instid0(VALU_DEP_2) | instskip(NEXT) | instid1(VALU_DEP_2)
	v_xor3_b32 v14, v14, v36, v7
	v_mad_u64_u32 v[7:8], null, 0xcd9e8d57, v12, 0
	v_fma_f64 v[2:3], -v[3:4], v[16:17], v[9:10]
	s_delay_alu instid0(VALU_DEP_3) | instskip(NEXT) | instid1(VALU_DEP_3)
	v_mad_u64_u32 v[9:10], null, 0xd2511f53, v14, 0
	v_xor3_b32 v4, v37, v8, v13
	s_delay_alu instid0(VALU_DEP_2) | instskip(NEXT) | instid1(VALU_DEP_2)
	v_xor3_b32 v8, v10, v38, v11
	v_mad_u64_u32 v[10:11], null, 0xd2511f53, v4, 0
	s_delay_alu instid0(VALU_DEP_2) | instskip(NEXT) | instid1(VALU_DEP_2)
	v_mad_u64_u32 v[12:13], null, 0xcd9e8d57, v8, 0
	v_xor3_b32 v4, v39, v11, v9
	s_delay_alu instid0(VALU_DEP_2) | instskip(NEXT) | instid1(VALU_DEP_2)
	v_xor3_b32 v9, v13, v40, v7
	v_mad_u64_u32 v[7:8], null, 0xcd9e8d57, v4, 0
	s_delay_alu instid0(VALU_DEP_2) | instskip(SKIP_1) | instid1(VALU_DEP_2)
	v_mad_u64_u32 v[13:14], null, 0xd2511f53, v9, 0
	v_div_fmas_f64 v[2:3], v[2:3], v[5:6], v[16:17]
	v_xor3_b32 v6, v14, v41, v10
	s_delay_alu instid0(VALU_DEP_4) | instskip(NEXT) | instid1(VALU_DEP_2)
	v_xor3_b32 v10, v42, v8, v12
	v_mad_u64_u32 v[4:5], null, 0xcd9e8d57, v6, 0
	s_delay_alu instid0(VALU_DEP_2) | instskip(NEXT) | instid1(VALU_DEP_2)
	v_mad_u64_u32 v[8:9], null, 0xd2511f53, v10, 0
	v_xor3_b32 v7, v5, v43, v7
	s_delay_alu instid0(VALU_DEP_2) | instskip(NEXT) | instid1(VALU_DEP_2)
	v_xor3_b32 v11, v44, v9, v13
	v_mad_u64_u32 v[5:6], null, 0xd2511f53, v7, 0
	s_delay_alu instid0(VALU_DEP_2) | instskip(NEXT) | instid1(VALU_DEP_2)
	v_mad_u64_u32 v[9:10], null, 0xcd9e8d57, v11, 0
	v_xor3_b32 v6, v6, v45, v8
	s_delay_alu instid0(VALU_DEP_2) | instskip(NEXT) | instid1(VALU_DEP_2)
	v_xor3_b32 v4, v46, v10, v4
	v_mad_u64_u32 v[10:11], null, 0xcd9e8d57, v6, 0
	s_delay_alu instid0(VALU_DEP_2)
	v_mad_u64_u32 v[6:7], null, 0xd2511f53, v4, 0
	v_and_b32_e32 v49, 3, v1
	v_add_nc_u32_e32 v1, s18, v0
	v_div_fixup_f64 v[22:23], v[2:3], s[4:5], 1.0
	v_add_nc_u32_e32 v2, s19, v0
	v_add_nc_u32_e32 v3, s15, v0
	v_xor3_b32 v9, v9, v11, v47
	v_mul_lo_u32 v52, s21, v1
	v_mul_lo_u32 v53, s20, v1
	;; [unrolled: 1-line block ×6, first 2 shown]
	v_xor3_b32 v11, v7, v5, v48
	v_mov_b32_e32 v12, v6
	s_lshl_b32 s20, s0, 2
	s_lshl_b32 s21, s1, 2
                                        ; implicit-def: $vgpr1_vgpr2_vgpr3_vgpr4_vgpr5_vgpr6_vgpr7_vgpr8
	s_branch .LBB4_5
.LBB4_4:                                ;   in Loop: Header=BB4_5 Depth=1
	s_or_b32 exec_lo, exec_lo, s1
	v_mov_b32_e32 v16, v26
	v_add_nc_u32_e32 v0, s12, v0
	s_add_i32 s23, s23, s20
	s_add_i32 s22, s22, s21
	s_waitcnt vmcnt(0)
	s_waitcnt_vscnt null, 0x0
	s_barrier
	v_add_nc_u32_e32 v9, s14, v0
	buffer_gl0_inv
	v_cmp_le_u32_e32 vcc_lo, s16, v9
	v_dual_mov_b32 v9, v13 :: v_dual_mov_b32 v10, v14
	v_dual_mov_b32 v11, v15 :: v_dual_mov_b32 v12, v16
	s_or_b32 s17, vcc_lo, s17
	s_delay_alu instid0(SALU_CYCLE_1)
	s_and_not1_b32 exec_lo, exec_lo, s17
	s_cbranch_execz .LBB4_31
.LBB4_5:                                ; =>This Inner Loop Header: Depth=1
	v_add_co_u32 v29, vcc_lo, v29, 1
	s_delay_alu instid0(VALU_DEP_1) | instskip(SKIP_2) | instid1(VALU_DEP_1)
	v_cndmask_b32_e64 v13, 0, 1, vcc_lo
	v_add_co_ci_u32_e32 v30, vcc_lo, 0, v30, vcc_lo
	s_mov_b32 s0, exec_lo
	v_cmp_eq_u32_e32 vcc_lo, 0, v30
	s_delay_alu instid0(VALU_DEP_3) | instskip(NEXT) | instid1(VALU_DEP_1)
	v_cndmask_b32_e32 v13, 0, v13, vcc_lo
	v_add_nc_u32_e32 v28, v13, v28
	s_delay_alu instid0(VALU_DEP_1) | instskip(SKIP_2) | instid1(VALU_DEP_2)
	v_cmp_eq_u32_e32 vcc_lo, 0, v28
	v_cndmask_b32_e32 v13, 0, v13, vcc_lo
	v_mad_u64_u32 v[15:16], null, 0xcd9e8d57, v28, 0
	v_add_nc_u32_e32 v58, v13, v58
	v_mad_u64_u32 v[13:14], null, 0xd2511f53, v29, 0
	s_delay_alu instid0(VALU_DEP_3) | instskip(NEXT) | instid1(VALU_DEP_2)
	v_xor3_b32 v18, v16, v20, v30
	v_xor_b32_e32 v14, v14, v21
	s_delay_alu instid0(VALU_DEP_2) | instskip(NEXT) | instid1(VALU_DEP_2)
	v_mad_u64_u32 v[16:17], null, 0xd2511f53, v18, 0
	v_xor_b32_e32 v14, v58, v14
	s_delay_alu instid0(VALU_DEP_2) | instskip(NEXT) | instid1(VALU_DEP_2)
	v_xor3_b32 v17, v31, v17, v13
	v_mad_u64_u32 v[18:19], null, 0xcd9e8d57, v14, 0
	s_delay_alu instid0(VALU_DEP_2) | instskip(NEXT) | instid1(VALU_DEP_2)
	v_mad_u64_u32 v[13:14], null, 0xcd9e8d57, v17, 0
	v_xor3_b32 v15, v32, v19, v15
	s_delay_alu instid0(VALU_DEP_2) | instskip(NEXT) | instid1(VALU_DEP_2)
	v_xor3_b32 v17, v33, v14, v18
	v_mad_u64_u32 v[26:27], null, 0xd2511f53, v15, 0
	s_delay_alu instid0(VALU_DEP_2) | instskip(NEXT) | instid1(VALU_DEP_2)
	v_mad_u64_u32 v[14:15], null, 0xd2511f53, v17, 0
	v_xor3_b32 v18, v34, v27, v16
	s_delay_alu instid0(VALU_DEP_2) | instskip(NEXT) | instid1(VALU_DEP_2)
	v_xor3_b32 v15, v35, v15, v26
	v_mad_u64_u32 v[16:17], null, 0xcd9e8d57, v18, 0
	s_delay_alu instid0(VALU_DEP_1) | instskip(NEXT) | instid1(VALU_DEP_3)
	v_xor3_b32 v13, v36, v17, v13
	v_mad_u64_u32 v[17:18], null, 0xcd9e8d57, v15, 0
	s_delay_alu instid0(VALU_DEP_2) | instskip(NEXT) | instid1(VALU_DEP_2)
	v_mad_u64_u32 v[26:27], null, 0xd2511f53, v13, 0
	v_xor3_b32 v15, v37, v18, v16
	s_delay_alu instid0(VALU_DEP_2) | instskip(NEXT) | instid1(VALU_DEP_2)
	v_xor3_b32 v18, v38, v27, v14
	v_mad_u64_u32 v[13:14], null, 0xd2511f53, v15, 0
	s_delay_alu instid0(VALU_DEP_2) | instskip(NEXT) | instid1(VALU_DEP_2)
	v_mad_u64_u32 v[15:16], null, 0xcd9e8d57, v18, 0
	v_xor3_b32 v14, v39, v14, v26
	s_delay_alu instid0(VALU_DEP_2) | instskip(NEXT) | instid1(VALU_DEP_2)
	;; [unrolled: 6-line block ×6, first 2 shown]
	v_xor3_b32 v13, v15, v16, v47
	v_mov_b32_e32 v15, v19
	v_cmpx_lt_i32_e32 1, v49
	s_xor_b32 s0, exec_lo, s0
	s_cbranch_execz .LBB4_11
; %bb.6:                                ;   in Loop: Header=BB4_5 Depth=1
	s_mov_b32 s1, exec_lo
	v_cmpx_lt_i32_e32 2, v49
	s_xor_b32 s1, exec_lo, s1
; %bb.7:                                ;   in Loop: Header=BB4_5 Depth=1
	v_dual_mov_b32 v16, v12 :: v_dual_mov_b32 v17, v13
	v_mov_b32_e32 v18, v14
	s_delay_alu instid0(VALU_DEP_2) | instskip(NEXT) | instid1(VALU_DEP_2)
	v_dual_mov_b32 v9, v16 :: v_dual_mov_b32 v10, v17
	v_dual_mov_b32 v11, v18 :: v_dual_mov_b32 v12, v19
; %bb.8:                                ;   in Loop: Header=BB4_5 Depth=1
	s_and_not1_saveexec_b32 s1, s1
; %bb.9:                                ;   in Loop: Header=BB4_5 Depth=1
	s_delay_alu instid0(VALU_DEP_1)
	v_dual_mov_b32 v9, v11 :: v_dual_mov_b32 v10, v12
	v_dual_mov_b32 v11, v13 :: v_dual_mov_b32 v12, v14
; %bb.10:                               ;   in Loop: Header=BB4_5 Depth=1
	s_or_b32 exec_lo, exec_lo, s1
.LBB4_11:                               ;   in Loop: Header=BB4_5 Depth=1
	s_and_not1_saveexec_b32 s0, s0
	s_cbranch_execz .LBB4_15
; %bb.12:                               ;   in Loop: Header=BB4_5 Depth=1
	s_mov_b32 s1, exec_lo
	v_cmpx_eq_u32_e32 1, v49
; %bb.13:                               ;   in Loop: Header=BB4_5 Depth=1
	v_dual_mov_b32 v9, v10 :: v_dual_mov_b32 v10, v11
	v_dual_mov_b32 v11, v12 :: v_dual_mov_b32 v12, v13
; %bb.14:                               ;   in Loop: Header=BB4_5 Depth=1
	s_or_b32 exec_lo, exec_lo, s1
.LBB4_15:                               ;   in Loop: Header=BB4_5 Depth=1
	s_delay_alu instid0(SALU_CYCLE_1) | instskip(SKIP_1) | instid1(VALU_DEP_1)
	s_or_b32 exec_lo, exec_lo, s0
	v_add_nc_u32_e32 v16, s14, v0
	v_cmp_gt_u32_e64 s2, s13, v16
	s_delay_alu instid0(VALU_DEP_1)
	s_and_saveexec_b32 s0, s2
	s_cbranch_execz .LBB4_17
; %bb.16:                               ;   in Loop: Header=BB4_5 Depth=1
	v_add_nc_u32_e32 v24, s22, v51
	s_delay_alu instid0(VALU_DEP_1) | instskip(NEXT) | instid1(VALU_DEP_1)
	v_lshlrev_b64 v[1:2], 3, v[24:25]
	v_add_co_u32 v1, vcc_lo, s6, v1
	s_delay_alu instid0(VALU_DEP_2)
	v_add_co_ci_u32_e32 v2, vcc_lo, s7, v2, vcc_lo
	global_load_b64 v[1:2], v[1:2], off
.LBB4_17:                               ;   in Loop: Header=BB4_5 Depth=1
	s_or_b32 exec_lo, exec_lo, s0
	v_add_nc_u32_e32 v16, s15, v0
	s_delay_alu instid0(VALU_DEP_1) | instskip(NEXT) | instid1(VALU_DEP_1)
	v_cmp_gt_u32_e64 s1, s13, v16
	s_and_saveexec_b32 s0, s1
	s_cbranch_execz .LBB4_19
; %bb.18:                               ;   in Loop: Header=BB4_5 Depth=1
	v_add_nc_u32_e32 v24, s22, v57
	s_delay_alu instid0(VALU_DEP_1) | instskip(NEXT) | instid1(VALU_DEP_1)
	v_lshlrev_b64 v[3:4], 3, v[24:25]
	v_add_co_u32 v3, vcc_lo, s6, v3
	s_delay_alu instid0(VALU_DEP_2)
	v_add_co_ci_u32_e32 v4, vcc_lo, s7, v4, vcc_lo
	global_load_b64 v[3:4], v[3:4], off
.LBB4_19:                               ;   in Loop: Header=BB4_5 Depth=1
	s_or_b32 exec_lo, exec_lo, s0
	v_add_nc_u32_e32 v16, s18, v0
	s_delay_alu instid0(VALU_DEP_1) | instskip(NEXT) | instid1(VALU_DEP_1)
	v_cmp_gt_u32_e64 s0, s13, v16
	s_and_saveexec_b32 s3, s0
	s_cbranch_execz .LBB4_21
; %bb.20:                               ;   in Loop: Header=BB4_5 Depth=1
	v_add_nc_u32_e32 v24, s22, v52
	s_delay_alu instid0(VALU_DEP_1) | instskip(NEXT) | instid1(VALU_DEP_1)
	v_lshlrev_b64 v[5:6], 3, v[24:25]
	v_add_co_u32 v5, vcc_lo, s6, v5
	s_delay_alu instid0(VALU_DEP_2)
	v_add_co_ci_u32_e32 v6, vcc_lo, s7, v6, vcc_lo
	global_load_b64 v[5:6], v[5:6], off
.LBB4_21:                               ;   in Loop: Header=BB4_5 Depth=1
	s_or_b32 exec_lo, exec_lo, s3
	v_add_nc_u32_e32 v16, s19, v0
	s_delay_alu instid0(VALU_DEP_1)
	v_cmp_gt_u32_e32 vcc_lo, s13, v16
	s_and_saveexec_b32 s24, vcc_lo
	s_cbranch_execnz .LBB4_26
; %bb.22:                               ;   in Loop: Header=BB4_5 Depth=1
	s_or_b32 exec_lo, exec_lo, s24
	s_and_saveexec_b32 s24, s2
	s_cbranch_execnz .LBB4_27
.LBB4_23:                               ;   in Loop: Header=BB4_5 Depth=1
	s_or_b32 exec_lo, exec_lo, s24
	s_and_saveexec_b32 s3, s1
	s_cbranch_execnz .LBB4_28
.LBB4_24:                               ;   in Loop: Header=BB4_5 Depth=1
	s_or_b32 exec_lo, exec_lo, s3
	s_and_saveexec_b32 s2, s0
	s_cbranch_execnz .LBB4_29
.LBB4_25:                               ;   in Loop: Header=BB4_5 Depth=1
	s_or_b32 exec_lo, exec_lo, s2
	s_and_saveexec_b32 s1, vcc_lo
	s_cbranch_execz .LBB4_4
	s_branch .LBB4_30
.LBB4_26:                               ;   in Loop: Header=BB4_5 Depth=1
	v_add_nc_u32_e32 v24, s22, v54
	s_delay_alu instid0(VALU_DEP_1) | instskip(NEXT) | instid1(VALU_DEP_1)
	v_lshlrev_b64 v[7:8], 3, v[24:25]
	v_add_co_u32 v7, s3, s6, v7
	s_delay_alu instid0(VALU_DEP_1)
	v_add_co_ci_u32_e64 v8, s3, s7, v8, s3
	global_load_b64 v[7:8], v[7:8], off
	s_or_b32 exec_lo, exec_lo, s24
	s_and_saveexec_b32 s24, s2
	s_cbranch_execz .LBB4_23
.LBB4_27:                               ;   in Loop: Header=BB4_5 Depth=1
	v_cvt_f32_u32_e32 v9, v9
	v_add_nc_u32_e32 v24, s23, v50
	s_delay_alu instid0(VALU_DEP_2) | instskip(NEXT) | instid1(VALU_DEP_1)
	v_dual_mov_b32 v18, v25 :: v_dual_fmaak_f32 v9, 0x2f800000, v9, 0x2f800000
	v_cvt_f64_f32_e32 v[16:17], v9
	s_delay_alu instid0(VALU_DEP_1) | instskip(NEXT) | instid1(VALU_DEP_1)
	v_cmp_gt_f64_e64 s2, s[4:5], v[16:17]
	v_cndmask_b32_e64 v19, 0, 0x3ff00000, s2
	v_cndmask_b32_e64 v9, 0, 1, s2
	s_waitcnt vmcnt(0)
	s_delay_alu instid0(VALU_DEP_2) | instskip(SKIP_1) | instid1(VALU_DEP_1)
	v_mul_f64 v[16:17], v[1:2], v[18:19]
	v_lshlrev_b64 v[18:19], 3, v[24:25]
	v_add_co_u32 v18, s3, s8, v18
	s_delay_alu instid0(VALU_DEP_1) | instskip(NEXT) | instid1(VALU_DEP_4)
	v_add_co_ci_u32_e64 v19, s3, s9, v19, s3
	v_mul_f64 v[16:17], v[22:23], v[16:17]
	global_store_b64 v[18:19], v[16:17], off
	global_store_b8 v24, v9, s[10:11]
	s_or_b32 exec_lo, exec_lo, s24
	s_and_saveexec_b32 s3, s1
	s_cbranch_execz .LBB4_24
.LBB4_28:                               ;   in Loop: Header=BB4_5 Depth=1
	v_cvt_f32_u32_e32 v9, v10
	v_add_nc_u32_e32 v24, s23, v56
	s_delay_alu instid0(VALU_DEP_2) | instskip(NEXT) | instid1(VALU_DEP_1)
	v_dual_mov_b32 v16, v25 :: v_dual_fmaak_f32 v9, 0x2f800000, v9, 0x2f800000
	v_cvt_f64_f32_e32 v[9:10], v9
	s_delay_alu instid0(VALU_DEP_1) | instskip(NEXT) | instid1(VALU_DEP_1)
	v_cmp_gt_f64_e64 s1, s[4:5], v[9:10]
	v_cndmask_b32_e64 v17, 0, 0x3ff00000, s1
	v_cndmask_b32_e64 v18, 0, 1, s1
	s_waitcnt vmcnt(0)
	s_delay_alu instid0(VALU_DEP_2) | instskip(SKIP_1) | instid1(VALU_DEP_1)
	v_mul_f64 v[9:10], v[3:4], v[16:17]
	v_lshlrev_b64 v[16:17], 3, v[24:25]
	v_add_co_u32 v16, s2, s8, v16
	s_delay_alu instid0(VALU_DEP_1) | instskip(NEXT) | instid1(VALU_DEP_4)
	v_add_co_ci_u32_e64 v17, s2, s9, v17, s2
	v_mul_f64 v[9:10], v[22:23], v[9:10]
	global_store_b64 v[16:17], v[9:10], off
	global_store_b8 v24, v18, s[10:11]
	s_or_b32 exec_lo, exec_lo, s3
	s_and_saveexec_b32 s2, s0
	s_cbranch_execz .LBB4_25
.LBB4_29:                               ;   in Loop: Header=BB4_5 Depth=1
	v_cvt_f32_u32_e32 v9, v11
	v_add_nc_u32_e32 v24, s23, v53
	s_delay_alu instid0(VALU_DEP_2) | instskip(NEXT) | instid1(VALU_DEP_1)
	v_dual_mov_b32 v16, v25 :: v_dual_fmaak_f32 v9, 0x2f800000, v9, 0x2f800000
	v_cvt_f64_f32_e32 v[9:10], v9
	s_delay_alu instid0(VALU_DEP_1) | instskip(NEXT) | instid1(VALU_DEP_1)
	v_cmp_gt_f64_e64 s0, s[4:5], v[9:10]
	v_cndmask_b32_e64 v17, 0, 0x3ff00000, s0
	v_cndmask_b32_e64 v11, 0, 1, s0
	s_waitcnt vmcnt(0)
	s_delay_alu instid0(VALU_DEP_2) | instskip(SKIP_1) | instid1(VALU_DEP_1)
	v_mul_f64 v[9:10], v[5:6], v[16:17]
	v_lshlrev_b64 v[16:17], 3, v[24:25]
	v_add_co_u32 v16, s1, s8, v16
	s_delay_alu instid0(VALU_DEP_1) | instskip(NEXT) | instid1(VALU_DEP_4)
	v_add_co_ci_u32_e64 v17, s1, s9, v17, s1
	v_mul_f64 v[9:10], v[22:23], v[9:10]
	global_store_b64 v[16:17], v[9:10], off
	global_store_b8 v24, v11, s[10:11]
	s_or_b32 exec_lo, exec_lo, s2
	s_and_saveexec_b32 s1, vcc_lo
	s_cbranch_execz .LBB4_4
.LBB4_30:                               ;   in Loop: Header=BB4_5 Depth=1
	v_cvt_f32_u32_e32 v9, v12
	v_dual_mov_b32 v11, v25 :: v_dual_add_nc_u32 v24, s23, v55
	s_delay_alu instid0(VALU_DEP_2) | instskip(NEXT) | instid1(VALU_DEP_1)
	v_fmaak_f32 v9, 0x2f800000, v9, 0x2f800000
	v_cvt_f64_f32_e32 v[9:10], v9
	s_delay_alu instid0(VALU_DEP_1) | instskip(SKIP_3) | instid1(VALU_DEP_2)
	v_cmp_gt_f64_e32 vcc_lo, s[4:5], v[9:10]
	v_cndmask_b32_e64 v12, 0, 0x3ff00000, vcc_lo
	v_cndmask_b32_e64 v16, 0, 1, vcc_lo
	s_waitcnt vmcnt(0)
	v_mul_f64 v[9:10], v[7:8], v[11:12]
	v_lshlrev_b64 v[11:12], 3, v[24:25]
	s_delay_alu instid0(VALU_DEP_1) | instskip(NEXT) | instid1(VALU_DEP_1)
	v_add_co_u32 v11, s0, s8, v11
	v_add_co_ci_u32_e64 v12, s0, s9, v12, s0
	s_delay_alu instid0(VALU_DEP_4)
	v_mul_f64 v[9:10], v[22:23], v[9:10]
	global_store_b64 v[11:12], v[9:10], off
	global_store_b8 v24, v16, s[10:11]
	s_branch .LBB4_4
.LBB4_31:
	s_endpgm
	.section	.rodata,"a",@progbits
	.p2align	6, 0x0
	.amdhsa_kernel _ZN2at6native12_GLOBAL__N_120fused_dropout_kernelIddjLi1ELi1EbEEvNS_4cuda6detail10TensorInfoIKT_T1_EENS5_IS6_S8_EENS5_IT4_S8_EES8_T0_NS_15PhiloxCudaStateE
		.amdhsa_group_segment_fixed_size 0
		.amdhsa_private_segment_fixed_size 0
		.amdhsa_kernarg_size 952
		.amdhsa_user_sgpr_count 15
		.amdhsa_user_sgpr_dispatch_ptr 0
		.amdhsa_user_sgpr_queue_ptr 0
		.amdhsa_user_sgpr_kernarg_segment_ptr 1
		.amdhsa_user_sgpr_dispatch_id 0
		.amdhsa_user_sgpr_private_segment_size 0
		.amdhsa_wavefront_size32 1
		.amdhsa_uses_dynamic_stack 0
		.amdhsa_enable_private_segment 0
		.amdhsa_system_sgpr_workgroup_id_x 1
		.amdhsa_system_sgpr_workgroup_id_y 0
		.amdhsa_system_sgpr_workgroup_id_z 0
		.amdhsa_system_sgpr_workgroup_info 0
		.amdhsa_system_vgpr_workitem_id 0
		.amdhsa_next_free_vgpr 59
		.amdhsa_next_free_sgpr 25
		.amdhsa_reserve_vcc 1
		.amdhsa_float_round_mode_32 0
		.amdhsa_float_round_mode_16_64 0
		.amdhsa_float_denorm_mode_32 3
		.amdhsa_float_denorm_mode_16_64 3
		.amdhsa_dx10_clamp 1
		.amdhsa_ieee_mode 1
		.amdhsa_fp16_overflow 0
		.amdhsa_workgroup_processor_mode 1
		.amdhsa_memory_ordered 1
		.amdhsa_forward_progress 0
		.amdhsa_shared_vgpr_count 0
		.amdhsa_exception_fp_ieee_invalid_op 0
		.amdhsa_exception_fp_denorm_src 0
		.amdhsa_exception_fp_ieee_div_zero 0
		.amdhsa_exception_fp_ieee_overflow 0
		.amdhsa_exception_fp_ieee_underflow 0
		.amdhsa_exception_fp_ieee_inexact 0
		.amdhsa_exception_int_div_zero 0
	.end_amdhsa_kernel
	.section	.text._ZN2at6native12_GLOBAL__N_120fused_dropout_kernelIddjLi1ELi1EbEEvNS_4cuda6detail10TensorInfoIKT_T1_EENS5_IS6_S8_EENS5_IT4_S8_EES8_T0_NS_15PhiloxCudaStateE,"axG",@progbits,_ZN2at6native12_GLOBAL__N_120fused_dropout_kernelIddjLi1ELi1EbEEvNS_4cuda6detail10TensorInfoIKT_T1_EENS5_IS6_S8_EENS5_IT4_S8_EES8_T0_NS_15PhiloxCudaStateE,comdat
.Lfunc_end4:
	.size	_ZN2at6native12_GLOBAL__N_120fused_dropout_kernelIddjLi1ELi1EbEEvNS_4cuda6detail10TensorInfoIKT_T1_EENS5_IS6_S8_EENS5_IT4_S8_EES8_T0_NS_15PhiloxCudaStateE, .Lfunc_end4-_ZN2at6native12_GLOBAL__N_120fused_dropout_kernelIddjLi1ELi1EbEEvNS_4cuda6detail10TensorInfoIKT_T1_EENS5_IS6_S8_EENS5_IT4_S8_EES8_T0_NS_15PhiloxCudaStateE
                                        ; -- End function
	.section	.AMDGPU.csdata,"",@progbits
; Kernel info:
; codeLenInByte = 2948
; NumSgprs: 27
; NumVgprs: 59
; ScratchSize: 0
; MemoryBound: 0
; FloatMode: 240
; IeeeMode: 1
; LDSByteSize: 0 bytes/workgroup (compile time only)
; SGPRBlocks: 3
; VGPRBlocks: 7
; NumSGPRsForWavesPerEU: 27
; NumVGPRsForWavesPerEU: 59
; Occupancy: 16
; WaveLimiterHint : 1
; COMPUTE_PGM_RSRC2:SCRATCH_EN: 0
; COMPUTE_PGM_RSRC2:USER_SGPR: 15
; COMPUTE_PGM_RSRC2:TRAP_HANDLER: 0
; COMPUTE_PGM_RSRC2:TGID_X_EN: 1
; COMPUTE_PGM_RSRC2:TGID_Y_EN: 0
; COMPUTE_PGM_RSRC2:TGID_Z_EN: 0
; COMPUTE_PGM_RSRC2:TIDIG_COMP_CNT: 0
	.section	.text._ZN2at6native12_GLOBAL__N_120fused_dropout_kernelIddjLin1ELi1EbEEvNS_4cuda6detail10TensorInfoIKT_T1_EENS5_IS6_S8_EENS5_IT4_S8_EES8_T0_NS_15PhiloxCudaStateE,"axG",@progbits,_ZN2at6native12_GLOBAL__N_120fused_dropout_kernelIddjLin1ELi1EbEEvNS_4cuda6detail10TensorInfoIKT_T1_EENS5_IS6_S8_EENS5_IT4_S8_EES8_T0_NS_15PhiloxCudaStateE,comdat
	.globl	_ZN2at6native12_GLOBAL__N_120fused_dropout_kernelIddjLin1ELi1EbEEvNS_4cuda6detail10TensorInfoIKT_T1_EENS5_IS6_S8_EENS5_IT4_S8_EES8_T0_NS_15PhiloxCudaStateE ; -- Begin function _ZN2at6native12_GLOBAL__N_120fused_dropout_kernelIddjLin1ELi1EbEEvNS_4cuda6detail10TensorInfoIKT_T1_EENS5_IS6_S8_EENS5_IT4_S8_EES8_T0_NS_15PhiloxCudaStateE
	.p2align	8
	.type	_ZN2at6native12_GLOBAL__N_120fused_dropout_kernelIddjLin1ELi1EbEEvNS_4cuda6detail10TensorInfoIKT_T1_EENS5_IS6_S8_EENS5_IT4_S8_EES8_T0_NS_15PhiloxCudaStateE,@function
_ZN2at6native12_GLOBAL__N_120fused_dropout_kernelIddjLin1ELi1EbEEvNS_4cuda6detail10TensorInfoIKT_T1_EENS5_IS6_S8_EENS5_IT4_S8_EES8_T0_NS_15PhiloxCudaStateE: ; @_ZN2at6native12_GLOBAL__N_120fused_dropout_kernelIddjLin1ELi1EbEEvNS_4cuda6detail10TensorInfoIKT_T1_EENS5_IS6_S8_EENS5_IT4_S8_EES8_T0_NS_15PhiloxCudaStateE
; %bb.0:
	s_clause 0x2
	s_load_b64 s[2:3], s[0:1], 0x2a0
	s_load_b128 s[4:7], s[0:1], 0x290
	s_load_b32 s8, s[0:1], 0x2b0
	s_waitcnt lgkmcnt(0)
	v_dual_mov_b32 v1, s2 :: v_dual_mov_b32 v2, s3
	v_dual_mov_b32 v20, s7 :: v_dual_mov_b32 v19, s6
	s_bitcmp0_b32 s8, 0
	s_cbranch_scc1 .LBB5_2
; %bb.1:
	v_dual_mov_b32 v1, s2 :: v_dual_mov_b32 v2, s3
	v_dual_mov_b32 v3, s6 :: v_dual_mov_b32 v4, s7
	s_load_b64 s[2:3], s[0:1], 0x2a8
	flat_load_b64 v[1:2], v[1:2]
	flat_load_b64 v[19:20], v[3:4]
	s_waitcnt vmcnt(1) lgkmcnt(0)
	v_add_co_u32 v1, vcc_lo, v1, s2
	v_add_co_ci_u32_e32 v2, vcc_lo, s3, v2, vcc_lo
.LBB5_2:
	s_clause 0x2
	s_load_b32 s2, s[0:1], 0x2c4
	s_load_b32 s18, s[0:1], 0x2b8
	;; [unrolled: 1-line block ×3, first 2 shown]
	s_waitcnt lgkmcnt(0)
	s_and_b32 s2, s2, 0xffff
	s_add_i32 s7, s19, -1
	s_mul_i32 s18, s18, s2
	v_mad_u64_u32 v[21:22], null, s15, s2, v[0:1]
	s_lshl_b32 s20, s18, 2
	s_delay_alu instid0(SALU_CYCLE_1) | instskip(SKIP_1) | instid1(VALU_DEP_1)
	v_cvt_f32_u32_e32 v3, s20
	s_sub_i32 s6, 0, s20
	v_rcp_iflag_f32_e32 v3, v3
	s_waitcnt_depctr 0xfff
	v_mul_f32_e32 v3, 0x4f7ffffe, v3
	s_delay_alu instid0(VALU_DEP_1) | instskip(NEXT) | instid1(VALU_DEP_1)
	v_cvt_u32_f32_e32 v3, v3
	v_readfirstlane_b32 s3, v3
	s_delay_alu instid0(VALU_DEP_1) | instskip(NEXT) | instid1(SALU_CYCLE_1)
	s_mul_i32 s6, s6, s3
	s_mul_hi_u32 s6, s3, s6
	s_delay_alu instid0(SALU_CYCLE_1) | instskip(NEXT) | instid1(SALU_CYCLE_1)
	s_add_i32 s3, s3, s6
	s_mul_hi_u32 s3, s7, s3
	s_delay_alu instid0(SALU_CYCLE_1) | instskip(NEXT) | instid1(SALU_CYCLE_1)
	s_mul_i32 s6, s3, s20
	s_sub_i32 s6, s7, s6
	s_add_i32 s7, s3, 1
	s_sub_i32 s8, s6, s20
	s_cmp_ge_u32 s6, s20
	s_cselect_b32 s2, s7, s3
	s_cselect_b32 s3, s8, s6
	s_add_i32 s6, s2, 1
	s_cmp_ge_u32 s3, s20
	s_cselect_b32 s2, s6, s2
	s_delay_alu instid0(SALU_CYCLE_1) | instskip(NEXT) | instid1(SALU_CYCLE_1)
	s_add_i32 s2, s2, 1
	s_mul_i32 s20, s20, s2
	s_mov_b32 s2, exec_lo
	v_cmpx_gt_u32_e64 s20, v21
	s_cbranch_execz .LBB5_43
; %bb.3:
	v_div_scale_f64 v[3:4], null, s[4:5], s[4:5], 1.0
	v_div_scale_f64 v[9:10], vcc_lo, 1.0, s[4:5], 1.0
	v_alignbit_b32 v28, v2, v1, 2
	v_lshrrev_b32_e32 v29, 2, v2
	v_mad_u64_u32 v[11:12], null, 0xcd9e8d57, v21, 0
	s_waitcnt vmcnt(0)
	v_add_co_u32 v31, null, 0x9e3779b9, v19
	v_mad_u64_u32 v[13:14], null, 0xd2511f53, v28, 0
	v_dual_mov_b32 v24, v20 :: v_dual_add_nc_u32 v47, 0x96a522ad, v20
	s_delay_alu instid0(VALU_DEP_4) | instskip(SKIP_1) | instid1(VALU_DEP_3)
	v_xor3_b32 v0, v19, v12, v29
	v_add_co_u32 v32, null, 0x3c6ef372, v19
	v_add_co_u32 v30, null, 0xbb67ae85, v24
	v_xor_b32_e32 v2, v14, v20
	s_delay_alu instid0(VALU_DEP_4) | instskip(SKIP_1) | instid1(VALU_DEP_3)
	v_mad_u64_u32 v[14:15], null, 0xd2511f53, v0, 0
	v_add_co_u32 v33, null, 0x76cf5d0a, v24
	v_mad_u64_u32 v[16:17], null, 0xcd9e8d57, v2, 0
	v_add_co_u32 v34, null, 0x32370b8f, v24
	s_delay_alu instid0(VALU_DEP_4) | instskip(SKIP_3) | instid1(VALU_DEP_4)
	v_xor3_b32 v0, v30, v15, v13
	v_add_co_u32 v35, null, 0xdaa66d2b, v19
	v_add_co_u32 v36, null, 0xed9eba14, v24
	v_xor3_b32 v2, v17, v31, v11
	v_mad_u64_u32 v[11:12], null, 0xcd9e8d57, v0, 0
	v_add_co_u32 v37, null, 0x78dde6e4, v19
	v_rcp_f64_e32 v[5:6], v[3:4]
	s_delay_alu instid0(VALU_DEP_3) | instskip(SKIP_1) | instid1(VALU_DEP_4)
	v_mad_u64_u32 v[17:18], null, 0xd2511f53, v2, 0
	v_add_co_u32 v38, null, 0x1715609d, v19
	v_xor3_b32 v0, v32, v12, v16
	v_add_co_u32 v39, null, 0xa9066899, v24
	v_add_co_u32 v40, null, 0x646e171e, v24
	v_add_co_u32 v41, null, 0xb54cda56, v19
	v_add_co_u32 v42, null, 0x5384540f, v19
	v_add_co_u32 v43, null, 0x1fd5c5a3, v24
	s_clause 0x1
	s_load_b32 s14, s[0:1], 0xd0
	s_load_b64 s[6:7], s[0:1], 0xd8
	v_add_co_u32 v44, null, 0xdb3d7428, v24
	v_add_co_u32 v45, null, 0xf1bbcdc8, v19
	s_clause 0x3
	s_load_b64 s[8:9], s[0:1], 0x1b0
	s_load_b32 s21, s[0:1], 0x144
	s_load_b32 s22, s[0:1], 0x6c
	s_load_b64 s[10:11], s[0:1], 0x0
	s_mov_b32 s13, 0
	v_dual_mov_b32 v24, 0 :: v_dual_mov_b32 v49, v21
	v_and_b32_e32 v48, 3, v1
	v_mov_b32_e32 v50, 0
	s_waitcnt lgkmcnt(0)
	s_cmp_gt_i32 s14, 1
	s_cselect_b32 s23, -1, 0
	s_add_i32 s12, s14, -1
	s_delay_alu instid0(TRANS32_DEP_1)
	v_fma_f64 v[7:8], -v[3:4], v[5:6], 1.0
	s_lshl_b64 s[2:3], s[12:13], 2
	s_add_i32 s12, s14, 1
	s_add_u32 s0, s2, s0
	s_addc_u32 s1, s3, s1
	s_add_u32 s14, s0, 8
	s_addc_u32 s15, s1, 0
	s_delay_alu instid0(VALU_DEP_1) | instskip(NEXT) | instid1(VALU_DEP_1)
	v_fma_f64 v[5:6], v[5:6], v[7:8], v[5:6]
	v_fma_f64 v[7:8], -v[3:4], v[5:6], 1.0
	s_delay_alu instid0(VALU_DEP_1) | instskip(NEXT) | instid1(VALU_DEP_1)
	v_fma_f64 v[5:6], v[5:6], v[7:8], v[5:6]
	v_mul_f64 v[7:8], v[9:10], v[5:6]
	s_delay_alu instid0(VALU_DEP_1) | instskip(SKIP_2) | instid1(VALU_DEP_2)
	v_fma_f64 v[2:3], -v[3:4], v[7:8], v[9:10]
	v_xor3_b32 v4, v18, v33, v14
	v_mad_u64_u32 v[9:10], null, 0xd2511f53, v0, 0
	v_mad_u64_u32 v[12:13], null, 0xcd9e8d57, v4, 0
	s_delay_alu instid0(VALU_DEP_2) | instskip(NEXT) | instid1(VALU_DEP_2)
	v_xor3_b32 v0, v34, v10, v17
	v_xor3_b32 v4, v13, v35, v11
	s_delay_alu instid0(VALU_DEP_2) | instskip(NEXT) | instid1(VALU_DEP_2)
	v_mad_u64_u32 v[10:11], null, 0xcd9e8d57, v0, 0
	v_mad_u64_u32 v[13:14], null, 0xd2511f53, v4, 0
	s_delay_alu instid0(VALU_DEP_2) | instskip(NEXT) | instid1(VALU_DEP_2)
	v_xor3_b32 v4, v37, v11, v12
	v_xor3_b32 v0, v14, v36, v9
	s_delay_alu instid0(VALU_DEP_2) | instskip(NEXT) | instid1(VALU_DEP_2)
	v_mad_u64_u32 v[14:15], null, 0xd2511f53, v4, 0
	v_mad_u64_u32 v[11:12], null, 0xcd9e8d57, v0, 0
	v_div_fmas_f64 v[2:3], v[2:3], v[5:6], v[7:8]
	s_delay_alu instid0(VALU_DEP_3) | instskip(NEXT) | instid1(VALU_DEP_3)
	v_xor3_b32 v8, v39, v15, v13
	v_xor3_b32 v0, v12, v38, v10
	s_delay_alu instid0(VALU_DEP_2) | instskip(NEXT) | instid1(VALU_DEP_2)
	v_mad_u64_u32 v[6:7], null, 0xcd9e8d57, v8, 0
	v_mad_u64_u32 v[4:5], null, 0xd2511f53, v0, 0
	s_delay_alu instid0(VALU_DEP_1) | instskip(NEXT) | instid1(VALU_DEP_3)
	v_xor3_b32 v0, v5, v40, v14
	v_xor3_b32 v5, v41, v7, v11
	s_delay_alu instid0(VALU_DEP_2) | instskip(NEXT) | instid1(VALU_DEP_2)
	v_mad_u64_u32 v[7:8], null, 0xcd9e8d57, v0, 0
	v_mad_u64_u32 v[9:10], null, 0xd2511f53, v5, 0
	s_delay_alu instid0(VALU_DEP_2) | instskip(NEXT) | instid1(VALU_DEP_2)
	v_xor3_b32 v0, v8, v42, v6
	v_xor3_b32 v6, v43, v10, v4
	s_delay_alu instid0(VALU_DEP_2) | instskip(SKIP_1) | instid1(VALU_DEP_3)
	v_mad_u64_u32 v[4:5], null, 0xd2511f53, v0, 0
	v_div_fixup_f64 v[22:23], v[2:3], s[4:5], 1.0
	v_mad_u64_u32 v[2:3], null, 0xcd9e8d57, v6, 0
	s_delay_alu instid0(VALU_DEP_3) | instskip(NEXT) | instid1(VALU_DEP_1)
	v_xor3_b32 v0, v5, v44, v9
	v_mad_u64_u32 v[9:10], null, 0xcd9e8d57, v0, 0
	s_delay_alu instid0(VALU_DEP_3) | instskip(NEXT) | instid1(VALU_DEP_1)
	v_xor3_b32 v3, v45, v3, v7
	v_mad_u64_u32 v[5:6], null, 0xd2511f53, v3, 0
	s_delay_alu instid0(VALU_DEP_1) | instskip(NEXT) | instid1(VALU_DEP_1)
	v_dual_mov_b32 v11, v5 :: v_dual_add_nc_u32 v46, 0x8ff34781, v19
	v_xor3_b32 v8, v2, v10, v46
	s_delay_alu instid0(VALU_DEP_3)
	v_xor3_b32 v10, v6, v4, v47
                                        ; implicit-def: $vgpr0_vgpr1_vgpr2_vgpr3_vgpr4_vgpr5_vgpr6_vgpr7
	s_branch .LBB5_5
.LBB5_4:                                ;   in Loop: Header=BB5_5 Depth=1
	s_or_b32 exec_lo, exec_lo, s1
	v_mov_b32_e32 v15, v26
	v_dual_mov_b32 v8, v12 :: v_dual_add_nc_u32 v21, s18, v17
	v_dual_mov_b32 v9, v13 :: v_dual_mov_b32 v10, v14
	s_delay_alu instid0(VALU_DEP_3) | instskip(NEXT) | instid1(VALU_DEP_3)
	v_mov_b32_e32 v11, v15
	v_cmp_le_u32_e32 vcc_lo, s20, v21
	s_waitcnt vmcnt(0)
	s_waitcnt_vscnt null, 0x0
	s_barrier
	buffer_gl0_inv
	s_or_b32 s13, vcc_lo, s13
	s_delay_alu instid0(SALU_CYCLE_1)
	s_and_not1_b32 exec_lo, exec_lo, s13
	s_cbranch_execz .LBB5_43
.LBB5_5:                                ; =>This Loop Header: Depth=1
                                        ;     Child Loop BB5_18 Depth 2
                                        ;     Child Loop BB5_23 Depth 2
	;; [unrolled: 1-line block ×4, first 2 shown]
	v_add_co_u32 v28, vcc_lo, v28, 1
	s_delay_alu instid0(VALU_DEP_1) | instskip(SKIP_2) | instid1(VALU_DEP_1)
	v_cndmask_b32_e64 v12, 0, 1, vcc_lo
	v_add_co_ci_u32_e32 v29, vcc_lo, 0, v29, vcc_lo
	s_mov_b32 s0, exec_lo
	v_cmp_eq_u32_e32 vcc_lo, 0, v29
	s_delay_alu instid0(VALU_DEP_3) | instskip(NEXT) | instid1(VALU_DEP_1)
	v_cndmask_b32_e32 v12, 0, v12, vcc_lo
	v_add_nc_u32_e32 v49, v12, v49
	s_delay_alu instid0(VALU_DEP_1) | instskip(SKIP_2) | instid1(VALU_DEP_2)
	v_cmp_eq_u32_e32 vcc_lo, 0, v49
	v_cndmask_b32_e32 v12, 0, v12, vcc_lo
	v_mad_u64_u32 v[14:15], null, 0xcd9e8d57, v49, 0
	v_add_nc_u32_e32 v50, v12, v50
	v_mad_u64_u32 v[12:13], null, 0xd2511f53, v28, 0
	s_delay_alu instid0(VALU_DEP_3) | instskip(NEXT) | instid1(VALU_DEP_2)
	v_xor3_b32 v17, v15, v19, v29
	v_xor_b32_e32 v13, v13, v20
	s_delay_alu instid0(VALU_DEP_2) | instskip(NEXT) | instid1(VALU_DEP_2)
	v_mad_u64_u32 v[15:16], null, 0xd2511f53, v17, 0
	v_xor_b32_e32 v13, v50, v13
	s_delay_alu instid0(VALU_DEP_2) | instskip(NEXT) | instid1(VALU_DEP_2)
	v_xor3_b32 v16, v30, v16, v12
	v_mad_u64_u32 v[17:18], null, 0xcd9e8d57, v13, 0
	s_delay_alu instid0(VALU_DEP_2) | instskip(NEXT) | instid1(VALU_DEP_2)
	v_mad_u64_u32 v[12:13], null, 0xcd9e8d57, v16, 0
	v_xor3_b32 v14, v31, v18, v14
	s_delay_alu instid0(VALU_DEP_2) | instskip(NEXT) | instid1(VALU_DEP_2)
	v_xor3_b32 v16, v32, v13, v17
	v_mad_u64_u32 v[25:26], null, 0xd2511f53, v14, 0
	s_delay_alu instid0(VALU_DEP_2) | instskip(NEXT) | instid1(VALU_DEP_2)
	v_mad_u64_u32 v[13:14], null, 0xd2511f53, v16, 0
	v_xor3_b32 v17, v33, v26, v15
	s_delay_alu instid0(VALU_DEP_2) | instskip(NEXT) | instid1(VALU_DEP_2)
	v_xor3_b32 v14, v34, v14, v25
	v_mad_u64_u32 v[15:16], null, 0xcd9e8d57, v17, 0
	s_delay_alu instid0(VALU_DEP_1) | instskip(NEXT) | instid1(VALU_DEP_3)
	v_xor3_b32 v12, v35, v16, v12
	v_mad_u64_u32 v[16:17], null, 0xcd9e8d57, v14, 0
	s_delay_alu instid0(VALU_DEP_2) | instskip(NEXT) | instid1(VALU_DEP_2)
	v_mad_u64_u32 v[25:26], null, 0xd2511f53, v12, 0
	v_xor3_b32 v14, v37, v17, v15
	s_delay_alu instid0(VALU_DEP_2) | instskip(NEXT) | instid1(VALU_DEP_2)
	v_xor3_b32 v17, v36, v26, v13
	v_mad_u64_u32 v[12:13], null, 0xd2511f53, v14, 0
	s_delay_alu instid0(VALU_DEP_2) | instskip(NEXT) | instid1(VALU_DEP_2)
	v_mad_u64_u32 v[14:15], null, 0xcd9e8d57, v17, 0
	v_xor3_b32 v13, v39, v13, v25
	s_delay_alu instid0(VALU_DEP_2) | instskip(NEXT) | instid1(VALU_DEP_2)
	;; [unrolled: 6-line block ×6, first 2 shown]
	v_xor3_b32 v12, v14, v15, v46
	v_mov_b32_e32 v14, v18
	v_cmpx_lt_i32_e32 1, v48
	s_xor_b32 s0, exec_lo, s0
	s_cbranch_execnz .LBB5_8
; %bb.6:                                ;   in Loop: Header=BB5_5 Depth=1
	s_and_not1_saveexec_b32 s0, s0
	s_cbranch_execnz .LBB5_13
.LBB5_7:                                ;   in Loop: Header=BB5_5 Depth=1
	s_or_b32 exec_lo, exec_lo, s0
	v_cmp_gt_u32_e64 s0, s19, v21
	s_delay_alu instid0(VALU_DEP_1)
	s_and_saveexec_b32 s1, s0
	s_cbranch_execnz .LBB5_16
	s_branch .LBB5_20
.LBB5_8:                                ;   in Loop: Header=BB5_5 Depth=1
	s_mov_b32 s1, exec_lo
	v_cmpx_lt_i32_e32 2, v48
	s_xor_b32 s1, exec_lo, s1
; %bb.9:                                ;   in Loop: Header=BB5_5 Depth=1
	v_dual_mov_b32 v15, v11 :: v_dual_mov_b32 v16, v12
	v_mov_b32_e32 v17, v13
	s_delay_alu instid0(VALU_DEP_2) | instskip(NEXT) | instid1(VALU_DEP_2)
	v_dual_mov_b32 v8, v15 :: v_dual_mov_b32 v9, v16
	v_dual_mov_b32 v10, v17 :: v_dual_mov_b32 v11, v18
; %bb.10:                               ;   in Loop: Header=BB5_5 Depth=1
	s_and_not1_saveexec_b32 s1, s1
; %bb.11:                               ;   in Loop: Header=BB5_5 Depth=1
	s_delay_alu instid0(VALU_DEP_1)
	v_dual_mov_b32 v8, v10 :: v_dual_mov_b32 v9, v11
	v_dual_mov_b32 v10, v12 :: v_dual_mov_b32 v11, v13
; %bb.12:                               ;   in Loop: Header=BB5_5 Depth=1
	s_or_b32 exec_lo, exec_lo, s1
	s_and_not1_saveexec_b32 s0, s0
	s_cbranch_execz .LBB5_7
.LBB5_13:                               ;   in Loop: Header=BB5_5 Depth=1
	s_mov_b32 s1, exec_lo
	v_cmpx_eq_u32_e32 1, v48
; %bb.14:                               ;   in Loop: Header=BB5_5 Depth=1
	v_dual_mov_b32 v8, v9 :: v_dual_mov_b32 v9, v10
	v_dual_mov_b32 v10, v11 :: v_dual_mov_b32 v11, v12
; %bb.15:                               ;   in Loop: Header=BB5_5 Depth=1
	s_or_b32 exec_lo, exec_lo, s1
	s_delay_alu instid0(SALU_CYCLE_1) | instskip(SKIP_1) | instid1(VALU_DEP_1)
	s_or_b32 exec_lo, exec_lo, s0
	v_cmp_gt_u32_e64 s0, s19, v21
	s_and_saveexec_b32 s1, s0
	s_cbranch_execz .LBB5_20
.LBB5_16:                               ;   in Loop: Header=BB5_5 Depth=1
	v_dual_mov_b32 v0, 0 :: v_dual_mov_b32 v1, v21
	s_and_not1_b32 vcc_lo, exec_lo, s23
	s_cbranch_vccnz .LBB5_19
; %bb.17:                               ;   in Loop: Header=BB5_5 Depth=1
	v_dual_mov_b32 v0, 0 :: v_dual_mov_b32 v1, v21
	s_mov_b64 s[2:3], s[14:15]
	s_mov_b32 s16, s12
	s_set_inst_prefetch_distance 0x1
	.p2align	6
.LBB5_18:                               ;   Parent Loop BB5_5 Depth=1
                                        ; =>  This Inner Loop Header: Depth=2
	s_clause 0x1
	s_load_b32 s17, s[2:3], 0x0
	s_load_b32 s24, s[2:3], 0x64
	v_mov_b32_e32 v17, v1
	s_add_i32 s16, s16, -1
	s_waitcnt lgkmcnt(0)
	v_cvt_f32_u32_e32 v15, s17
	s_sub_i32 s25, 0, s17
	s_add_u32 s2, s2, -4
	s_addc_u32 s3, s3, -1
	s_cmp_gt_u32 s16, 2
	v_rcp_iflag_f32_e32 v15, v15
	s_waitcnt_depctr 0xfff
	v_mul_f32_e32 v15, 0x4f7ffffe, v15
	s_delay_alu instid0(VALU_DEP_1) | instskip(NEXT) | instid1(VALU_DEP_1)
	v_cvt_u32_f32_e32 v15, v15
	v_mul_lo_u32 v16, s25, v15
	s_delay_alu instid0(VALU_DEP_1) | instskip(NEXT) | instid1(VALU_DEP_1)
	v_mul_hi_u32 v16, v15, v16
	v_add_nc_u32_e32 v1, v15, v16
	s_delay_alu instid0(VALU_DEP_1) | instskip(NEXT) | instid1(VALU_DEP_1)
	v_mul_hi_u32 v1, v17, v1
	v_add_nc_u32_e32 v16, 1, v1
	v_mul_lo_u32 v15, v1, s17
	s_delay_alu instid0(VALU_DEP_1) | instskip(NEXT) | instid1(VALU_DEP_1)
	v_sub_nc_u32_e32 v15, v17, v15
	v_subrev_nc_u32_e32 v18, s17, v15
	v_cmp_le_u32_e32 vcc_lo, s17, v15
	v_cndmask_b32_e32 v1, v1, v16, vcc_lo
	s_delay_alu instid0(VALU_DEP_1) | instskip(NEXT) | instid1(VALU_DEP_1)
	v_dual_cndmask_b32 v15, v15, v18 :: v_dual_add_nc_u32 v16, 1, v1
	v_cmp_le_u32_e32 vcc_lo, s17, v15
	s_delay_alu instid0(VALU_DEP_2) | instskip(NEXT) | instid1(VALU_DEP_1)
	v_cndmask_b32_e32 v1, v1, v16, vcc_lo
	v_mul_lo_u32 v15, v1, s17
	s_delay_alu instid0(VALU_DEP_1) | instskip(NEXT) | instid1(VALU_DEP_1)
	v_sub_nc_u32_e32 v17, v17, v15
	v_mad_u64_u32 v[15:16], null, s24, v17, v[0:1]
	s_delay_alu instid0(VALU_DEP_1)
	v_mov_b32_e32 v0, v15
	s_cbranch_scc1 .LBB5_18
.LBB5_19:                               ;   in Loop: Header=BB5_5 Depth=1
	s_set_inst_prefetch_distance 0x2
	s_delay_alu instid0(VALU_DEP_1) | instskip(SKIP_1) | instid1(VALU_DEP_1)
	v_mad_u64_u32 v[15:16], null, s22, v1, v[0:1]
	v_mov_b32_e32 v16, v24
	v_lshlrev_b64 v[0:1], 3, v[15:16]
	s_delay_alu instid0(VALU_DEP_1) | instskip(NEXT) | instid1(VALU_DEP_2)
	v_add_co_u32 v0, vcc_lo, s10, v0
	v_add_co_ci_u32_e32 v1, vcc_lo, s11, v1, vcc_lo
	global_load_b64 v[0:1], v[0:1], off
.LBB5_20:                               ;   in Loop: Header=BB5_5 Depth=1
	s_or_b32 exec_lo, exec_lo, s1
	v_add_nc_u32_e32 v15, s18, v21
	s_delay_alu instid0(VALU_DEP_1) | instskip(NEXT) | instid1(VALU_DEP_1)
	v_cmp_gt_u32_e64 s1, s19, v15
	s_and_saveexec_b32 s16, s1
	s_cbranch_execz .LBB5_25
; %bb.21:                               ;   in Loop: Header=BB5_5 Depth=1
	v_dual_mov_b32 v2, 0 :: v_dual_mov_b32 v3, v15
	s_and_not1_b32 vcc_lo, exec_lo, s23
	s_cbranch_vccnz .LBB5_24
; %bb.22:                               ;   in Loop: Header=BB5_5 Depth=1
	v_dual_mov_b32 v2, 0 :: v_dual_mov_b32 v3, v15
	s_mov_b64 s[2:3], s[14:15]
	s_mov_b32 s17, s12
	s_set_inst_prefetch_distance 0x1
	.p2align	6
.LBB5_23:                               ;   Parent Loop BB5_5 Depth=1
                                        ; =>  This Inner Loop Header: Depth=2
	s_clause 0x1
	s_load_b32 s24, s[2:3], 0x0
	s_load_b32 s25, s[2:3], 0x64
	s_add_i32 s17, s17, -1
	s_waitcnt lgkmcnt(0)
	v_cvt_f32_u32_e32 v16, s24
	s_sub_i32 s26, 0, s24
	s_add_u32 s2, s2, -4
	s_addc_u32 s3, s3, -1
	s_cmp_gt_u32 s17, 2
	v_rcp_iflag_f32_e32 v16, v16
	s_waitcnt_depctr 0xfff
	v_mul_f32_e32 v16, 0x4f7ffffe, v16
	s_delay_alu instid0(VALU_DEP_1) | instskip(NEXT) | instid1(VALU_DEP_1)
	v_cvt_u32_f32_e32 v16, v16
	v_mul_lo_u32 v17, s26, v16
	s_delay_alu instid0(VALU_DEP_1) | instskip(NEXT) | instid1(VALU_DEP_1)
	v_mul_hi_u32 v17, v16, v17
	v_dual_mov_b32 v18, v3 :: v_dual_add_nc_u32 v3, v16, v17
	s_delay_alu instid0(VALU_DEP_1) | instskip(NEXT) | instid1(VALU_DEP_1)
	v_mul_hi_u32 v3, v18, v3
	v_mul_lo_u32 v16, v3, s24
	v_add_nc_u32_e32 v17, 1, v3
	s_delay_alu instid0(VALU_DEP_2) | instskip(NEXT) | instid1(VALU_DEP_1)
	v_sub_nc_u32_e32 v16, v18, v16
	v_subrev_nc_u32_e32 v25, s24, v16
	v_cmp_le_u32_e32 vcc_lo, s24, v16
	s_delay_alu instid0(VALU_DEP_4) | instskip(NEXT) | instid1(VALU_DEP_1)
	v_cndmask_b32_e32 v3, v3, v17, vcc_lo
	v_dual_cndmask_b32 v16, v16, v25 :: v_dual_add_nc_u32 v17, 1, v3
	s_delay_alu instid0(VALU_DEP_1) | instskip(NEXT) | instid1(VALU_DEP_2)
	v_cmp_le_u32_e32 vcc_lo, s24, v16
	v_cndmask_b32_e32 v3, v3, v17, vcc_lo
	s_delay_alu instid0(VALU_DEP_1) | instskip(NEXT) | instid1(VALU_DEP_1)
	v_mul_lo_u32 v16, v3, s24
	v_sub_nc_u32_e32 v18, v18, v16
	s_delay_alu instid0(VALU_DEP_1) | instskip(NEXT) | instid1(VALU_DEP_1)
	v_mad_u64_u32 v[16:17], null, s25, v18, v[2:3]
	v_mov_b32_e32 v2, v16
	s_cbranch_scc1 .LBB5_23
.LBB5_24:                               ;   in Loop: Header=BB5_5 Depth=1
	s_set_inst_prefetch_distance 0x2
	s_delay_alu instid0(VALU_DEP_1) | instskip(SKIP_1) | instid1(VALU_DEP_1)
	v_mad_u64_u32 v[16:17], null, s22, v3, v[2:3]
	v_mov_b32_e32 v17, v24
	v_lshlrev_b64 v[2:3], 3, v[16:17]
	s_delay_alu instid0(VALU_DEP_1) | instskip(NEXT) | instid1(VALU_DEP_2)
	v_add_co_u32 v2, vcc_lo, s10, v2
	v_add_co_ci_u32_e32 v3, vcc_lo, s11, v3, vcc_lo
	global_load_b64 v[2:3], v[2:3], off
.LBB5_25:                               ;   in Loop: Header=BB5_5 Depth=1
	s_or_b32 exec_lo, exec_lo, s16
	v_add_nc_u32_e32 v16, s18, v15
	s_delay_alu instid0(VALU_DEP_1) | instskip(NEXT) | instid1(VALU_DEP_1)
	v_cmp_gt_u32_e64 s2, s19, v16
	s_and_saveexec_b32 s3, s2
	s_cbranch_execz .LBB5_30
; %bb.26:                               ;   in Loop: Header=BB5_5 Depth=1
	v_dual_mov_b32 v4, 0 :: v_dual_mov_b32 v5, v16
	s_and_not1_b32 vcc_lo, exec_lo, s23
	s_cbranch_vccnz .LBB5_29
; %bb.27:                               ;   in Loop: Header=BB5_5 Depth=1
	v_dual_mov_b32 v4, 0 :: v_dual_mov_b32 v5, v16
	s_mov_b64 s[16:17], s[14:15]
	s_mov_b32 s24, s12
	s_set_inst_prefetch_distance 0x1
	.p2align	6
.LBB5_28:                               ;   Parent Loop BB5_5 Depth=1
                                        ; =>  This Inner Loop Header: Depth=2
	s_clause 0x1
	s_load_b32 s25, s[16:17], 0x0
	s_load_b32 s26, s[16:17], 0x64
	v_mov_b32_e32 v25, v5
	s_add_i32 s24, s24, -1
	s_waitcnt lgkmcnt(0)
	v_cvt_f32_u32_e32 v17, s25
	s_sub_i32 s27, 0, s25
	s_add_u32 s16, s16, -4
	s_addc_u32 s17, s17, -1
	s_cmp_gt_u32 s24, 2
	v_rcp_iflag_f32_e32 v17, v17
	s_waitcnt_depctr 0xfff
	v_mul_f32_e32 v17, 0x4f7ffffe, v17
	s_delay_alu instid0(VALU_DEP_1) | instskip(NEXT) | instid1(VALU_DEP_1)
	v_cvt_u32_f32_e32 v17, v17
	v_mul_lo_u32 v18, s27, v17
	s_delay_alu instid0(VALU_DEP_1) | instskip(NEXT) | instid1(VALU_DEP_1)
	v_mul_hi_u32 v18, v17, v18
	v_add_nc_u32_e32 v5, v17, v18
	s_delay_alu instid0(VALU_DEP_1) | instskip(NEXT) | instid1(VALU_DEP_1)
	v_mul_hi_u32 v5, v25, v5
	v_add_nc_u32_e32 v18, 1, v5
	v_mul_lo_u32 v17, v5, s25
	s_delay_alu instid0(VALU_DEP_1) | instskip(NEXT) | instid1(VALU_DEP_1)
	v_sub_nc_u32_e32 v17, v25, v17
	v_subrev_nc_u32_e32 v27, s25, v17
	v_cmp_le_u32_e32 vcc_lo, s25, v17
	v_cndmask_b32_e32 v5, v5, v18, vcc_lo
	s_delay_alu instid0(VALU_DEP_1) | instskip(NEXT) | instid1(VALU_DEP_1)
	v_dual_cndmask_b32 v17, v17, v27 :: v_dual_add_nc_u32 v18, 1, v5
	v_cmp_le_u32_e32 vcc_lo, s25, v17
	s_delay_alu instid0(VALU_DEP_2) | instskip(NEXT) | instid1(VALU_DEP_1)
	v_cndmask_b32_e32 v5, v5, v18, vcc_lo
	v_mul_lo_u32 v17, v5, s25
	s_delay_alu instid0(VALU_DEP_1) | instskip(NEXT) | instid1(VALU_DEP_1)
	v_sub_nc_u32_e32 v25, v25, v17
	v_mad_u64_u32 v[17:18], null, s26, v25, v[4:5]
	s_delay_alu instid0(VALU_DEP_1)
	v_mov_b32_e32 v4, v17
	s_cbranch_scc1 .LBB5_28
.LBB5_29:                               ;   in Loop: Header=BB5_5 Depth=1
	s_set_inst_prefetch_distance 0x2
	s_delay_alu instid0(VALU_DEP_1) | instskip(SKIP_1) | instid1(VALU_DEP_1)
	v_mad_u64_u32 v[17:18], null, s22, v5, v[4:5]
	v_mov_b32_e32 v18, v24
	v_lshlrev_b64 v[4:5], 3, v[17:18]
	s_delay_alu instid0(VALU_DEP_1) | instskip(NEXT) | instid1(VALU_DEP_2)
	v_add_co_u32 v4, vcc_lo, s10, v4
	v_add_co_ci_u32_e32 v5, vcc_lo, s11, v5, vcc_lo
	global_load_b64 v[4:5], v[4:5], off
.LBB5_30:                               ;   in Loop: Header=BB5_5 Depth=1
	s_or_b32 exec_lo, exec_lo, s3
	v_add_nc_u32_e32 v17, s18, v16
	s_delay_alu instid0(VALU_DEP_1) | instskip(NEXT) | instid1(VALU_DEP_1)
	v_cmp_gt_u32_e64 s3, s19, v17
	s_and_saveexec_b32 s24, s3
	s_cbranch_execnz .LBB5_35
; %bb.31:                               ;   in Loop: Header=BB5_5 Depth=1
	s_or_b32 exec_lo, exec_lo, s24
	s_and_saveexec_b32 s16, s0
	s_cbranch_execnz .LBB5_39
.LBB5_32:                               ;   in Loop: Header=BB5_5 Depth=1
	s_or_b32 exec_lo, exec_lo, s16
	s_and_saveexec_b32 s16, s1
	s_cbranch_execnz .LBB5_40
.LBB5_33:                               ;   in Loop: Header=BB5_5 Depth=1
	s_or_b32 exec_lo, exec_lo, s16
	s_and_saveexec_b32 s1, s2
	s_cbranch_execnz .LBB5_41
.LBB5_34:                               ;   in Loop: Header=BB5_5 Depth=1
	s_or_b32 exec_lo, exec_lo, s1
	s_and_saveexec_b32 s1, s3
	s_cbranch_execz .LBB5_4
	s_branch .LBB5_42
.LBB5_35:                               ;   in Loop: Header=BB5_5 Depth=1
	v_dual_mov_b32 v6, 0 :: v_dual_mov_b32 v7, v17
	s_and_not1_b32 vcc_lo, exec_lo, s23
	s_cbranch_vccnz .LBB5_38
; %bb.36:                               ;   in Loop: Header=BB5_5 Depth=1
	v_dual_mov_b32 v6, 0 :: v_dual_mov_b32 v7, v17
	s_mov_b64 s[16:17], s[14:15]
	s_mov_b32 s25, s12
	s_set_inst_prefetch_distance 0x1
	.p2align	6
.LBB5_37:                               ;   Parent Loop BB5_5 Depth=1
                                        ; =>  This Inner Loop Header: Depth=2
	s_clause 0x1
	s_load_b32 s26, s[16:17], 0x0
	s_load_b32 s27, s[16:17], 0x64
	s_add_i32 s25, s25, -1
	v_mov_b32_e32 v27, v7
	s_waitcnt lgkmcnt(0)
	v_cvt_f32_u32_e32 v18, s26
	s_sub_i32 s28, 0, s26
	s_add_u32 s16, s16, -4
	s_addc_u32 s17, s17, -1
	s_cmp_gt_u32 s25, 2
	v_rcp_iflag_f32_e32 v18, v18
	s_waitcnt_depctr 0xfff
	v_mul_f32_e32 v18, 0x4f7ffffe, v18
	s_delay_alu instid0(VALU_DEP_1) | instskip(NEXT) | instid1(VALU_DEP_1)
	v_cvt_u32_f32_e32 v18, v18
	v_mul_lo_u32 v25, s28, v18
	s_delay_alu instid0(VALU_DEP_1) | instskip(NEXT) | instid1(VALU_DEP_1)
	v_mul_hi_u32 v25, v18, v25
	v_add_nc_u32_e32 v7, v18, v25
	s_delay_alu instid0(VALU_DEP_1) | instskip(NEXT) | instid1(VALU_DEP_1)
	v_mul_hi_u32 v7, v27, v7
	v_mul_lo_u32 v18, v7, s26
	v_add_nc_u32_e32 v25, 1, v7
	s_delay_alu instid0(VALU_DEP_2) | instskip(NEXT) | instid1(VALU_DEP_1)
	v_sub_nc_u32_e32 v18, v27, v18
	v_subrev_nc_u32_e32 v51, s26, v18
	v_cmp_le_u32_e32 vcc_lo, s26, v18
	s_delay_alu instid0(VALU_DEP_2) | instskip(NEXT) | instid1(VALU_DEP_1)
	v_dual_cndmask_b32 v7, v7, v25 :: v_dual_cndmask_b32 v18, v18, v51
	v_add_nc_u32_e32 v25, 1, v7
	s_delay_alu instid0(VALU_DEP_2) | instskip(NEXT) | instid1(VALU_DEP_2)
	v_cmp_le_u32_e32 vcc_lo, s26, v18
	v_cndmask_b32_e32 v7, v7, v25, vcc_lo
	s_delay_alu instid0(VALU_DEP_1) | instskip(NEXT) | instid1(VALU_DEP_1)
	v_mul_lo_u32 v18, v7, s26
	v_sub_nc_u32_e32 v18, v27, v18
	s_delay_alu instid0(VALU_DEP_1) | instskip(NEXT) | instid1(VALU_DEP_1)
	v_mad_u64_u32 v[51:52], null, s27, v18, v[6:7]
	v_mov_b32_e32 v6, v51
	s_cbranch_scc1 .LBB5_37
.LBB5_38:                               ;   in Loop: Header=BB5_5 Depth=1
	s_set_inst_prefetch_distance 0x2
	s_delay_alu instid0(VALU_DEP_1) | instskip(SKIP_1) | instid1(VALU_DEP_1)
	v_mad_u64_u32 v[51:52], null, s22, v7, v[6:7]
	v_mov_b32_e32 v52, v24
	v_lshlrev_b64 v[6:7], 3, v[51:52]
	s_delay_alu instid0(VALU_DEP_1) | instskip(NEXT) | instid1(VALU_DEP_2)
	v_add_co_u32 v6, vcc_lo, s10, v6
	v_add_co_ci_u32_e32 v7, vcc_lo, s11, v7, vcc_lo
	global_load_b64 v[6:7], v[6:7], off
	s_or_b32 exec_lo, exec_lo, s24
	s_and_saveexec_b32 s16, s0
	s_cbranch_execz .LBB5_32
.LBB5_39:                               ;   in Loop: Header=BB5_5 Depth=1
	v_cvt_f32_u32_e32 v8, v8
	v_mul_lo_u32 v53, v21, s21
	v_mov_b32_e32 v54, v24
	s_delay_alu instid0(VALU_DEP_3) | instskip(NEXT) | instid1(VALU_DEP_2)
	v_fmaak_f32 v8, 0x2f800000, v8, 0x2f800000
	v_lshlrev_b64 v[54:55], 3, v[53:54]
	s_delay_alu instid0(VALU_DEP_2) | instskip(NEXT) | instid1(VALU_DEP_2)
	v_cvt_f64_f32_e32 v[51:52], v8
	v_add_co_u32 v54, s0, s6, v54
	s_delay_alu instid0(VALU_DEP_1) | instskip(NEXT) | instid1(VALU_DEP_3)
	v_add_co_ci_u32_e64 v55, s0, s7, v55, s0
	v_cmp_gt_f64_e32 vcc_lo, s[4:5], v[51:52]
	v_cndmask_b32_e64 v25, 0, 0x3ff00000, vcc_lo
	v_cndmask_b32_e64 v8, 0, 1, vcc_lo
	s_waitcnt vmcnt(0)
	s_delay_alu instid0(VALU_DEP_2) | instskip(NEXT) | instid1(VALU_DEP_1)
	v_mul_f64 v[51:52], v[0:1], v[24:25]
	v_mul_f64 v[51:52], v[22:23], v[51:52]
	global_store_b64 v[54:55], v[51:52], off
	global_store_b8 v53, v8, s[8:9]
	s_or_b32 exec_lo, exec_lo, s16
	s_and_saveexec_b32 s16, s1
	s_cbranch_execz .LBB5_33
.LBB5_40:                               ;   in Loop: Header=BB5_5 Depth=1
	v_cvt_f32_u32_e32 v8, v9
	v_mul_lo_u32 v51, v15, s21
	v_mov_b32_e32 v52, v24
	s_delay_alu instid0(VALU_DEP_3) | instskip(NEXT) | instid1(VALU_DEP_2)
	v_fmaak_f32 v8, 0x2f800000, v8, 0x2f800000
	v_lshlrev_b64 v[52:53], 3, v[51:52]
	s_delay_alu instid0(VALU_DEP_2) | instskip(NEXT) | instid1(VALU_DEP_2)
	v_cvt_f64_f32_e32 v[8:9], v8
	v_add_co_u32 v52, s0, s6, v52
	s_delay_alu instid0(VALU_DEP_1) | instskip(NEXT) | instid1(VALU_DEP_3)
	v_add_co_ci_u32_e64 v53, s0, s7, v53, s0
	v_cmp_gt_f64_e32 vcc_lo, s[4:5], v[8:9]
	v_cndmask_b32_e64 v25, 0, 0x3ff00000, vcc_lo
	v_cndmask_b32_e64 v15, 0, 1, vcc_lo
	s_waitcnt vmcnt(0)
	s_delay_alu instid0(VALU_DEP_2) | instskip(NEXT) | instid1(VALU_DEP_1)
	v_mul_f64 v[8:9], v[2:3], v[24:25]
	v_mul_f64 v[8:9], v[22:23], v[8:9]
	global_store_b64 v[52:53], v[8:9], off
	global_store_b8 v51, v15, s[8:9]
	s_or_b32 exec_lo, exec_lo, s16
	s_and_saveexec_b32 s1, s2
	s_cbranch_execz .LBB5_34
.LBB5_41:                               ;   in Loop: Header=BB5_5 Depth=1
	v_cvt_f32_u32_e32 v8, v10
	v_mul_lo_u32 v15, v16, s21
	v_mov_b32_e32 v16, v24
	s_delay_alu instid0(VALU_DEP_3) | instskip(NEXT) | instid1(VALU_DEP_2)
	v_fmaak_f32 v8, 0x2f800000, v8, 0x2f800000
	v_lshlrev_b64 v[51:52], 3, v[15:16]
	s_delay_alu instid0(VALU_DEP_2) | instskip(NEXT) | instid1(VALU_DEP_2)
	v_cvt_f64_f32_e32 v[8:9], v8
	v_add_co_u32 v51, s0, s6, v51
	s_delay_alu instid0(VALU_DEP_1) | instskip(NEXT) | instid1(VALU_DEP_3)
	v_add_co_ci_u32_e64 v52, s0, s7, v52, s0
	v_cmp_gt_f64_e32 vcc_lo, s[4:5], v[8:9]
	v_cndmask_b32_e64 v25, 0, 0x3ff00000, vcc_lo
	v_cndmask_b32_e64 v10, 0, 1, vcc_lo
	s_waitcnt vmcnt(0)
	s_delay_alu instid0(VALU_DEP_2) | instskip(NEXT) | instid1(VALU_DEP_1)
	v_mul_f64 v[8:9], v[4:5], v[24:25]
	v_mul_f64 v[8:9], v[22:23], v[8:9]
	global_store_b64 v[51:52], v[8:9], off
	global_store_b8 v15, v10, s[8:9]
	s_or_b32 exec_lo, exec_lo, s1
	s_and_saveexec_b32 s1, s3
	s_cbranch_execz .LBB5_4
.LBB5_42:                               ;   in Loop: Header=BB5_5 Depth=1
	v_cvt_f32_u32_e32 v8, v11
	v_mul_lo_u32 v10, v17, s21
	s_delay_alu instid0(VALU_DEP_2) | instskip(NEXT) | instid1(VALU_DEP_1)
	v_dual_mov_b32 v11, v24 :: v_dual_fmaak_f32 v8, 0x2f800000, v8, 0x2f800000
	v_lshlrev_b64 v[15:16], 3, v[10:11]
	s_delay_alu instid0(VALU_DEP_2) | instskip(NEXT) | instid1(VALU_DEP_2)
	v_cvt_f64_f32_e32 v[8:9], v8
	v_add_co_u32 v15, s0, s6, v15
	s_delay_alu instid0(VALU_DEP_1) | instskip(NEXT) | instid1(VALU_DEP_3)
	v_add_co_ci_u32_e64 v16, s0, s7, v16, s0
	v_cmp_gt_f64_e32 vcc_lo, s[4:5], v[8:9]
	v_cndmask_b32_e64 v25, 0, 0x3ff00000, vcc_lo
	v_cndmask_b32_e64 v11, 0, 1, vcc_lo
	s_waitcnt vmcnt(0)
	s_delay_alu instid0(VALU_DEP_2) | instskip(NEXT) | instid1(VALU_DEP_1)
	v_mul_f64 v[8:9], v[6:7], v[24:25]
	v_mul_f64 v[8:9], v[22:23], v[8:9]
	global_store_b64 v[15:16], v[8:9], off
	global_store_b8 v10, v11, s[8:9]
	s_branch .LBB5_4
.LBB5_43:
	s_endpgm
	.section	.rodata,"a",@progbits
	.p2align	6, 0x0
	.amdhsa_kernel _ZN2at6native12_GLOBAL__N_120fused_dropout_kernelIddjLin1ELi1EbEEvNS_4cuda6detail10TensorInfoIKT_T1_EENS5_IS6_S8_EENS5_IT4_S8_EES8_T0_NS_15PhiloxCudaStateE
		.amdhsa_group_segment_fixed_size 0
		.amdhsa_private_segment_fixed_size 0
		.amdhsa_kernarg_size 952
		.amdhsa_user_sgpr_count 15
		.amdhsa_user_sgpr_dispatch_ptr 0
		.amdhsa_user_sgpr_queue_ptr 0
		.amdhsa_user_sgpr_kernarg_segment_ptr 1
		.amdhsa_user_sgpr_dispatch_id 0
		.amdhsa_user_sgpr_private_segment_size 0
		.amdhsa_wavefront_size32 1
		.amdhsa_uses_dynamic_stack 0
		.amdhsa_enable_private_segment 0
		.amdhsa_system_sgpr_workgroup_id_x 1
		.amdhsa_system_sgpr_workgroup_id_y 0
		.amdhsa_system_sgpr_workgroup_id_z 0
		.amdhsa_system_sgpr_workgroup_info 0
		.amdhsa_system_vgpr_workitem_id 0
		.amdhsa_next_free_vgpr 56
		.amdhsa_next_free_sgpr 29
		.amdhsa_reserve_vcc 1
		.amdhsa_float_round_mode_32 0
		.amdhsa_float_round_mode_16_64 0
		.amdhsa_float_denorm_mode_32 3
		.amdhsa_float_denorm_mode_16_64 3
		.amdhsa_dx10_clamp 1
		.amdhsa_ieee_mode 1
		.amdhsa_fp16_overflow 0
		.amdhsa_workgroup_processor_mode 1
		.amdhsa_memory_ordered 1
		.amdhsa_forward_progress 0
		.amdhsa_shared_vgpr_count 0
		.amdhsa_exception_fp_ieee_invalid_op 0
		.amdhsa_exception_fp_denorm_src 0
		.amdhsa_exception_fp_ieee_div_zero 0
		.amdhsa_exception_fp_ieee_overflow 0
		.amdhsa_exception_fp_ieee_underflow 0
		.amdhsa_exception_fp_ieee_inexact 0
		.amdhsa_exception_int_div_zero 0
	.end_amdhsa_kernel
	.section	.text._ZN2at6native12_GLOBAL__N_120fused_dropout_kernelIddjLin1ELi1EbEEvNS_4cuda6detail10TensorInfoIKT_T1_EENS5_IS6_S8_EENS5_IT4_S8_EES8_T0_NS_15PhiloxCudaStateE,"axG",@progbits,_ZN2at6native12_GLOBAL__N_120fused_dropout_kernelIddjLin1ELi1EbEEvNS_4cuda6detail10TensorInfoIKT_T1_EENS5_IS6_S8_EENS5_IT4_S8_EES8_T0_NS_15PhiloxCudaStateE,comdat
.Lfunc_end5:
	.size	_ZN2at6native12_GLOBAL__N_120fused_dropout_kernelIddjLin1ELi1EbEEvNS_4cuda6detail10TensorInfoIKT_T1_EENS5_IS6_S8_EENS5_IT4_S8_EES8_T0_NS_15PhiloxCudaStateE, .Lfunc_end5-_ZN2at6native12_GLOBAL__N_120fused_dropout_kernelIddjLin1ELi1EbEEvNS_4cuda6detail10TensorInfoIKT_T1_EENS5_IS6_S8_EENS5_IT4_S8_EES8_T0_NS_15PhiloxCudaStateE
                                        ; -- End function
	.section	.AMDGPU.csdata,"",@progbits
; Kernel info:
; codeLenInByte = 3896
; NumSgprs: 31
; NumVgprs: 56
; ScratchSize: 0
; MemoryBound: 0
; FloatMode: 240
; IeeeMode: 1
; LDSByteSize: 0 bytes/workgroup (compile time only)
; SGPRBlocks: 3
; VGPRBlocks: 6
; NumSGPRsForWavesPerEU: 31
; NumVGPRsForWavesPerEU: 56
; Occupancy: 16
; WaveLimiterHint : 1
; COMPUTE_PGM_RSRC2:SCRATCH_EN: 0
; COMPUTE_PGM_RSRC2:USER_SGPR: 15
; COMPUTE_PGM_RSRC2:TRAP_HANDLER: 0
; COMPUTE_PGM_RSRC2:TGID_X_EN: 1
; COMPUTE_PGM_RSRC2:TGID_Y_EN: 0
; COMPUTE_PGM_RSRC2:TGID_Z_EN: 0
; COMPUTE_PGM_RSRC2:TIDIG_COMP_CNT: 0
	.section	.text._ZN2at6native12_GLOBAL__N_120fused_dropout_kernelIddjLin1ELin1EbEEvNS_4cuda6detail10TensorInfoIKT_T1_EENS5_IS6_S8_EENS5_IT4_S8_EES8_T0_NS_15PhiloxCudaStateE,"axG",@progbits,_ZN2at6native12_GLOBAL__N_120fused_dropout_kernelIddjLin1ELin1EbEEvNS_4cuda6detail10TensorInfoIKT_T1_EENS5_IS6_S8_EENS5_IT4_S8_EES8_T0_NS_15PhiloxCudaStateE,comdat
	.globl	_ZN2at6native12_GLOBAL__N_120fused_dropout_kernelIddjLin1ELin1EbEEvNS_4cuda6detail10TensorInfoIKT_T1_EENS5_IS6_S8_EENS5_IT4_S8_EES8_T0_NS_15PhiloxCudaStateE ; -- Begin function _ZN2at6native12_GLOBAL__N_120fused_dropout_kernelIddjLin1ELin1EbEEvNS_4cuda6detail10TensorInfoIKT_T1_EENS5_IS6_S8_EENS5_IT4_S8_EES8_T0_NS_15PhiloxCudaStateE
	.p2align	8
	.type	_ZN2at6native12_GLOBAL__N_120fused_dropout_kernelIddjLin1ELin1EbEEvNS_4cuda6detail10TensorInfoIKT_T1_EENS5_IS6_S8_EENS5_IT4_S8_EES8_T0_NS_15PhiloxCudaStateE,@function
_ZN2at6native12_GLOBAL__N_120fused_dropout_kernelIddjLin1ELin1EbEEvNS_4cuda6detail10TensorInfoIKT_T1_EENS5_IS6_S8_EENS5_IT4_S8_EES8_T0_NS_15PhiloxCudaStateE: ; @_ZN2at6native12_GLOBAL__N_120fused_dropout_kernelIddjLin1ELin1EbEEvNS_4cuda6detail10TensorInfoIKT_T1_EENS5_IS6_S8_EENS5_IT4_S8_EES8_T0_NS_15PhiloxCudaStateE
; %bb.0:
	s_clause 0x2
	s_load_b64 s[2:3], s[0:1], 0x2a0
	s_load_b128 s[4:7], s[0:1], 0x290
	s_load_b32 s8, s[0:1], 0x2b0
	s_waitcnt lgkmcnt(0)
	v_dual_mov_b32 v1, s2 :: v_dual_mov_b32 v2, s3
	v_dual_mov_b32 v20, s7 :: v_dual_mov_b32 v19, s6
	s_bitcmp0_b32 s8, 0
	s_cbranch_scc1 .LBB6_2
; %bb.1:
	v_dual_mov_b32 v1, s2 :: v_dual_mov_b32 v2, s3
	v_dual_mov_b32 v3, s6 :: v_dual_mov_b32 v4, s7
	s_load_b64 s[2:3], s[0:1], 0x2a8
	flat_load_b64 v[1:2], v[1:2]
	flat_load_b64 v[19:20], v[3:4]
	s_waitcnt vmcnt(1) lgkmcnt(0)
	v_add_co_u32 v1, vcc_lo, v1, s2
	v_add_co_ci_u32_e32 v2, vcc_lo, s3, v2, vcc_lo
.LBB6_2:
	s_clause 0x2
	s_load_b32 s2, s[0:1], 0x2c4
	s_load_b32 s20, s[0:1], 0x2b8
	;; [unrolled: 1-line block ×3, first 2 shown]
	s_waitcnt lgkmcnt(0)
	s_and_b32 s2, s2, 0xffff
	s_add_i32 s7, s22, -1
	s_mul_i32 s20, s20, s2
	v_mad_u64_u32 v[21:22], null, s15, s2, v[0:1]
	s_lshl_b32 s21, s20, 2
	s_delay_alu instid0(SALU_CYCLE_1) | instskip(SKIP_1) | instid1(VALU_DEP_1)
	v_cvt_f32_u32_e32 v3, s21
	s_sub_i32 s6, 0, s21
	v_rcp_iflag_f32_e32 v3, v3
	s_waitcnt_depctr 0xfff
	v_mul_f32_e32 v3, 0x4f7ffffe, v3
	s_delay_alu instid0(VALU_DEP_1) | instskip(NEXT) | instid1(VALU_DEP_1)
	v_cvt_u32_f32_e32 v3, v3
	v_readfirstlane_b32 s3, v3
	s_delay_alu instid0(VALU_DEP_1) | instskip(NEXT) | instid1(SALU_CYCLE_1)
	s_mul_i32 s6, s6, s3
	s_mul_hi_u32 s6, s3, s6
	s_delay_alu instid0(SALU_CYCLE_1) | instskip(NEXT) | instid1(SALU_CYCLE_1)
	s_add_i32 s3, s3, s6
	s_mul_hi_u32 s3, s7, s3
	s_delay_alu instid0(SALU_CYCLE_1) | instskip(NEXT) | instid1(SALU_CYCLE_1)
	s_mul_i32 s6, s3, s21
	s_sub_i32 s6, s7, s6
	s_add_i32 s7, s3, 1
	s_sub_i32 s8, s6, s21
	s_cmp_ge_u32 s6, s21
	s_cselect_b32 s2, s7, s3
	s_cselect_b32 s3, s8, s6
	s_add_i32 s6, s2, 1
	s_cmp_ge_u32 s3, s21
	s_cselect_b32 s2, s6, s2
	s_delay_alu instid0(SALU_CYCLE_1) | instskip(NEXT) | instid1(SALU_CYCLE_1)
	s_add_i32 s2, s2, 1
	s_mul_i32 s23, s21, s2
	s_mov_b32 s2, exec_lo
	v_cmpx_gt_u32_e64 s23, v21
	s_cbranch_execz .LBB6_55
; %bb.3:
	v_div_scale_f64 v[3:4], null, s[4:5], s[4:5], 1.0
	v_div_scale_f64 v[9:10], vcc_lo, 1.0, s[4:5], 1.0
	v_alignbit_b32 v28, v2, v1, 2
	v_lshrrev_b32_e32 v29, 2, v2
	s_waitcnt vmcnt(0)
	v_dual_mov_b32 v23, v20 :: v_dual_mov_b32 v22, 0
	v_add_co_u32 v31, null, 0x9e3779b9, v19
	v_mad_u64_u32 v[11:12], null, 0xd2511f53, v28, 0
	s_delay_alu instid0(VALU_DEP_3) | instskip(SKIP_2) | instid1(VALU_DEP_4)
	v_add_co_u32 v30, null, 0xbb67ae85, v23
	v_add_co_u32 v33, null, 0x76cf5d0a, v23
	;; [unrolled: 1-line block ×3, first 2 shown]
	v_xor_b32_e32 v2, v12, v20
	v_add_co_u32 v34, null, 0x32370b8f, v23
	v_add_co_u32 v35, null, 0xdaa66d2b, v19
	s_delay_alu instid0(VALU_DEP_3)
	v_mad_u64_u32 v[17:18], null, 0xcd9e8d57, v2, 0
	v_add_co_u32 v36, null, 0x78dde6e4, v19
	v_add_co_u32 v37, null, 0xed9eba14, v23
	;; [unrolled: 1-line block ×6, first 2 shown]
	s_clause 0x1
	s_load_b32 s14, s[0:1], 0xd0
	s_load_b32 s26, s[0:1], 0x144
	v_rcp_f64_e32 v[5:6], v[3:4]
	s_clause 0x1
	s_load_b64 s[8:9], s[0:1], 0x1b0
	s_load_b32 s16, s[0:1], 0x1a8
	v_add_co_u32 v42, null, 0x5384540f, v19
	v_add_co_u32 v43, null, 0x1fd5c5a3, v23
	v_and_b32_e32 v44, 3, v1
	v_add_co_u32 v45, null, 0xdb3d7428, v23
	v_add_co_u32 v46, null, 0xf1bbcdc8, v19
	s_add_u32 s17, s0, 0xd8
	s_addc_u32 s18, s1, 0
	s_clause 0x2
	s_load_b64 s[10:11], s[0:1], 0xd8
	s_load_b32 s24, s[0:1], 0x6c
	s_load_b64 s[12:13], s[0:1], 0x0
	s_mov_b32 s7, 0
	v_dual_mov_b32 v50, 0 :: v_dual_add_nc_u32 v47, 0x8ff34781, v19
	s_waitcnt lgkmcnt(0)
	s_cmp_gt_i32 s14, 1
	v_dual_mov_b32 v49, v21 :: v_dual_add_nc_u32 v48, 0x96a522ad, v20
	s_cselect_b32 s25, -1, 0
	s_cmp_gt_i32 s16, 1
	s_cselect_b32 s27, -1, 0
	s_add_i32 s6, s14, -1
	s_add_i32 s28, s14, 1
	s_lshl_b64 s[2:3], s[6:7], 2
	s_delay_alu instid0(SALU_CYCLE_1) | instskip(SKIP_4) | instid1(SALU_CYCLE_1)
	s_add_u32 s0, s2, s0
	s_addc_u32 s1, s3, s1
	s_add_u32 s14, s0, 8
	s_addc_u32 s15, s1, 0
	s_add_i32 s6, s16, -1
	s_lshl_b64 s[0:1], s[6:7], 2
	s_add_i32 s6, s16, 1
	s_add_u32 s0, s0, s17
	s_addc_u32 s1, s1, s18
	s_add_u32 s16, s0, 8
	s_delay_alu instid0(TRANS32_DEP_1) | instskip(SKIP_1) | instid1(VALU_DEP_1)
	v_fma_f64 v[7:8], -v[3:4], v[5:6], 1.0
	s_addc_u32 s17, s1, 0
	v_fma_f64 v[5:6], v[5:6], v[7:8], v[5:6]
	s_delay_alu instid0(VALU_DEP_1) | instskip(NEXT) | instid1(VALU_DEP_1)
	v_fma_f64 v[7:8], -v[3:4], v[5:6], 1.0
	v_fma_f64 v[5:6], v[5:6], v[7:8], v[5:6]
	v_mad_u64_u32 v[7:8], null, 0xcd9e8d57, v21, 0
	s_delay_alu instid0(VALU_DEP_1) | instskip(NEXT) | instid1(VALU_DEP_2)
	v_xor3_b32 v0, v19, v8, v29
	v_xor3_b32 v2, v18, v31, v7
	s_delay_alu instid0(VALU_DEP_2) | instskip(NEXT) | instid1(VALU_DEP_1)
	v_mad_u64_u32 v[15:16], null, 0xd2511f53, v0, 0
	v_xor3_b32 v0, v30, v16, v11
	s_delay_alu instid0(VALU_DEP_3) | instskip(NEXT) | instid1(VALU_DEP_2)
	v_mad_u64_u32 v[11:12], null, 0xd2511f53, v2, 0
	v_mad_u64_u32 v[7:8], null, 0xcd9e8d57, v0, 0
	s_delay_alu instid0(VALU_DEP_2) | instskip(NEXT) | instid1(VALU_DEP_2)
	v_xor3_b32 v2, v12, v33, v15
	v_xor3_b32 v0, v32, v8, v17
	s_delay_alu instid0(VALU_DEP_2) | instskip(SKIP_1) | instid1(VALU_DEP_3)
	v_mad_u64_u32 v[17:18], null, 0xcd9e8d57, v2, 0
	v_mul_f64 v[13:14], v[9:10], v[5:6]
	v_mad_u64_u32 v[15:16], null, 0xd2511f53, v0, 0
	s_delay_alu instid0(VALU_DEP_1) | instskip(NEXT) | instid1(VALU_DEP_3)
	v_xor3_b32 v0, v34, v16, v11
	v_fma_f64 v[2:3], -v[3:4], v[13:14], v[9:10]
	v_xor3_b32 v4, v18, v35, v7
	s_delay_alu instid0(VALU_DEP_3) | instskip(NEXT) | instid1(VALU_DEP_2)
	v_mad_u64_u32 v[7:8], null, 0xcd9e8d57, v0, 0
	v_mad_u64_u32 v[9:10], null, 0xd2511f53, v4, 0
	s_delay_alu instid0(VALU_DEP_2) | instskip(NEXT) | instid1(VALU_DEP_2)
	v_xor3_b32 v0, v36, v8, v17
	v_xor3_b32 v4, v10, v37, v15
	s_delay_alu instid0(VALU_DEP_2) | instskip(NEXT) | instid1(VALU_DEP_2)
	v_mad_u64_u32 v[10:11], null, 0xd2511f53, v0, 0
	v_mad_u64_u32 v[15:16], null, 0xcd9e8d57, v4, 0
	s_delay_alu instid0(VALU_DEP_2) | instskip(NEXT) | instid1(VALU_DEP_2)
	v_xor3_b32 v0, v38, v11, v9
	v_xor3_b32 v8, v16, v39, v7
	v_div_fmas_f64 v[2:3], v[2:3], v[5:6], v[13:14]
	s_delay_alu instid0(VALU_DEP_3) | instskip(NEXT) | instid1(VALU_DEP_3)
	v_mad_u64_u32 v[4:5], null, 0xcd9e8d57, v0, 0
	v_mad_u64_u32 v[6:7], null, 0xd2511f53, v8, 0
	s_delay_alu instid0(VALU_DEP_2) | instskip(NEXT) | instid1(VALU_DEP_2)
	v_xor3_b32 v0, v40, v5, v15
	v_xor3_b32 v5, v7, v41, v10
	s_delay_alu instid0(VALU_DEP_2) | instskip(NEXT) | instid1(VALU_DEP_2)
	v_mad_u64_u32 v[7:8], null, 0xd2511f53, v0, 0
	v_mad_u64_u32 v[9:10], null, 0xcd9e8d57, v5, 0
	s_delay_alu instid0(VALU_DEP_2) | instskip(NEXT) | instid1(VALU_DEP_2)
	v_xor3_b32 v6, v43, v8, v6
	v_xor3_b32 v4, v10, v42, v4
	s_delay_alu instid0(VALU_DEP_1) | instskip(NEXT) | instid1(VALU_DEP_3)
	v_mad_u64_u32 v[0:1], null, 0xd2511f53, v4, 0
	v_mad_u64_u32 v[4:5], null, 0xcd9e8d57, v6, 0
	s_delay_alu instid0(VALU_DEP_2) | instskip(SKIP_1) | instid1(VALU_DEP_3)
	v_xor3_b32 v1, v1, v45, v7
	v_div_fixup_f64 v[24:25], v[2:3], s[4:5], 1.0
	v_xor3_b32 v3, v46, v5, v9
	s_delay_alu instid0(VALU_DEP_3) | instskip(NEXT) | instid1(VALU_DEP_2)
	v_mad_u64_u32 v[9:10], null, 0xcd9e8d57, v1, 0
	v_mad_u64_u32 v[1:2], null, 0xd2511f53, v3, 0
	s_delay_alu instid0(VALU_DEP_2) | instskip(NEXT) | instid1(VALU_DEP_2)
	v_xor3_b32 v8, v4, v10, v47
	v_xor3_b32 v10, v2, v0, v48
	s_delay_alu instid0(VALU_DEP_3)
	v_mov_b32_e32 v11, v1
                                        ; implicit-def: $vgpr0_vgpr1_vgpr2_vgpr3_vgpr4_vgpr5_vgpr6_vgpr7
	s_branch .LBB6_6
.LBB6_4:                                ;   in Loop: Header=BB6_6 Depth=1
	s_set_inst_prefetch_distance 0x2
	v_cvt_f32_u32_e32 v9, v11
	s_delay_alu instid0(VALU_DEP_1) | instskip(NEXT) | instid1(VALU_DEP_1)
	v_fmaak_f32 v9, 0x2f800000, v9, 0x2f800000
	v_cvt_f64_f32_e32 v[9:10], v9
	s_delay_alu instid0(VALU_DEP_1) | instskip(SKIP_2) | instid1(VALU_DEP_1)
	v_cmp_gt_f64_e32 vcc_lo, s[4:5], v[9:10]
	v_cndmask_b32_e64 v23, 0, 0x3ff00000, vcc_lo
	s_waitcnt vmcnt(0)
	v_mul_f64 v[9:10], v[6:7], v[22:23]
	s_delay_alu instid0(VALU_DEP_1) | instskip(NEXT) | instid1(VALU_DEP_1)
	v_mul_f64 v[9:10], v[24:25], v[9:10]
	v_mad_u64_u32 v[17:18], null, s26, v16, v[8:9]
	v_mov_b32_e32 v18, v22
	v_cndmask_b32_e64 v8, 0, 1, vcc_lo
	s_delay_alu instid0(VALU_DEP_2) | instskip(NEXT) | instid1(VALU_DEP_1)
	v_lshlrev_b64 v[15:16], 3, v[17:18]
	v_add_co_u32 v15, s0, s10, v15
	s_delay_alu instid0(VALU_DEP_1)
	v_add_co_ci_u32_e64 v16, s0, s11, v16, s0
	global_store_b64 v[15:16], v[9:10], off
	global_store_b8 v17, v8, s[8:9]
.LBB6_5:                                ;   in Loop: Header=BB6_6 Depth=1
	s_or_b32 exec_lo, exec_lo, s2
	v_mov_b32_e32 v15, v26
	v_dual_mov_b32 v8, v12 :: v_dual_add_nc_u32 v21, s21, v21
	v_dual_mov_b32 v9, v13 :: v_dual_mov_b32 v10, v14
	s_delay_alu instid0(VALU_DEP_3) | instskip(NEXT) | instid1(VALU_DEP_3)
	v_mov_b32_e32 v11, v15
	v_cmp_le_u32_e32 vcc_lo, s23, v21
	s_waitcnt vmcnt(0)
	s_waitcnt_vscnt null, 0x0
	s_barrier
	buffer_gl0_inv
	s_or_b32 s7, vcc_lo, s7
	s_delay_alu instid0(SALU_CYCLE_1)
	s_and_not1_b32 exec_lo, exec_lo, s7
	s_cbranch_execz .LBB6_55
.LBB6_6:                                ; =>This Loop Header: Depth=1
                                        ;     Child Loop BB6_19 Depth 2
                                        ;     Child Loop BB6_24 Depth 2
	;; [unrolled: 1-line block ×8, first 2 shown]
	v_add_co_u32 v28, vcc_lo, v28, 1
	s_delay_alu instid0(VALU_DEP_1) | instskip(SKIP_2) | instid1(VALU_DEP_1)
	v_cndmask_b32_e64 v12, 0, 1, vcc_lo
	v_add_co_ci_u32_e32 v29, vcc_lo, 0, v29, vcc_lo
	s_mov_b32 s0, exec_lo
	v_cmp_eq_u32_e32 vcc_lo, 0, v29
	s_delay_alu instid0(VALU_DEP_3) | instskip(NEXT) | instid1(VALU_DEP_1)
	v_cndmask_b32_e32 v12, 0, v12, vcc_lo
	v_add_nc_u32_e32 v49, v12, v49
	s_delay_alu instid0(VALU_DEP_1) | instskip(SKIP_2) | instid1(VALU_DEP_2)
	v_cmp_eq_u32_e32 vcc_lo, 0, v49
	v_cndmask_b32_e32 v12, 0, v12, vcc_lo
	v_mad_u64_u32 v[14:15], null, 0xcd9e8d57, v49, 0
	v_add_nc_u32_e32 v50, v12, v50
	v_mad_u64_u32 v[12:13], null, 0xd2511f53, v28, 0
	s_delay_alu instid0(VALU_DEP_3) | instskip(NEXT) | instid1(VALU_DEP_2)
	v_xor3_b32 v17, v15, v19, v29
	v_xor_b32_e32 v13, v13, v20
	s_delay_alu instid0(VALU_DEP_2) | instskip(NEXT) | instid1(VALU_DEP_2)
	v_mad_u64_u32 v[15:16], null, 0xd2511f53, v17, 0
	v_xor_b32_e32 v13, v50, v13
	s_delay_alu instid0(VALU_DEP_2) | instskip(NEXT) | instid1(VALU_DEP_2)
	v_xor3_b32 v16, v30, v16, v12
	v_mad_u64_u32 v[17:18], null, 0xcd9e8d57, v13, 0
	s_delay_alu instid0(VALU_DEP_2) | instskip(NEXT) | instid1(VALU_DEP_2)
	v_mad_u64_u32 v[12:13], null, 0xcd9e8d57, v16, 0
	v_xor3_b32 v14, v31, v18, v14
	s_delay_alu instid0(VALU_DEP_2) | instskip(NEXT) | instid1(VALU_DEP_2)
	v_xor3_b32 v16, v32, v13, v17
	v_mad_u64_u32 v[26:27], null, 0xd2511f53, v14, 0
	s_delay_alu instid0(VALU_DEP_2) | instskip(NEXT) | instid1(VALU_DEP_2)
	v_mad_u64_u32 v[13:14], null, 0xd2511f53, v16, 0
	v_xor3_b32 v17, v33, v27, v15
	s_delay_alu instid0(VALU_DEP_2) | instskip(NEXT) | instid1(VALU_DEP_2)
	v_xor3_b32 v14, v34, v14, v26
	v_mad_u64_u32 v[15:16], null, 0xcd9e8d57, v17, 0
	s_delay_alu instid0(VALU_DEP_1) | instskip(NEXT) | instid1(VALU_DEP_3)
	v_xor3_b32 v12, v35, v16, v12
	v_mad_u64_u32 v[16:17], null, 0xcd9e8d57, v14, 0
	s_delay_alu instid0(VALU_DEP_2) | instskip(NEXT) | instid1(VALU_DEP_2)
	v_mad_u64_u32 v[26:27], null, 0xd2511f53, v12, 0
	v_xor3_b32 v14, v36, v17, v15
	s_delay_alu instid0(VALU_DEP_2) | instskip(NEXT) | instid1(VALU_DEP_2)
	v_xor3_b32 v17, v37, v27, v13
	v_mad_u64_u32 v[12:13], null, 0xd2511f53, v14, 0
	s_delay_alu instid0(VALU_DEP_2) | instskip(NEXT) | instid1(VALU_DEP_2)
	v_mad_u64_u32 v[14:15], null, 0xcd9e8d57, v17, 0
	v_xor3_b32 v13, v38, v13, v26
	s_delay_alu instid0(VALU_DEP_2) | instskip(NEXT) | instid1(VALU_DEP_2)
	;; [unrolled: 6-line block ×6, first 2 shown]
	v_xor3_b32 v12, v14, v15, v47
	v_mov_b32_e32 v14, v18
	v_cmpx_lt_i32_e32 1, v44
	s_xor_b32 s0, exec_lo, s0
	s_cbranch_execnz .LBB6_9
; %bb.7:                                ;   in Loop: Header=BB6_6 Depth=1
	s_and_not1_saveexec_b32 s0, s0
	s_cbranch_execnz .LBB6_14
.LBB6_8:                                ;   in Loop: Header=BB6_6 Depth=1
	s_or_b32 exec_lo, exec_lo, s0
	v_cmp_gt_u32_e64 s3, s22, v21
	s_delay_alu instid0(VALU_DEP_1)
	s_and_saveexec_b32 s2, s3
	s_cbranch_execnz .LBB6_17
	s_branch .LBB6_21
.LBB6_9:                                ;   in Loop: Header=BB6_6 Depth=1
	s_mov_b32 s1, exec_lo
	v_cmpx_lt_i32_e32 2, v44
	s_xor_b32 s1, exec_lo, s1
; %bb.10:                               ;   in Loop: Header=BB6_6 Depth=1
	v_dual_mov_b32 v15, v11 :: v_dual_mov_b32 v16, v12
	v_mov_b32_e32 v17, v13
	s_delay_alu instid0(VALU_DEP_2) | instskip(NEXT) | instid1(VALU_DEP_2)
	v_dual_mov_b32 v8, v15 :: v_dual_mov_b32 v9, v16
	v_dual_mov_b32 v10, v17 :: v_dual_mov_b32 v11, v18
; %bb.11:                               ;   in Loop: Header=BB6_6 Depth=1
	s_and_not1_saveexec_b32 s1, s1
; %bb.12:                               ;   in Loop: Header=BB6_6 Depth=1
	s_delay_alu instid0(VALU_DEP_1)
	v_dual_mov_b32 v8, v10 :: v_dual_mov_b32 v9, v11
	v_dual_mov_b32 v10, v12 :: v_dual_mov_b32 v11, v13
; %bb.13:                               ;   in Loop: Header=BB6_6 Depth=1
	s_or_b32 exec_lo, exec_lo, s1
	s_and_not1_saveexec_b32 s0, s0
	s_cbranch_execz .LBB6_8
.LBB6_14:                               ;   in Loop: Header=BB6_6 Depth=1
	s_mov_b32 s1, exec_lo
	v_cmpx_eq_u32_e32 1, v44
; %bb.15:                               ;   in Loop: Header=BB6_6 Depth=1
	v_dual_mov_b32 v8, v9 :: v_dual_mov_b32 v9, v10
	v_dual_mov_b32 v10, v11 :: v_dual_mov_b32 v11, v12
; %bb.16:                               ;   in Loop: Header=BB6_6 Depth=1
	s_or_b32 exec_lo, exec_lo, s1
	s_delay_alu instid0(SALU_CYCLE_1) | instskip(SKIP_1) | instid1(VALU_DEP_1)
	s_or_b32 exec_lo, exec_lo, s0
	v_cmp_gt_u32_e64 s3, s22, v21
	s_and_saveexec_b32 s2, s3
	s_cbranch_execz .LBB6_21
.LBB6_17:                               ;   in Loop: Header=BB6_6 Depth=1
	v_dual_mov_b32 v0, 0 :: v_dual_mov_b32 v1, v21
	s_and_not1_b32 vcc_lo, exec_lo, s25
	s_cbranch_vccnz .LBB6_20
; %bb.18:                               ;   in Loop: Header=BB6_6 Depth=1
	v_dual_mov_b32 v0, 0 :: v_dual_mov_b32 v1, v21
	s_mov_b64 s[0:1], s[14:15]
	s_mov_b32 s18, s28
	s_set_inst_prefetch_distance 0x1
	.p2align	6
.LBB6_19:                               ;   Parent Loop BB6_6 Depth=1
                                        ; =>  This Inner Loop Header: Depth=2
	s_clause 0x1
	s_load_b32 s19, s[0:1], 0x0
	s_load_b32 s29, s[0:1], 0x64
	v_mov_b32_e32 v17, v1
	s_add_i32 s18, s18, -1
	s_waitcnt lgkmcnt(0)
	v_cvt_f32_u32_e32 v15, s19
	s_sub_i32 s30, 0, s19
	s_add_u32 s0, s0, -4
	s_addc_u32 s1, s1, -1
	s_cmp_gt_u32 s18, 2
	v_rcp_iflag_f32_e32 v15, v15
	s_waitcnt_depctr 0xfff
	v_mul_f32_e32 v15, 0x4f7ffffe, v15
	s_delay_alu instid0(VALU_DEP_1) | instskip(NEXT) | instid1(VALU_DEP_1)
	v_cvt_u32_f32_e32 v15, v15
	v_mul_lo_u32 v16, s30, v15
	s_delay_alu instid0(VALU_DEP_1) | instskip(NEXT) | instid1(VALU_DEP_1)
	v_mul_hi_u32 v16, v15, v16
	v_add_nc_u32_e32 v1, v15, v16
	s_delay_alu instid0(VALU_DEP_1) | instskip(NEXT) | instid1(VALU_DEP_1)
	v_mul_hi_u32 v1, v17, v1
	v_add_nc_u32_e32 v16, 1, v1
	v_mul_lo_u32 v15, v1, s19
	s_delay_alu instid0(VALU_DEP_1) | instskip(NEXT) | instid1(VALU_DEP_1)
	v_sub_nc_u32_e32 v15, v17, v15
	v_subrev_nc_u32_e32 v18, s19, v15
	v_cmp_le_u32_e32 vcc_lo, s19, v15
	v_cndmask_b32_e32 v1, v1, v16, vcc_lo
	s_delay_alu instid0(VALU_DEP_1) | instskip(NEXT) | instid1(VALU_DEP_1)
	v_dual_cndmask_b32 v15, v15, v18 :: v_dual_add_nc_u32 v16, 1, v1
	v_cmp_le_u32_e32 vcc_lo, s19, v15
	s_delay_alu instid0(VALU_DEP_2) | instskip(NEXT) | instid1(VALU_DEP_1)
	v_cndmask_b32_e32 v1, v1, v16, vcc_lo
	v_mul_lo_u32 v15, v1, s19
	s_delay_alu instid0(VALU_DEP_1) | instskip(NEXT) | instid1(VALU_DEP_1)
	v_sub_nc_u32_e32 v17, v17, v15
	v_mad_u64_u32 v[15:16], null, s29, v17, v[0:1]
	s_delay_alu instid0(VALU_DEP_1)
	v_mov_b32_e32 v0, v15
	s_cbranch_scc1 .LBB6_19
.LBB6_20:                               ;   in Loop: Header=BB6_6 Depth=1
	s_set_inst_prefetch_distance 0x2
	s_delay_alu instid0(VALU_DEP_1) | instskip(SKIP_1) | instid1(VALU_DEP_1)
	v_mad_u64_u32 v[15:16], null, s24, v1, v[0:1]
	v_mov_b32_e32 v16, v22
	v_lshlrev_b64 v[0:1], 3, v[15:16]
	s_delay_alu instid0(VALU_DEP_1) | instskip(NEXT) | instid1(VALU_DEP_2)
	v_add_co_u32 v0, vcc_lo, s12, v0
	v_add_co_ci_u32_e32 v1, vcc_lo, s13, v1, vcc_lo
	global_load_b64 v[0:1], v[0:1], off
.LBB6_21:                               ;   in Loop: Header=BB6_6 Depth=1
	s_or_b32 exec_lo, exec_lo, s2
	v_add_nc_u32_e32 v18, s20, v21
	s_delay_alu instid0(VALU_DEP_1) | instskip(NEXT) | instid1(VALU_DEP_1)
	v_cmp_gt_u32_e64 s2, s22, v18
	s_and_saveexec_b32 s18, s2
	s_cbranch_execz .LBB6_26
; %bb.22:                               ;   in Loop: Header=BB6_6 Depth=1
	v_dual_mov_b32 v2, 0 :: v_dual_mov_b32 v3, v18
	s_and_not1_b32 vcc_lo, exec_lo, s25
	s_cbranch_vccnz .LBB6_25
; %bb.23:                               ;   in Loop: Header=BB6_6 Depth=1
	v_dual_mov_b32 v2, 0 :: v_dual_mov_b32 v3, v18
	s_mov_b64 s[0:1], s[14:15]
	s_mov_b32 s19, s28
	s_set_inst_prefetch_distance 0x1
	.p2align	6
.LBB6_24:                               ;   Parent Loop BB6_6 Depth=1
                                        ; =>  This Inner Loop Header: Depth=2
	s_clause 0x1
	s_load_b32 s29, s[0:1], 0x0
	s_load_b32 s30, s[0:1], 0x64
	v_mov_b32_e32 v17, v3
	s_add_i32 s19, s19, -1
	s_waitcnt lgkmcnt(0)
	v_cvt_f32_u32_e32 v15, s29
	s_sub_i32 s31, 0, s29
	s_add_u32 s0, s0, -4
	s_addc_u32 s1, s1, -1
	s_cmp_gt_u32 s19, 2
	v_rcp_iflag_f32_e32 v15, v15
	s_waitcnt_depctr 0xfff
	v_mul_f32_e32 v15, 0x4f7ffffe, v15
	s_delay_alu instid0(VALU_DEP_1) | instskip(NEXT) | instid1(VALU_DEP_1)
	v_cvt_u32_f32_e32 v15, v15
	v_mul_lo_u32 v16, s31, v15
	s_delay_alu instid0(VALU_DEP_1) | instskip(NEXT) | instid1(VALU_DEP_1)
	v_mul_hi_u32 v16, v15, v16
	v_add_nc_u32_e32 v3, v15, v16
	s_delay_alu instid0(VALU_DEP_1) | instskip(NEXT) | instid1(VALU_DEP_1)
	v_mul_hi_u32 v3, v17, v3
	v_add_nc_u32_e32 v16, 1, v3
	v_mul_lo_u32 v15, v3, s29
	s_delay_alu instid0(VALU_DEP_1) | instskip(NEXT) | instid1(VALU_DEP_1)
	v_sub_nc_u32_e32 v15, v17, v15
	v_subrev_nc_u32_e32 v23, s29, v15
	v_cmp_le_u32_e32 vcc_lo, s29, v15
	v_cndmask_b32_e32 v3, v3, v16, vcc_lo
	s_delay_alu instid0(VALU_DEP_3) | instskip(NEXT) | instid1(VALU_DEP_2)
	v_cndmask_b32_e32 v15, v15, v23, vcc_lo
	v_add_nc_u32_e32 v16, 1, v3
	s_delay_alu instid0(VALU_DEP_2) | instskip(NEXT) | instid1(VALU_DEP_2)
	v_cmp_le_u32_e32 vcc_lo, s29, v15
	v_cndmask_b32_e32 v3, v3, v16, vcc_lo
	s_delay_alu instid0(VALU_DEP_1) | instskip(NEXT) | instid1(VALU_DEP_1)
	v_mul_lo_u32 v15, v3, s29
	v_sub_nc_u32_e32 v17, v17, v15
	s_delay_alu instid0(VALU_DEP_1) | instskip(NEXT) | instid1(VALU_DEP_1)
	v_mad_u64_u32 v[15:16], null, s30, v17, v[2:3]
	v_mov_b32_e32 v2, v15
	s_cbranch_scc1 .LBB6_24
.LBB6_25:                               ;   in Loop: Header=BB6_6 Depth=1
	s_set_inst_prefetch_distance 0x2
	s_delay_alu instid0(VALU_DEP_1) | instskip(SKIP_1) | instid1(VALU_DEP_1)
	v_mad_u64_u32 v[15:16], null, s24, v3, v[2:3]
	v_mov_b32_e32 v16, v22
	v_lshlrev_b64 v[2:3], 3, v[15:16]
	s_delay_alu instid0(VALU_DEP_1) | instskip(NEXT) | instid1(VALU_DEP_2)
	v_add_co_u32 v2, vcc_lo, s12, v2
	v_add_co_ci_u32_e32 v3, vcc_lo, s13, v3, vcc_lo
	global_load_b64 v[2:3], v[2:3], off
.LBB6_26:                               ;   in Loop: Header=BB6_6 Depth=1
	s_or_b32 exec_lo, exec_lo, s18
	v_add_nc_u32_e32 v17, s20, v18
	s_delay_alu instid0(VALU_DEP_1) | instskip(NEXT) | instid1(VALU_DEP_1)
	v_cmp_gt_u32_e64 s1, s22, v17
	s_and_saveexec_b32 s0, s1
	s_cbranch_execz .LBB6_31
; %bb.27:                               ;   in Loop: Header=BB6_6 Depth=1
	v_dual_mov_b32 v4, 0 :: v_dual_mov_b32 v5, v17
	s_and_not1_b32 vcc_lo, exec_lo, s25
	s_cbranch_vccnz .LBB6_30
; %bb.28:                               ;   in Loop: Header=BB6_6 Depth=1
	v_dual_mov_b32 v4, 0 :: v_dual_mov_b32 v5, v17
	s_mov_b64 s[18:19], s[14:15]
	s_mov_b32 s29, s28
	s_set_inst_prefetch_distance 0x1
	.p2align	6
.LBB6_29:                               ;   Parent Loop BB6_6 Depth=1
                                        ; =>  This Inner Loop Header: Depth=2
	s_clause 0x1
	s_load_b32 s30, s[18:19], 0x0
	s_load_b32 s31, s[18:19], 0x64
	v_mov_b32_e32 v23, v5
	s_add_i32 s29, s29, -1
	s_waitcnt lgkmcnt(0)
	v_cvt_f32_u32_e32 v15, s30
	s_sub_i32 s33, 0, s30
	s_add_u32 s18, s18, -4
	s_addc_u32 s19, s19, -1
	s_cmp_gt_u32 s29, 2
	v_rcp_iflag_f32_e32 v15, v15
	s_waitcnt_depctr 0xfff
	v_mul_f32_e32 v15, 0x4f7ffffe, v15
	s_delay_alu instid0(VALU_DEP_1) | instskip(NEXT) | instid1(VALU_DEP_1)
	v_cvt_u32_f32_e32 v15, v15
	v_mul_lo_u32 v16, s33, v15
	s_delay_alu instid0(VALU_DEP_1) | instskip(NEXT) | instid1(VALU_DEP_1)
	v_mul_hi_u32 v16, v15, v16
	v_add_nc_u32_e32 v5, v15, v16
	s_delay_alu instid0(VALU_DEP_1) | instskip(NEXT) | instid1(VALU_DEP_1)
	v_mul_hi_u32 v5, v23, v5
	v_add_nc_u32_e32 v16, 1, v5
	v_mul_lo_u32 v15, v5, s30
	s_delay_alu instid0(VALU_DEP_1) | instskip(NEXT) | instid1(VALU_DEP_1)
	v_sub_nc_u32_e32 v15, v23, v15
	v_subrev_nc_u32_e32 v27, s30, v15
	v_cmp_le_u32_e32 vcc_lo, s30, v15
	v_cndmask_b32_e32 v5, v5, v16, vcc_lo
	s_delay_alu instid0(VALU_DEP_1) | instskip(NEXT) | instid1(VALU_DEP_1)
	v_dual_cndmask_b32 v15, v15, v27 :: v_dual_add_nc_u32 v16, 1, v5
	v_cmp_le_u32_e32 vcc_lo, s30, v15
	s_delay_alu instid0(VALU_DEP_2) | instskip(NEXT) | instid1(VALU_DEP_1)
	v_cndmask_b32_e32 v5, v5, v16, vcc_lo
	v_mul_lo_u32 v15, v5, s30
	s_delay_alu instid0(VALU_DEP_1) | instskip(NEXT) | instid1(VALU_DEP_1)
	v_sub_nc_u32_e32 v23, v23, v15
	v_mad_u64_u32 v[15:16], null, s31, v23, v[4:5]
	s_delay_alu instid0(VALU_DEP_1)
	v_mov_b32_e32 v4, v15
	s_cbranch_scc1 .LBB6_29
.LBB6_30:                               ;   in Loop: Header=BB6_6 Depth=1
	s_set_inst_prefetch_distance 0x2
	s_delay_alu instid0(VALU_DEP_1) | instskip(SKIP_1) | instid1(VALU_DEP_1)
	v_mad_u64_u32 v[15:16], null, s24, v5, v[4:5]
	v_mov_b32_e32 v16, v22
	v_lshlrev_b64 v[4:5], 3, v[15:16]
	s_delay_alu instid0(VALU_DEP_1) | instskip(NEXT) | instid1(VALU_DEP_2)
	v_add_co_u32 v4, vcc_lo, s12, v4
	v_add_co_ci_u32_e32 v5, vcc_lo, s13, v5, vcc_lo
	global_load_b64 v[4:5], v[4:5], off
.LBB6_31:                               ;   in Loop: Header=BB6_6 Depth=1
	s_or_b32 exec_lo, exec_lo, s0
	v_add_nc_u32_e32 v16, s20, v17
	s_delay_alu instid0(VALU_DEP_1) | instskip(NEXT) | instid1(VALU_DEP_1)
	v_cmp_gt_u32_e64 s0, s22, v16
	s_and_saveexec_b32 s29, s0
	s_cbranch_execnz .LBB6_36
; %bb.32:                               ;   in Loop: Header=BB6_6 Depth=1
	s_or_b32 exec_lo, exec_lo, s29
	s_and_saveexec_b32 s29, s3
	s_cbranch_execnz .LBB6_40
.LBB6_33:                               ;   in Loop: Header=BB6_6 Depth=1
	s_or_b32 exec_lo, exec_lo, s29
	s_and_saveexec_b32 s18, s2
	s_cbranch_execnz .LBB6_44
.LBB6_34:                               ;   in Loop: Header=BB6_6 Depth=1
	s_or_b32 exec_lo, exec_lo, s18
	s_and_saveexec_b32 s18, s1
	s_cbranch_execnz .LBB6_48
.LBB6_35:                               ;   in Loop: Header=BB6_6 Depth=1
	s_or_b32 exec_lo, exec_lo, s18
	s_and_saveexec_b32 s2, s0
	s_cbranch_execz .LBB6_5
	s_branch .LBB6_52
.LBB6_36:                               ;   in Loop: Header=BB6_6 Depth=1
	v_dual_mov_b32 v6, 0 :: v_dual_mov_b32 v7, v16
	s_and_not1_b32 vcc_lo, exec_lo, s25
	s_cbranch_vccnz .LBB6_39
; %bb.37:                               ;   in Loop: Header=BB6_6 Depth=1
	v_dual_mov_b32 v6, 0 :: v_dual_mov_b32 v7, v16
	s_mov_b64 s[18:19], s[14:15]
	s_mov_b32 s30, s28
	s_set_inst_prefetch_distance 0x1
	.p2align	6
.LBB6_38:                               ;   Parent Loop BB6_6 Depth=1
                                        ; =>  This Inner Loop Header: Depth=2
	s_clause 0x1
	s_load_b32 s31, s[18:19], 0x0
	s_load_b32 s33, s[18:19], 0x64
	v_mov_b32_e32 v27, v7
	s_add_i32 s30, s30, -1
	s_waitcnt lgkmcnt(0)
	v_cvt_f32_u32_e32 v15, s31
	s_sub_i32 s34, 0, s31
	s_add_u32 s18, s18, -4
	s_addc_u32 s19, s19, -1
	s_cmp_gt_u32 s30, 2
	v_rcp_iflag_f32_e32 v15, v15
	s_waitcnt_depctr 0xfff
	v_mul_f32_e32 v15, 0x4f7ffffe, v15
	s_delay_alu instid0(VALU_DEP_1) | instskip(NEXT) | instid1(VALU_DEP_1)
	v_cvt_u32_f32_e32 v15, v15
	v_mul_lo_u32 v23, s34, v15
	s_delay_alu instid0(VALU_DEP_1) | instskip(NEXT) | instid1(VALU_DEP_1)
	v_mul_hi_u32 v23, v15, v23
	v_add_nc_u32_e32 v7, v15, v23
	s_delay_alu instid0(VALU_DEP_1) | instskip(NEXT) | instid1(VALU_DEP_1)
	v_mul_hi_u32 v7, v27, v7
	v_mul_lo_u32 v15, v7, s31
	v_add_nc_u32_e32 v23, 1, v7
	s_delay_alu instid0(VALU_DEP_2) | instskip(NEXT) | instid1(VALU_DEP_1)
	v_sub_nc_u32_e32 v15, v27, v15
	v_subrev_nc_u32_e32 v51, s31, v15
	v_cmp_le_u32_e32 vcc_lo, s31, v15
	s_delay_alu instid0(VALU_DEP_4) | instskip(NEXT) | instid1(VALU_DEP_3)
	v_cndmask_b32_e32 v7, v7, v23, vcc_lo
	v_cndmask_b32_e32 v15, v15, v51, vcc_lo
	s_delay_alu instid0(VALU_DEP_2) | instskip(NEXT) | instid1(VALU_DEP_2)
	v_add_nc_u32_e32 v23, 1, v7
	v_cmp_le_u32_e32 vcc_lo, s31, v15
	s_delay_alu instid0(VALU_DEP_2) | instskip(NEXT) | instid1(VALU_DEP_1)
	v_cndmask_b32_e32 v7, v7, v23, vcc_lo
	v_mul_lo_u32 v15, v7, s31
	s_delay_alu instid0(VALU_DEP_1) | instskip(NEXT) | instid1(VALU_DEP_1)
	v_sub_nc_u32_e32 v15, v27, v15
	v_mad_u64_u32 v[51:52], null, s33, v15, v[6:7]
	s_delay_alu instid0(VALU_DEP_1)
	v_mov_b32_e32 v6, v51
	s_cbranch_scc1 .LBB6_38
.LBB6_39:                               ;   in Loop: Header=BB6_6 Depth=1
	s_set_inst_prefetch_distance 0x2
	s_delay_alu instid0(VALU_DEP_1) | instskip(SKIP_1) | instid1(VALU_DEP_1)
	v_mad_u64_u32 v[51:52], null, s24, v7, v[6:7]
	v_mov_b32_e32 v52, v22
	v_lshlrev_b64 v[6:7], 3, v[51:52]
	s_delay_alu instid0(VALU_DEP_1) | instskip(NEXT) | instid1(VALU_DEP_2)
	v_add_co_u32 v6, vcc_lo, s12, v6
	v_add_co_ci_u32_e32 v7, vcc_lo, s13, v7, vcc_lo
	global_load_b64 v[6:7], v[6:7], off
	s_or_b32 exec_lo, exec_lo, s29
	s_and_saveexec_b32 s29, s3
	s_cbranch_execz .LBB6_33
.LBB6_40:                               ;   in Loop: Header=BB6_6 Depth=1
	v_mov_b32_e32 v15, 0
	v_mov_b32_e32 v27, v21
	s_and_not1_b32 vcc_lo, exec_lo, s27
	s_cbranch_vccnz .LBB6_43
; %bb.41:                               ;   in Loop: Header=BB6_6 Depth=1
	v_mov_b32_e32 v15, 0
	v_mov_b32_e32 v27, v21
	s_mov_b64 s[18:19], s[16:17]
	s_mov_b32 s3, s6
	s_set_inst_prefetch_distance 0x1
	.p2align	6
.LBB6_42:                               ;   Parent Loop BB6_6 Depth=1
                                        ; =>  This Inner Loop Header: Depth=2
	s_clause 0x1
	s_load_b32 s30, s[18:19], 0x0
	s_load_b32 s31, s[18:19], 0x64
	s_add_i32 s3, s3, -1
	v_mov_b32_e32 v52, v27
	s_waitcnt lgkmcnt(0)
	v_cvt_f32_u32_e32 v23, s30
	s_sub_i32 s33, 0, s30
	s_add_u32 s18, s18, -4
	s_addc_u32 s19, s19, -1
	s_cmp_gt_u32 s3, 2
	v_rcp_iflag_f32_e32 v23, v23
	s_waitcnt_depctr 0xfff
	v_mul_f32_e32 v23, 0x4f7ffffe, v23
	s_delay_alu instid0(VALU_DEP_1) | instskip(NEXT) | instid1(VALU_DEP_1)
	v_cvt_u32_f32_e32 v23, v23
	v_mul_lo_u32 v51, s33, v23
	s_delay_alu instid0(VALU_DEP_1) | instskip(NEXT) | instid1(VALU_DEP_1)
	v_mul_hi_u32 v51, v23, v51
	v_add_nc_u32_e32 v23, v23, v51
	s_delay_alu instid0(VALU_DEP_1) | instskip(NEXT) | instid1(VALU_DEP_1)
	v_mul_hi_u32 v23, v52, v23
	v_mul_lo_u32 v27, v23, s30
	v_add_nc_u32_e32 v51, 1, v23
	s_delay_alu instid0(VALU_DEP_2) | instskip(NEXT) | instid1(VALU_DEP_1)
	v_sub_nc_u32_e32 v27, v52, v27
	v_subrev_nc_u32_e32 v53, s30, v27
	v_cmp_le_u32_e32 vcc_lo, s30, v27
	s_delay_alu instid0(VALU_DEP_4) | instskip(NEXT) | instid1(VALU_DEP_3)
	v_cndmask_b32_e32 v23, v23, v51, vcc_lo
	v_cndmask_b32_e32 v27, v27, v53, vcc_lo
	s_delay_alu instid0(VALU_DEP_2) | instskip(NEXT) | instid1(VALU_DEP_2)
	v_add_nc_u32_e32 v51, 1, v23
	v_cmp_le_u32_e32 vcc_lo, s30, v27
	s_delay_alu instid0(VALU_DEP_2) | instskip(NEXT) | instid1(VALU_DEP_1)
	v_cndmask_b32_e32 v27, v23, v51, vcc_lo
	v_mul_lo_u32 v23, v27, s30
	s_delay_alu instid0(VALU_DEP_1) | instskip(NEXT) | instid1(VALU_DEP_1)
	v_sub_nc_u32_e32 v23, v52, v23
	v_mad_u64_u32 v[51:52], null, s31, v23, v[15:16]
	s_delay_alu instid0(VALU_DEP_1)
	v_mov_b32_e32 v15, v51
	s_cbranch_scc1 .LBB6_42
.LBB6_43:                               ;   in Loop: Header=BB6_6 Depth=1
	s_set_inst_prefetch_distance 0x2
	v_cvt_f32_u32_e32 v8, v8
	s_delay_alu instid0(VALU_DEP_2) | instskip(SKIP_1) | instid1(VALU_DEP_3)
	v_mad_u64_u32 v[53:54], null, s26, v27, v[15:16]
	v_mov_b32_e32 v54, v22
	v_fmaak_f32 v8, 0x2f800000, v8, 0x2f800000
	s_delay_alu instid0(VALU_DEP_2) | instskip(NEXT) | instid1(VALU_DEP_2)
	v_lshlrev_b64 v[54:55], 3, v[53:54]
	v_cvt_f64_f32_e32 v[51:52], v8
	s_delay_alu instid0(VALU_DEP_2) | instskip(NEXT) | instid1(VALU_DEP_1)
	v_add_co_u32 v54, s3, s10, v54
	v_add_co_ci_u32_e64 v55, s3, s11, v55, s3
	s_delay_alu instid0(VALU_DEP_3) | instskip(SKIP_3) | instid1(VALU_DEP_2)
	v_cmp_gt_f64_e32 vcc_lo, s[4:5], v[51:52]
	v_cndmask_b32_e64 v23, 0, 0x3ff00000, vcc_lo
	v_cndmask_b32_e64 v8, 0, 1, vcc_lo
	s_waitcnt vmcnt(0)
	v_mul_f64 v[51:52], v[0:1], v[22:23]
	s_delay_alu instid0(VALU_DEP_1)
	v_mul_f64 v[51:52], v[24:25], v[51:52]
	global_store_b64 v[54:55], v[51:52], off
	global_store_b8 v53, v8, s[8:9]
	s_or_b32 exec_lo, exec_lo, s29
	s_and_saveexec_b32 s18, s2
	s_cbranch_execz .LBB6_34
.LBB6_44:                               ;   in Loop: Header=BB6_6 Depth=1
	v_mov_b32_e32 v8, 0
	s_and_not1_b32 vcc_lo, exec_lo, s27
	s_cbranch_vccnz .LBB6_47
; %bb.45:                               ;   in Loop: Header=BB6_6 Depth=1
	v_mov_b32_e32 v8, 0
	s_mov_b64 s[2:3], s[16:17]
	s_mov_b32 s19, s6
	s_set_inst_prefetch_distance 0x1
	.p2align	6
.LBB6_46:                               ;   Parent Loop BB6_6 Depth=1
                                        ; =>  This Inner Loop Header: Depth=2
	s_clause 0x1
	s_load_b32 s29, s[2:3], 0x0
	s_load_b32 s30, s[2:3], 0x64
	v_mov_b32_e32 v27, v18
	s_add_i32 s19, s19, -1
	s_waitcnt lgkmcnt(0)
	v_cvt_f32_u32_e32 v15, s29
	s_sub_i32 s31, 0, s29
	s_add_u32 s2, s2, -4
	s_addc_u32 s3, s3, -1
	s_cmp_gt_u32 s19, 2
	v_rcp_iflag_f32_e32 v15, v15
	s_waitcnt_depctr 0xfff
	v_mul_f32_e32 v15, 0x4f7ffffe, v15
	s_delay_alu instid0(VALU_DEP_1) | instskip(NEXT) | instid1(VALU_DEP_1)
	v_cvt_u32_f32_e32 v15, v15
	v_mul_lo_u32 v23, s31, v15
	s_delay_alu instid0(VALU_DEP_1) | instskip(NEXT) | instid1(VALU_DEP_1)
	v_mul_hi_u32 v23, v15, v23
	v_add_nc_u32_e32 v15, v15, v23
	s_delay_alu instid0(VALU_DEP_1) | instskip(NEXT) | instid1(VALU_DEP_1)
	v_mul_hi_u32 v15, v27, v15
	v_mul_lo_u32 v18, v15, s29
	v_add_nc_u32_e32 v23, 1, v15
	s_delay_alu instid0(VALU_DEP_2) | instskip(NEXT) | instid1(VALU_DEP_1)
	v_sub_nc_u32_e32 v18, v27, v18
	v_subrev_nc_u32_e32 v51, s29, v18
	v_cmp_le_u32_e32 vcc_lo, s29, v18
	s_delay_alu instid0(VALU_DEP_4) | instskip(NEXT) | instid1(VALU_DEP_3)
	v_cndmask_b32_e32 v15, v15, v23, vcc_lo
	v_cndmask_b32_e32 v18, v18, v51, vcc_lo
	s_delay_alu instid0(VALU_DEP_2) | instskip(NEXT) | instid1(VALU_DEP_2)
	v_add_nc_u32_e32 v23, 1, v15
	v_cmp_le_u32_e32 vcc_lo, s29, v18
	s_delay_alu instid0(VALU_DEP_2) | instskip(NEXT) | instid1(VALU_DEP_1)
	v_cndmask_b32_e32 v18, v15, v23, vcc_lo
	v_mul_lo_u32 v15, v18, s29
	s_delay_alu instid0(VALU_DEP_1) | instskip(NEXT) | instid1(VALU_DEP_1)
	v_sub_nc_u32_e32 v15, v27, v15
	v_mad_u64_u32 v[51:52], null, s30, v15, v[8:9]
	s_delay_alu instid0(VALU_DEP_1)
	v_mov_b32_e32 v8, v51
	s_cbranch_scc1 .LBB6_46
.LBB6_47:                               ;   in Loop: Header=BB6_6 Depth=1
	s_set_inst_prefetch_distance 0x2
	v_cvt_f32_u32_e32 v9, v9
	s_delay_alu instid0(VALU_DEP_1) | instskip(NEXT) | instid1(VALU_DEP_1)
	v_fmaak_f32 v9, 0x2f800000, v9, 0x2f800000
	v_mad_u64_u32 v[53:54], null, s26, v18, v[8:9]
	v_mov_b32_e32 v54, v22
	v_cvt_f64_f32_e32 v[51:52], v9
	s_delay_alu instid0(VALU_DEP_2) | instskip(NEXT) | instid1(VALU_DEP_1)
	v_lshlrev_b64 v[8:9], 3, v[53:54]
	v_add_co_u32 v8, s2, s10, v8
	s_delay_alu instid0(VALU_DEP_1) | instskip(NEXT) | instid1(VALU_DEP_4)
	v_add_co_ci_u32_e64 v9, s2, s11, v9, s2
	v_cmp_gt_f64_e32 vcc_lo, s[4:5], v[51:52]
	v_cndmask_b32_e64 v23, 0, 0x3ff00000, vcc_lo
	v_cndmask_b32_e64 v15, 0, 1, vcc_lo
	s_waitcnt vmcnt(0)
	s_delay_alu instid0(VALU_DEP_2) | instskip(NEXT) | instid1(VALU_DEP_1)
	v_mul_f64 v[51:52], v[2:3], v[22:23]
	v_mul_f64 v[51:52], v[24:25], v[51:52]
	global_store_b64 v[8:9], v[51:52], off
	global_store_b8 v53, v15, s[8:9]
	s_or_b32 exec_lo, exec_lo, s18
	s_and_saveexec_b32 s18, s1
	s_cbranch_execz .LBB6_35
.LBB6_48:                               ;   in Loop: Header=BB6_6 Depth=1
	v_mov_b32_e32 v8, 0
	s_and_not1_b32 vcc_lo, exec_lo, s27
	s_cbranch_vccnz .LBB6_51
; %bb.49:                               ;   in Loop: Header=BB6_6 Depth=1
	v_mov_b32_e32 v8, 0
	s_mov_b64 s[2:3], s[16:17]
	s_mov_b32 s1, s6
	s_set_inst_prefetch_distance 0x1
	.p2align	6
.LBB6_50:                               ;   Parent Loop BB6_6 Depth=1
                                        ; =>  This Inner Loop Header: Depth=2
	s_clause 0x1
	s_load_b32 s19, s[2:3], 0x0
	s_load_b32 s29, s[2:3], 0x64
	s_add_i32 s1, s1, -1
	v_mov_b32_e32 v18, v17
	s_waitcnt lgkmcnt(0)
	v_cvt_f32_u32_e32 v9, s19
	s_sub_i32 s30, 0, s19
	s_add_u32 s2, s2, -4
	s_addc_u32 s3, s3, -1
	s_cmp_gt_u32 s1, 2
	v_rcp_iflag_f32_e32 v9, v9
	s_waitcnt_depctr 0xfff
	v_mul_f32_e32 v9, 0x4f7ffffe, v9
	s_delay_alu instid0(VALU_DEP_1) | instskip(NEXT) | instid1(VALU_DEP_1)
	v_cvt_u32_f32_e32 v9, v9
	v_mul_lo_u32 v15, s30, v9
	s_delay_alu instid0(VALU_DEP_1) | instskip(NEXT) | instid1(VALU_DEP_1)
	v_mul_hi_u32 v15, v9, v15
	v_add_nc_u32_e32 v9, v9, v15
	s_delay_alu instid0(VALU_DEP_1) | instskip(NEXT) | instid1(VALU_DEP_1)
	v_mul_hi_u32 v9, v18, v9
	v_mul_lo_u32 v15, v9, s19
	v_add_nc_u32_e32 v17, 1, v9
	s_delay_alu instid0(VALU_DEP_2) | instskip(NEXT) | instid1(VALU_DEP_1)
	v_sub_nc_u32_e32 v15, v18, v15
	v_subrev_nc_u32_e32 v23, s19, v15
	v_cmp_le_u32_e32 vcc_lo, s19, v15
	s_delay_alu instid0(VALU_DEP_4) | instskip(NEXT) | instid1(VALU_DEP_3)
	v_cndmask_b32_e32 v9, v9, v17, vcc_lo
	v_cndmask_b32_e32 v15, v15, v23, vcc_lo
	s_delay_alu instid0(VALU_DEP_2) | instskip(NEXT) | instid1(VALU_DEP_2)
	v_add_nc_u32_e32 v17, 1, v9
	v_cmp_le_u32_e32 vcc_lo, s19, v15
	s_delay_alu instid0(VALU_DEP_2) | instskip(NEXT) | instid1(VALU_DEP_1)
	v_cndmask_b32_e32 v17, v9, v17, vcc_lo
	v_mul_lo_u32 v9, v17, s19
	s_delay_alu instid0(VALU_DEP_1) | instskip(NEXT) | instid1(VALU_DEP_1)
	v_sub_nc_u32_e32 v9, v18, v9
	v_mad_u64_u32 v[51:52], null, s29, v9, v[8:9]
	s_delay_alu instid0(VALU_DEP_1)
	v_mov_b32_e32 v8, v51
	s_cbranch_scc1 .LBB6_50
.LBB6_51:                               ;   in Loop: Header=BB6_6 Depth=1
	s_set_inst_prefetch_distance 0x2
	v_cvt_f32_u32_e32 v9, v10
	s_delay_alu instid0(VALU_DEP_1) | instskip(NEXT) | instid1(VALU_DEP_1)
	v_fmaak_f32 v9, 0x2f800000, v9, 0x2f800000
	v_cvt_f64_f32_e32 v[9:10], v9
	s_delay_alu instid0(VALU_DEP_1) | instskip(SKIP_2) | instid1(VALU_DEP_1)
	v_cmp_gt_f64_e32 vcc_lo, s[4:5], v[9:10]
	v_cndmask_b32_e64 v23, 0, 0x3ff00000, vcc_lo
	s_waitcnt vmcnt(0)
	v_mul_f64 v[9:10], v[4:5], v[22:23]
	s_delay_alu instid0(VALU_DEP_1) | instskip(NEXT) | instid1(VALU_DEP_1)
	v_mul_f64 v[9:10], v[24:25], v[9:10]
	v_mad_u64_u32 v[51:52], null, s26, v17, v[8:9]
	v_mov_b32_e32 v52, v22
	v_cndmask_b32_e64 v8, 0, 1, vcc_lo
	s_delay_alu instid0(VALU_DEP_2) | instskip(NEXT) | instid1(VALU_DEP_1)
	v_lshlrev_b64 v[17:18], 3, v[51:52]
	v_add_co_u32 v17, s1, s10, v17
	s_delay_alu instid0(VALU_DEP_1)
	v_add_co_ci_u32_e64 v18, s1, s11, v18, s1
	global_store_b64 v[17:18], v[9:10], off
	global_store_b8 v51, v8, s[8:9]
	s_or_b32 exec_lo, exec_lo, s18
	s_and_saveexec_b32 s2, s0
	s_cbranch_execz .LBB6_5
.LBB6_52:                               ;   in Loop: Header=BB6_6 Depth=1
	v_mov_b32_e32 v8, 0
	s_and_not1_b32 vcc_lo, exec_lo, s27
	s_cbranch_vccnz .LBB6_4
; %bb.53:                               ;   in Loop: Header=BB6_6 Depth=1
	v_mov_b32_e32 v8, 0
	s_mov_b64 s[0:1], s[16:17]
	s_mov_b32 s3, s6
	s_set_inst_prefetch_distance 0x1
	.p2align	6
.LBB6_54:                               ;   Parent Loop BB6_6 Depth=1
                                        ; =>  This Inner Loop Header: Depth=2
	s_clause 0x1
	s_load_b32 s18, s[0:1], 0x0
	s_load_b32 s19, s[0:1], 0x64
	v_mov_b32_e32 v15, v16
	s_add_i32 s3, s3, -1
	s_waitcnt lgkmcnt(0)
	v_cvt_f32_u32_e32 v9, s18
	s_sub_i32 s29, 0, s18
	s_add_u32 s0, s0, -4
	s_addc_u32 s1, s1, -1
	s_cmp_gt_u32 s3, 2
	v_rcp_iflag_f32_e32 v9, v9
	s_waitcnt_depctr 0xfff
	v_mul_f32_e32 v9, 0x4f7ffffe, v9
	s_delay_alu instid0(VALU_DEP_1) | instskip(NEXT) | instid1(VALU_DEP_1)
	v_cvt_u32_f32_e32 v9, v9
	v_mul_lo_u32 v10, s29, v9
	s_delay_alu instid0(VALU_DEP_1) | instskip(NEXT) | instid1(VALU_DEP_1)
	v_mul_hi_u32 v10, v9, v10
	v_add_nc_u32_e32 v9, v9, v10
	s_delay_alu instid0(VALU_DEP_1) | instskip(NEXT) | instid1(VALU_DEP_1)
	v_mul_hi_u32 v9, v15, v9
	v_mul_lo_u32 v10, v9, s18
	v_add_nc_u32_e32 v16, 1, v9
	s_delay_alu instid0(VALU_DEP_2) | instskip(NEXT) | instid1(VALU_DEP_1)
	v_sub_nc_u32_e32 v10, v15, v10
	v_subrev_nc_u32_e32 v17, s18, v10
	v_cmp_le_u32_e32 vcc_lo, s18, v10
	s_delay_alu instid0(VALU_DEP_2) | instskip(NEXT) | instid1(VALU_DEP_1)
	v_dual_cndmask_b32 v10, v10, v17 :: v_dual_cndmask_b32 v9, v9, v16
	v_cmp_le_u32_e32 vcc_lo, s18, v10
	s_delay_alu instid0(VALU_DEP_2) | instskip(NEXT) | instid1(VALU_DEP_1)
	v_add_nc_u32_e32 v16, 1, v9
	v_cndmask_b32_e32 v16, v9, v16, vcc_lo
	s_delay_alu instid0(VALU_DEP_1) | instskip(NEXT) | instid1(VALU_DEP_1)
	v_mul_lo_u32 v9, v16, s18
	v_sub_nc_u32_e32 v15, v15, v9
	s_delay_alu instid0(VALU_DEP_1) | instskip(NEXT) | instid1(VALU_DEP_1)
	v_mad_u64_u32 v[9:10], null, s19, v15, v[8:9]
	v_mov_b32_e32 v8, v9
	s_cbranch_scc1 .LBB6_54
	s_branch .LBB6_4
.LBB6_55:
	s_endpgm
	.section	.rodata,"a",@progbits
	.p2align	6, 0x0
	.amdhsa_kernel _ZN2at6native12_GLOBAL__N_120fused_dropout_kernelIddjLin1ELin1EbEEvNS_4cuda6detail10TensorInfoIKT_T1_EENS5_IS6_S8_EENS5_IT4_S8_EES8_T0_NS_15PhiloxCudaStateE
		.amdhsa_group_segment_fixed_size 0
		.amdhsa_private_segment_fixed_size 0
		.amdhsa_kernarg_size 952
		.amdhsa_user_sgpr_count 15
		.amdhsa_user_sgpr_dispatch_ptr 0
		.amdhsa_user_sgpr_queue_ptr 0
		.amdhsa_user_sgpr_kernarg_segment_ptr 1
		.amdhsa_user_sgpr_dispatch_id 0
		.amdhsa_user_sgpr_private_segment_size 0
		.amdhsa_wavefront_size32 1
		.amdhsa_uses_dynamic_stack 0
		.amdhsa_enable_private_segment 0
		.amdhsa_system_sgpr_workgroup_id_x 1
		.amdhsa_system_sgpr_workgroup_id_y 0
		.amdhsa_system_sgpr_workgroup_id_z 0
		.amdhsa_system_sgpr_workgroup_info 0
		.amdhsa_system_vgpr_workitem_id 0
		.amdhsa_next_free_vgpr 56
		.amdhsa_next_free_sgpr 35
		.amdhsa_reserve_vcc 1
		.amdhsa_float_round_mode_32 0
		.amdhsa_float_round_mode_16_64 0
		.amdhsa_float_denorm_mode_32 3
		.amdhsa_float_denorm_mode_16_64 3
		.amdhsa_dx10_clamp 1
		.amdhsa_ieee_mode 1
		.amdhsa_fp16_overflow 0
		.amdhsa_workgroup_processor_mode 1
		.amdhsa_memory_ordered 1
		.amdhsa_forward_progress 0
		.amdhsa_shared_vgpr_count 0
		.amdhsa_exception_fp_ieee_invalid_op 0
		.amdhsa_exception_fp_denorm_src 0
		.amdhsa_exception_fp_ieee_div_zero 0
		.amdhsa_exception_fp_ieee_overflow 0
		.amdhsa_exception_fp_ieee_underflow 0
		.amdhsa_exception_fp_ieee_inexact 0
		.amdhsa_exception_int_div_zero 0
	.end_amdhsa_kernel
	.section	.text._ZN2at6native12_GLOBAL__N_120fused_dropout_kernelIddjLin1ELin1EbEEvNS_4cuda6detail10TensorInfoIKT_T1_EENS5_IS6_S8_EENS5_IT4_S8_EES8_T0_NS_15PhiloxCudaStateE,"axG",@progbits,_ZN2at6native12_GLOBAL__N_120fused_dropout_kernelIddjLin1ELin1EbEEvNS_4cuda6detail10TensorInfoIKT_T1_EENS5_IS6_S8_EENS5_IT4_S8_EES8_T0_NS_15PhiloxCudaStateE,comdat
.Lfunc_end6:
	.size	_ZN2at6native12_GLOBAL__N_120fused_dropout_kernelIddjLin1ELin1EbEEvNS_4cuda6detail10TensorInfoIKT_T1_EENS5_IS6_S8_EENS5_IT4_S8_EES8_T0_NS_15PhiloxCudaStateE, .Lfunc_end6-_ZN2at6native12_GLOBAL__N_120fused_dropout_kernelIddjLin1ELin1EbEEvNS_4cuda6detail10TensorInfoIKT_T1_EENS5_IS6_S8_EENS5_IT4_S8_EES8_T0_NS_15PhiloxCudaStateE
                                        ; -- End function
	.section	.AMDGPU.csdata,"",@progbits
; Kernel info:
; codeLenInByte = 4944
; NumSgprs: 37
; NumVgprs: 56
; ScratchSize: 0
; MemoryBound: 0
; FloatMode: 240
; IeeeMode: 1
; LDSByteSize: 0 bytes/workgroup (compile time only)
; SGPRBlocks: 4
; VGPRBlocks: 6
; NumSGPRsForWavesPerEU: 37
; NumVGPRsForWavesPerEU: 56
; Occupancy: 16
; WaveLimiterHint : 1
; COMPUTE_PGM_RSRC2:SCRATCH_EN: 0
; COMPUTE_PGM_RSRC2:USER_SGPR: 15
; COMPUTE_PGM_RSRC2:TRAP_HANDLER: 0
; COMPUTE_PGM_RSRC2:TGID_X_EN: 1
; COMPUTE_PGM_RSRC2:TGID_Y_EN: 0
; COMPUTE_PGM_RSRC2:TGID_Z_EN: 0
; COMPUTE_PGM_RSRC2:TIDIG_COMP_CNT: 0
	.section	.text._ZN2at6native12_GLOBAL__N_124fused_dropout_kernel_vecIffjLi1ELi16EbEEvNS_4cuda6detail10TensorInfoIKT_T1_EENS5_IS6_S8_EENS5_IT4_S8_EES8_T0_NS_15PhiloxCudaStateE,"axG",@progbits,_ZN2at6native12_GLOBAL__N_124fused_dropout_kernel_vecIffjLi1ELi16EbEEvNS_4cuda6detail10TensorInfoIKT_T1_EENS5_IS6_S8_EENS5_IT4_S8_EES8_T0_NS_15PhiloxCudaStateE,comdat
	.globl	_ZN2at6native12_GLOBAL__N_124fused_dropout_kernel_vecIffjLi1ELi16EbEEvNS_4cuda6detail10TensorInfoIKT_T1_EENS5_IS6_S8_EENS5_IT4_S8_EES8_T0_NS_15PhiloxCudaStateE ; -- Begin function _ZN2at6native12_GLOBAL__N_124fused_dropout_kernel_vecIffjLi1ELi16EbEEvNS_4cuda6detail10TensorInfoIKT_T1_EENS5_IS6_S8_EENS5_IT4_S8_EES8_T0_NS_15PhiloxCudaStateE
	.p2align	8
	.type	_ZN2at6native12_GLOBAL__N_124fused_dropout_kernel_vecIffjLi1ELi16EbEEvNS_4cuda6detail10TensorInfoIKT_T1_EENS5_IS6_S8_EENS5_IT4_S8_EES8_T0_NS_15PhiloxCudaStateE,@function
_ZN2at6native12_GLOBAL__N_124fused_dropout_kernel_vecIffjLi1ELi16EbEEvNS_4cuda6detail10TensorInfoIKT_T1_EENS5_IS6_S8_EENS5_IT4_S8_EES8_T0_NS_15PhiloxCudaStateE: ; @_ZN2at6native12_GLOBAL__N_124fused_dropout_kernel_vecIffjLi1ELi16EbEEvNS_4cuda6detail10TensorInfoIKT_T1_EENS5_IS6_S8_EENS5_IT4_S8_EES8_T0_NS_15PhiloxCudaStateE
; %bb.0:
	s_clause 0x1
	s_load_b128 s[4:7], s[0:1], 0x290
	s_load_b32 s2, s[0:1], 0x2a8
	s_waitcnt lgkmcnt(0)
	v_dual_mov_b32 v1, s6 :: v_dual_mov_b32 v2, s7
	v_dual_mov_b32 v11, s5 :: v_dual_mov_b32 v10, s4
	s_bitcmp0_b32 s2, 0
	s_cbranch_scc1 .LBB7_2
; %bb.1:
	v_dual_mov_b32 v1, s6 :: v_dual_mov_b32 v2, s7
	v_dual_mov_b32 v3, s4 :: v_dual_mov_b32 v4, s5
	s_load_b64 s[2:3], s[0:1], 0x2a0
	flat_load_b64 v[1:2], v[1:2]
	flat_load_b64 v[10:11], v[3:4]
	s_waitcnt vmcnt(1) lgkmcnt(0)
	v_add_co_u32 v1, vcc_lo, v1, s2
	v_add_co_ci_u32_e32 v2, vcc_lo, s3, v2, vcc_lo
.LBB7_2:
	s_clause 0x1
	s_load_b32 s4, s[0:1], 0x2bc
	s_load_b64 s[16:17], s[0:1], 0x288
	s_add_u32 s2, s0, 0x2b0
	s_addc_u32 s3, s1, 0
	s_mov_b32 s5, exec_lo
	s_waitcnt lgkmcnt(0)
	s_and_b32 s4, s4, 0xffff
	s_delay_alu instid0(SALU_CYCLE_1) | instskip(NEXT) | instid1(VALU_DEP_1)
	v_mad_u64_u32 v[8:9], null, s15, s4, v[0:1]
	v_lshlrev_b32_e32 v12, 4, v8
	s_delay_alu instid0(VALU_DEP_1)
	v_cmpx_gt_u32_e64 s16, v12
	s_cbranch_execz .LBB7_45
; %bb.3:
	v_mad_u64_u32 v[3:4], null, 0xcd9e8d57, v8, 0
	v_alignbit_b32 v20, v2, v1, 2
	v_lshrrev_b32_e32 v9, 2, v2
	s_waitcnt vmcnt(0)
	v_mov_b32_e32 v16, v11
	v_add_co_u32 v22, null, 0x9e3779b9, v10
	v_mad_u64_u32 v[5:6], null, 0xd2511f53, v20, 0
	v_xor3_b32 v0, v10, v4, v9
	s_delay_alu instid0(VALU_DEP_4) | instskip(SKIP_1) | instid1(VALU_DEP_3)
	v_add_co_u32 v21, null, 0xbb67ae85, v16
	v_add_co_u32 v23, null, 0x3c6ef372, v10
	v_mad_u64_u32 v[13:14], null, 0xd2511f53, v0, 0
	v_xor_b32_e32 v0, v6, v11
	v_add_co_u32 v24, null, 0x76cf5d0a, v16
	v_add_co_u32 v25, null, 0x32370b8f, v16
	s_delay_alu instid0(VALU_DEP_3) | instskip(SKIP_3) | instid1(VALU_DEP_3)
	v_mad_u64_u32 v[6:7], null, 0xcd9e8d57, v0, 0
	v_xor3_b32 v0, v21, v14, v5
	v_add_co_u32 v26, null, 0xdaa66d2b, v10
	v_add_co_u32 v27, null, 0x78dde6e4, v10
	v_mad_u64_u32 v[4:5], null, 0xcd9e8d57, v0, 0
	v_xor3_b32 v0, v7, v22, v3
	v_add_co_u32 v28, null, 0xed9eba14, v16
	v_add_co_u32 v29, null, 0xa9066899, v16
	s_delay_alu instid0(VALU_DEP_3) | instskip(SKIP_3) | instid1(VALU_DEP_3)
	v_mad_u64_u32 v[2:3], null, 0xd2511f53, v0, 0
	v_xor3_b32 v0, v23, v5, v6
	v_div_scale_f32 v17, null, s17, s17, 1.0
	v_add_co_u32 v30, null, 0x1715609d, v10
	v_mad_u64_u32 v[5:6], null, 0xd2511f53, v0, 0
	v_xor3_b32 v0, v3, v24, v13
	s_delay_alu instid0(VALU_DEP_4) | instskip(SKIP_2) | instid1(VALU_DEP_3)
	v_rcp_f32_e32 v18, v17
	v_add_co_u32 v31, null, 0xb54cda56, v10
	v_add_co_u32 v32, null, 0x646e171e, v16
	v_mad_u64_u32 v[13:14], null, 0xcd9e8d57, v0, 0
	v_xor3_b32 v0, v25, v6, v2
	v_add_co_u32 v34, null, 0x5384540f, v10
	v_add_co_u32 v35, null, 0xf1bbcdc8, v10
	s_delay_alu instid0(VALU_DEP_3)
	v_mad_u64_u32 v[2:3], null, 0xcd9e8d57, v0, 0
	v_xor3_b32 v0, v14, v26, v4
	s_load_b32 s2, s[2:3], 0x0
	s_clause 0x2
	s_load_b64 s[18:19], s[0:1], 0x0
	s_load_b64 s[20:21], s[0:1], 0xd8
	s_load_b64 s[22:23], s[0:1], 0x1b0
	v_add_nc_u32_e32 v37, 0x8ff34781, v10
	v_and_b32_e32 v39, 3, v1
	v_mad_u64_u32 v[6:7], null, 0xd2511f53, v0, 0
	v_xor3_b32 v0, v27, v3, v13
	s_mov_b32 s15, 0
	v_add_nc_u32_e32 v38, 0x96a522ad, v11
	s_delay_alu instid0(VALU_DEP_2) | instskip(NEXT) | instid1(VALU_DEP_4)
	v_mad_u64_u32 v[3:4], null, 0xd2511f53, v0, 0
	v_xor3_b32 v0, v7, v28, v5
	s_delay_alu instid0(VALU_DEP_1) | instskip(NEXT) | instid1(VALU_DEP_3)
	v_mad_u64_u32 v[13:14], null, 0xcd9e8d57, v0, 0
	v_xor3_b32 v0, v29, v4, v6
	s_waitcnt lgkmcnt(0)
	s_mul_i32 s2, s2, s4
	s_delay_alu instid0(SALU_CYCLE_1) | instskip(NEXT) | instid1(VALU_DEP_1)
	s_lshl_b32 s24, s2, 4
	v_mad_u64_u32 v[4:5], null, 0xcd9e8d57, v0, 0
	s_delay_alu instid0(VALU_DEP_3) | instskip(SKIP_1) | instid1(VALU_DEP_2)
	v_xor3_b32 v0, v14, v30, v2
	v_fma_f32 v2, -v17, v18, 1.0
	v_mad_u64_u32 v[6:7], null, 0xd2511f53, v0, 0
	s_delay_alu instid0(VALU_DEP_4) | instskip(SKIP_1) | instid1(VALU_DEP_4)
	v_xor3_b32 v0, v31, v5, v13
	v_div_scale_f32 v5, vcc_lo, 1.0, s17, 1.0
	v_fmac_f32_e32 v18, v2, v18
	s_delay_alu instid0(VALU_DEP_3) | instskip(SKIP_1) | instid1(VALU_DEP_3)
	v_mad_u64_u32 v[13:14], null, 0xd2511f53, v0, 0
	v_xor3_b32 v0, v7, v32, v3
	v_mul_f32_e32 v7, v5, v18
	v_add_co_u32 v33, null, 0x1fd5c5a3, v16
	v_add_co_u32 v36, null, 0xdb3d7428, v16
	s_delay_alu instid0(VALU_DEP_4) | instskip(NEXT) | instid1(VALU_DEP_3)
	v_mad_u64_u32 v[2:3], null, 0xcd9e8d57, v0, 0
	v_xor3_b32 v0, v33, v14, v6
	v_fma_f32 v6, -v17, v7, v5
	s_delay_alu instid0(VALU_DEP_2) | instskip(NEXT) | instid1(VALU_DEP_4)
	v_mad_u64_u32 v[14:15], null, 0xcd9e8d57, v0, 0
	v_xor3_b32 v0, v3, v34, v4
	s_delay_alu instid0(VALU_DEP_1) | instskip(NEXT) | instid1(VALU_DEP_3)
	v_mad_u64_u32 v[3:4], null, 0xd2511f53, v0, 0
	v_xor3_b32 v0, v35, v15, v2
	s_delay_alu instid0(VALU_DEP_1) | instskip(NEXT) | instid1(VALU_DEP_3)
	v_mad_u64_u32 v[15:16], null, 0xd2511f53, v0, 0
	v_xor3_b32 v2, v4, v36, v13
	v_mov_b32_e32 v13, 0
	v_fmac_f32_e32 v7, v6, v18
	s_delay_alu instid0(VALU_DEP_2) | instskip(NEXT) | instid1(VALU_DEP_2)
	v_mov_b32_e32 v19, v13
	v_fma_f32 v4, -v17, v7, v5
	v_mad_u64_u32 v[5:6], null, 0xcd9e8d57, v2, 0
	s_delay_alu instid0(VALU_DEP_2) | instskip(SKIP_1) | instid1(VALU_DEP_3)
	v_div_fmas_f32 v0, v4, v18, v7
	v_mov_b32_e32 v7, v15
	v_xor3_b32 v4, v14, v6, v37
	s_delay_alu instid0(VALU_DEP_3)
	v_div_fixup_f32 v40, v0, s17, 1.0
	v_xor3_b32 v6, v16, v3, v38
	s_branch .LBB7_6
.LBB7_4:                                ;   in Loop: Header=BB7_6 Depth=1
	s_or_b32 exec_lo, exec_lo, s1
	s_delay_alu instid0(VALU_DEP_1)
	v_mov_b32_e32 v7, v48
.LBB7_5:                                ;   in Loop: Header=BB7_6 Depth=1
	s_or_b32 exec_lo, exec_lo, s0
	v_lshlrev_b64 v[47:48], 2, v[12:13]
	v_cvt_f32_u32_e32 v2, v2
	v_cvt_f32_u32_e32 v0, v0
	;; [unrolled: 1-line block ×5, first 2 shown]
	v_add_co_u32 v63, vcc_lo, s18, v47
	v_add_co_ci_u32_e32 v64, vcc_lo, s19, v48, vcc_lo
	v_dual_fmaak_f32 v2, 0x2f800000, v2, 0x2f800000 :: v_dual_fmaak_f32 v3, 0x2f800000, v3, 0x2f800000
	v_cvt_f32_u32_e32 v18, v46
	s_clause 0x3
	global_load_b128 v[51:54], v[63:64], off
	global_load_b128 v[55:58], v[63:64], off offset:16
	global_load_b128 v[59:62], v[63:64], off offset:32
	;; [unrolled: 1-line block ×3, first 2 shown]
	v_cvt_f32_u32_e32 v43, v43
	v_cvt_f32_u32_e32 v15, v15
	v_cvt_f32_u32_e32 v1, v1
	v_cvt_f32_u32_e32 v7, v7
	v_cvt_f32_u32_e32 v46, v50
	v_cvt_f32_u32_e32 v42, v42
	v_cvt_f32_u32_e32 v41, v41
	v_cvt_f32_u32_e32 v17, v17
	v_dual_fmaak_f32 v0, 0x2f800000, v0, 0x2f800000 :: v_dual_fmaak_f32 v1, 0x2f800000, v1, 0x2f800000
	v_cmp_gt_f32_e64 s1, s17, v2
	v_dual_fmaak_f32 v44, 0x2f800000, v44, 0x2f800000 :: v_dual_fmaak_f32 v67, 0x2f800000, v14, 0x2f800000
	v_add_co_u32 v14, vcc_lo, s20, v47
	v_dual_fmaak_f32 v18, 0x2f800000, v18, 0x2f800000 :: v_dual_fmaak_f32 v43, 0x2f800000, v43, 0x2f800000
	v_cvt_f32_u32_e32 v45, v45
	v_fmaak_f32 v50, 0x2f800000, v15, 0x2f800000
	v_dual_fmaak_f32 v7, 0x2f800000, v7, 0x2f800000 :: v_dual_fmaak_f32 v46, 0x2f800000, v46, 0x2f800000
	v_add_co_ci_u32_e32 v15, vcc_lo, s21, v48, vcc_lo
	v_cvt_f32_u32_e32 v49, v49
	v_dual_fmaak_f32 v42, 0x2f800000, v42, 0x2f800000 :: v_dual_fmaak_f32 v41, 0x2f800000, v41, 0x2f800000
	v_cmp_gt_f32_e32 vcc_lo, s17, v0
	v_cndmask_b32_e64 v48, 0, 1.0, s1
	v_fmaak_f32 v17, 0x2f800000, v17, 0x2f800000
	v_cmp_gt_f32_e64 s4, s17, v43
	v_cmp_gt_f32_e64 s8, s17, v18
	v_fmaak_f32 v45, 0x2f800000, v45, 0x2f800000
	v_cmp_gt_f32_e64 s0, s17, v1
	v_cmp_gt_f32_e64 s10, s17, v44
	;; [unrolled: 1-line block ×3, first 2 shown]
	v_cndmask_b32_e64 v0, 0, 1.0, vcc_lo
	v_fmaak_f32 v49, 0x2f800000, v49, 0x2f800000
	v_cmp_gt_f32_e64 s6, s17, v41
	v_cmp_gt_f32_e64 s2, s17, v3
	;; [unrolled: 1-line block ×4, first 2 shown]
	v_cndmask_b32_e64 v71, 0, 1, s4
	v_cndmask_b32_e64 v75, 0, 1, s8
	v_cmp_gt_f32_e64 s9, s17, v45
	v_cmp_gt_f32_e64 s11, s17, v7
	v_cndmask_b32_e64 v2, 0, 1, s0
	v_cndmask_b32_e64 v77, 0, 1, s12
	;; [unrolled: 1-line block ×3, first 2 shown]
	v_cmp_gt_f32_e64 s5, s17, v42
	v_cndmask_b32_e64 v73, 0, 1, s6
	v_cndmask_b32_e64 v69, 0, 1, s2
	;; [unrolled: 1-line block ×4, first 2 shown]
	v_lshlrev_b16 v75, 8, v75
	v_lshlrev_b16 v71, 8, v71
	v_cndmask_b32_e64 v1, 0, 1, vcc_lo
	v_cndmask_b32_e64 v76, 0, 1, s9
	v_cndmask_b32_e64 v80, 0, 1, s11
	v_lshlrev_b16 v77, 8, v77
	v_lshlrev_b16 v79, 8, v79
	;; [unrolled: 1-line block ×3, first 2 shown]
	v_cndmask_b32_e64 v72, 0, 1, s5
	v_lshlrev_b16 v73, 8, v73
	v_cndmask_b32_e64 v3, 0, 1, s1
	v_lshlrev_b16 v69, 8, v69
	v_cndmask_b32_e64 v47, 0, 1.0, s0
	v_cndmask_b32_e64 v68, 0, 1.0, s2
	v_or_b32_e32 v74, v74, v75
	v_or_b32_e32 v70, v70, v71
	v_cndmask_b32_e64 v67, 0, 1.0, s3
	v_cndmask_b32_e64 v43, 0, 1.0, s4
	;; [unrolled: 1-line block ×4, first 2 shown]
	v_or_b32_e32 v77, v80, v77
	v_or_b32_e32 v75, v76, v79
	;; [unrolled: 1-line block ×3, first 2 shown]
	v_cndmask_b32_e64 v50, 0, 1.0, s7
	v_cndmask_b32_e64 v18, 0, 1.0, s8
	;; [unrolled: 1-line block ×4, first 2 shown]
	v_or_b32_e32 v71, v72, v73
	v_cndmask_b32_e64 v7, 0, 1.0, s11
	v_cndmask_b32_e64 v46, 0, 1.0, s12
	v_or_b32_e32 v2, v3, v69
	v_and_b32_e32 v72, 0xffff, v74
	v_and_b32_e32 v70, 0xffff, v70
	;; [unrolled: 1-line block ×3, first 2 shown]
	v_lshlrev_b32_e32 v73, 16, v75
	v_and_b32_e32 v74, 0xffff, v1
	s_waitcnt vmcnt(3)
	v_dual_mul_f32 v48, v53, v48 :: v_dual_lshlrev_b32 v71, 16, v71
	v_cmp_gt_f32_e64 s14, s17, v17
	s_waitcnt vmcnt(1)
	v_mul_f32_e32 v50, v59, v50
	v_mul_f32_e32 v0, v51, v0
	v_cmp_gt_f32_e64 s13, s17, v49
	v_mul_f32_e32 v47, v52, v47
	v_cndmask_b32_e64 v78, 0, 1, s14
	v_cndmask_b32_e64 v17, 0, 1.0, s14
	v_mul_f32_e32 v51, v54, v68
	v_cndmask_b32_e64 v81, 0, 1, s13
	v_cndmask_b32_e64 v49, 0, 1.0, s13
	v_lshlrev_b16 v78, 8, v78
	v_mul_f32_e32 v52, v55, v67
	v_dual_mul_f32 v53, v56, v43 :: v_dual_mul_f32 v54, v57, v42
	v_dual_mul_f32 v55, v58, v41 :: v_dual_mul_f32 v18, v60, v18
	s_delay_alu instid0(VALU_DEP_4) | instskip(SKIP_3) | instid1(VALU_DEP_3)
	v_or_b32_e32 v78, v81, v78
	s_waitcnt vmcnt(0)
	v_dual_mul_f32 v57, v62, v44 :: v_dual_mul_f32 v58, v64, v46
	v_dual_mul_f32 v56, v61, v45 :: v_dual_mul_f32 v7, v63, v7
	v_dual_mul_f32 v46, v40, v53 :: v_dual_lshlrev_b32 v69, 16, v78
	v_dual_mul_f32 v59, v65, v49 :: v_dual_mul_f32 v44, v40, v51
	v_mul_f32_e32 v17, v66, v17
	v_dual_mul_f32 v42, v40, v47 :: v_dual_lshlrev_b32 v75, 16, v2
	v_mul_f32_e32 v41, v40, v0
	v_mul_f32_e32 v43, v40, v48
	;; [unrolled: 1-line block ×13, first 2 shown]
	v_or_b32_e32 v3, v3, v69
	v_or_b32_e32 v2, v72, v73
	;; [unrolled: 1-line block ×4, first 2 shown]
	s_clause 0x3
	global_store_b128 v[14:15], v[41:44], off
	global_store_b128 v[14:15], v[45:48], off offset:16
	global_store_b128 v[14:15], v[49:52], off offset:32
	;; [unrolled: 1-line block ×3, first 2 shown]
	global_store_b128 v12, v[0:3], s[22:23]
	v_dual_mov_b32 v7, v16 :: v_dual_add_nc_u32 v12, s24, v12
	s_waitcnt_vscnt null, 0x0
	s_barrier
	buffer_gl0_inv
	v_cmp_le_u32_e32 vcc_lo, s16, v12
	s_or_b32 s15, vcc_lo, s15
	s_delay_alu instid0(SALU_CYCLE_1)
	s_and_not1_b32 exec_lo, exec_lo, s15
	s_cbranch_execz .LBB7_45
.LBB7_6:                                ; =>This Inner Loop Header: Depth=1
	v_add_co_u32 v2, vcc_lo, v20, 1
	s_delay_alu instid0(VALU_DEP_1) | instskip(SKIP_2) | instid1(VALU_DEP_1)
	v_cndmask_b32_e64 v0, 0, 1, vcc_lo
	v_add_co_ci_u32_e32 v16, vcc_lo, 0, v9, vcc_lo
	s_mov_b32 s0, exec_lo
	v_cmp_eq_u32_e32 vcc_lo, 0, v16
	s_delay_alu instid0(VALU_DEP_3) | instskip(SKIP_1) | instid1(VALU_DEP_2)
	v_cndmask_b32_e32 v3, 0, v0, vcc_lo
	v_mad_u64_u32 v[0:1], null, 0xd2511f53, v2, 0
	v_add_nc_u32_e32 v18, v3, v8
	s_delay_alu instid0(VALU_DEP_2) | instskip(NEXT) | instid1(VALU_DEP_2)
	v_xor_b32_e32 v8, v1, v11
	v_cmp_eq_u32_e32 vcc_lo, 0, v18
	v_cndmask_b32_e32 v3, 0, v3, vcc_lo
	v_mad_u64_u32 v[1:2], null, 0xcd9e8d57, v18, 0
	s_delay_alu instid0(VALU_DEP_2) | instskip(NEXT) | instid1(VALU_DEP_2)
	v_add_nc_u32_e32 v19, v3, v19
	v_xor3_b32 v14, v2, v10, v16
	s_delay_alu instid0(VALU_DEP_2) | instskip(NEXT) | instid1(VALU_DEP_1)
	v_xor_b32_e32 v8, v19, v8
	v_mad_u64_u32 v[2:3], null, 0xcd9e8d57, v8, 0
	s_delay_alu instid0(VALU_DEP_3) | instskip(NEXT) | instid1(VALU_DEP_2)
	v_mad_u64_u32 v[8:9], null, 0xd2511f53, v14, 0
	v_xor3_b32 v3, v22, v3, v1
	s_delay_alu instid0(VALU_DEP_2) | instskip(NEXT) | instid1(VALU_DEP_2)
	v_xor3_b32 v9, v21, v9, v0
	v_mad_u64_u32 v[0:1], null, 0xd2511f53, v3, 0
	s_delay_alu instid0(VALU_DEP_2) | instskip(NEXT) | instid1(VALU_DEP_2)
	v_mad_u64_u32 v[14:15], null, 0xcd9e8d57, v9, 0
	v_xor3_b32 v3, v24, v1, v8
	s_delay_alu instid0(VALU_DEP_2) | instskip(NEXT) | instid1(VALU_DEP_2)
	v_xor3_b32 v15, v23, v15, v2
	v_mad_u64_u32 v[1:2], null, 0xcd9e8d57, v3, 0
	s_delay_alu instid0(VALU_DEP_2) | instskip(NEXT) | instid1(VALU_DEP_2)
	;; [unrolled: 6-line block ×8, first 2 shown]
	v_mad_u64_u32 v[14:15], null, 0xd2511f53, v2, 0
	v_xor3_b32 v17, v9, v41, v37
	s_delay_alu instid0(VALU_DEP_2)
	v_xor3_b32 v9, v15, v0, v38
                                        ; implicit-def: $vgpr0_vgpr1_vgpr2_vgpr3
	v_cmpx_lt_i32_e32 1, v39
	s_xor_b32 s0, exec_lo, s0
	s_cbranch_execz .LBB7_12
; %bb.7:                                ;   in Loop: Header=BB7_6 Depth=1
	s_mov_b32 s1, exec_lo
                                        ; implicit-def: $vgpr0_vgpr1_vgpr2_vgpr3
	v_cmpx_lt_i32_e32 2, v39
	s_xor_b32 s1, exec_lo, s1
; %bb.8:                                ;   in Loop: Header=BB7_6 Depth=1
	v_dual_mov_b32 v6, v7 :: v_dual_mov_b32 v7, v17
	s_delay_alu instid0(VALU_DEP_1)
	v_dual_mov_b32 v0, v6 :: v_dual_mov_b32 v1, v7
	v_dual_mov_b32 v2, v8 :: v_dual_mov_b32 v3, v9
                                        ; implicit-def: $vgpr4_vgpr5_vgpr6_vgpr7
; %bb.9:                                ;   in Loop: Header=BB7_6 Depth=1
	s_and_not1_saveexec_b32 s1, s1
; %bb.10:                               ;   in Loop: Header=BB7_6 Depth=1
	v_dual_mov_b32 v0, v6 :: v_dual_mov_b32 v1, v7
	v_dual_mov_b32 v2, v17 :: v_dual_mov_b32 v3, v8
; %bb.11:                               ;   in Loop: Header=BB7_6 Depth=1
	s_or_b32 exec_lo, exec_lo, s1
                                        ; implicit-def: $vgpr4_vgpr5_vgpr6_vgpr7
.LBB7_12:                               ;   in Loop: Header=BB7_6 Depth=1
	s_and_not1_saveexec_b32 s0, s0
	s_cbranch_execz .LBB7_16
; %bb.13:                               ;   in Loop: Header=BB7_6 Depth=1
	s_mov_b32 s1, exec_lo
	v_cmpx_eq_u32_e32 1, v39
; %bb.14:                               ;   in Loop: Header=BB7_6 Depth=1
	v_dual_mov_b32 v4, v5 :: v_dual_mov_b32 v5, v6
	v_dual_mov_b32 v6, v7 :: v_dual_mov_b32 v7, v17
; %bb.15:                               ;   in Loop: Header=BB7_6 Depth=1
	s_or_b32 exec_lo, exec_lo, s1
	s_delay_alu instid0(VALU_DEP_2) | instskip(NEXT) | instid1(VALU_DEP_2)
	v_dual_mov_b32 v0, v4 :: v_dual_mov_b32 v1, v5
	v_dual_mov_b32 v2, v6 :: v_dual_mov_b32 v3, v7
.LBB7_16:                               ;   in Loop: Header=BB7_6 Depth=1
	s_or_b32 exec_lo, exec_lo, s0
	v_add_nc_u32_e32 v6, 2, v20
	s_mov_b32 s0, exec_lo
	s_delay_alu instid0(VALU_DEP_1) | instskip(SKIP_2) | instid1(VALU_DEP_1)
	v_cmp_eq_u32_e32 vcc_lo, 0, v6
	v_cndmask_b32_e64 v4, 0, 1, vcc_lo
	v_add_co_ci_u32_e32 v7, vcc_lo, 0, v16, vcc_lo
	v_cmp_eq_u32_e32 vcc_lo, 0, v7
	s_delay_alu instid0(VALU_DEP_3) | instskip(SKIP_1) | instid1(VALU_DEP_2)
	v_cndmask_b32_e32 v15, 0, v4, vcc_lo
	v_mad_u64_u32 v[4:5], null, 0xd2511f53, v6, 0
	v_add_nc_u32_e32 v18, v15, v18
	s_delay_alu instid0(VALU_DEP_2) | instskip(NEXT) | instid1(VALU_DEP_2)
	v_xor_b32_e32 v5, v5, v11
	v_cmp_eq_u32_e32 vcc_lo, 0, v18
	v_cndmask_b32_e32 v6, 0, v15, vcc_lo
	v_mad_u64_u32 v[15:16], null, 0xcd9e8d57, v18, 0
	s_delay_alu instid0(VALU_DEP_2) | instskip(NEXT) | instid1(VALU_DEP_2)
	v_add_nc_u32_e32 v19, v6, v19
	v_xor3_b32 v16, v16, v10, v7
	s_delay_alu instid0(VALU_DEP_2) | instskip(NEXT) | instid1(VALU_DEP_2)
	v_xor_b32_e32 v43, v19, v5
	v_mad_u64_u32 v[5:6], null, 0xd2511f53, v16, 0
	s_delay_alu instid0(VALU_DEP_2) | instskip(NEXT) | instid1(VALU_DEP_2)
	v_mad_u64_u32 v[41:42], null, 0xcd9e8d57, v43, 0
	v_xor3_b32 v4, v21, v6, v4
	s_delay_alu instid0(VALU_DEP_2) | instskip(NEXT) | instid1(VALU_DEP_2)
	v_xor3_b32 v6, v22, v42, v15
	v_mad_u64_u32 v[15:16], null, 0xcd9e8d57, v4, 0
	s_delay_alu instid0(VALU_DEP_2) | instskip(NEXT) | instid1(VALU_DEP_2)
	v_mad_u64_u32 v[42:43], null, 0xd2511f53, v6, 0
	v_xor3_b32 v6, v23, v16, v41
	s_delay_alu instid0(VALU_DEP_2) | instskip(NEXT) | instid1(VALU_DEP_2)
	v_xor3_b32 v16, v24, v43, v5
	;; [unrolled: 6-line block ×7, first 2 shown]
	v_mad_u64_u32 v[42:43], null, 0xcd9e8d57, v6, 0
	s_delay_alu instid0(VALU_DEP_2) | instskip(NEXT) | instid1(VALU_DEP_2)
	v_mad_u64_u32 v[44:45], null, 0xd2511f53, v4, 0
	v_xor3_b32 v4, v35, v43, v41
                                        ; implicit-def: $vgpr41
                                        ; implicit-def: $vgpr43
	s_delay_alu instid0(VALU_DEP_2) | instskip(NEXT) | instid1(VALU_DEP_2)
	v_xor3_b32 v6, v36, v45, v5
	v_mad_u64_u32 v[15:16], null, 0xd2511f53, v4, 0
	s_delay_alu instid0(VALU_DEP_2) | instskip(NEXT) | instid1(VALU_DEP_2)
	v_mad_u64_u32 v[4:5], null, 0xcd9e8d57, v6, 0
	v_xor3_b32 v6, v16, v44, v38
	s_delay_alu instid0(VALU_DEP_2)
	v_xor3_b32 v5, v5, v42, v37
                                        ; implicit-def: $vgpr42
	v_cmpx_lt_i32_e32 1, v39
	s_xor_b32 s0, exec_lo, s0
	s_cbranch_execz .LBB7_22
; %bb.17:                               ;   in Loop: Header=BB7_6 Depth=1
	s_mov_b32 s1, exec_lo
	v_cmpx_lt_i32_e32 2, v39
	s_xor_b32 s1, exec_lo, s1
; %bb.18:                               ;   in Loop: Header=BB7_6 Depth=1
                                        ; implicit-def: $vgpr9
; %bb.19:                               ;   in Loop: Header=BB7_6 Depth=1
	s_delay_alu instid0(SALU_CYCLE_1)
	s_or_saveexec_b32 s1, s1
	v_dual_mov_b32 v41, v6 :: v_dual_mov_b32 v42, v4
	v_mov_b32_e32 v43, v5
	s_xor_b32 exec_lo, exec_lo, s1
; %bb.20:                               ;   in Loop: Header=BB7_6 Depth=1
	v_dual_mov_b32 v41, v4 :: v_dual_mov_b32 v42, v5
	v_dual_mov_b32 v43, v14 :: v_dual_mov_b32 v14, v9
; %bb.21:                               ;   in Loop: Header=BB7_6 Depth=1
	s_or_b32 exec_lo, exec_lo, s1
                                        ; implicit-def: $vgpr9
                                        ; implicit-def: $vgpr17
.LBB7_22:                               ;   in Loop: Header=BB7_6 Depth=1
	s_and_not1_saveexec_b32 s0, s0
	s_cbranch_execz .LBB7_26
; %bb.23:                               ;   in Loop: Header=BB7_6 Depth=1
	s_delay_alu instid0(VALU_DEP_1)
	v_dual_mov_b32 v41, v14 :: v_dual_mov_b32 v42, v9
	v_mov_b32_e32 v43, v8
	s_mov_b32 s1, exec_lo
	v_cmpx_eq_u32_e32 1, v39
; %bb.24:                               ;   in Loop: Header=BB7_6 Depth=1
	v_dual_mov_b32 v41, v5 :: v_dual_mov_b32 v42, v14
	v_mov_b32_e32 v43, v9
	v_mov_b32_e32 v17, v8
; %bb.25:                               ;   in Loop: Header=BB7_6 Depth=1
	s_or_b32 exec_lo, exec_lo, s1
	s_delay_alu instid0(VALU_DEP_1)
	v_mov_b32_e32 v14, v17
.LBB7_26:                               ;   in Loop: Header=BB7_6 Depth=1
	s_or_b32 exec_lo, exec_lo, s0
	v_add_nc_u32_e32 v17, 3, v20
	s_mov_b32 s0, exec_lo
	s_delay_alu instid0(VALU_DEP_1) | instskip(SKIP_2) | instid1(VALU_DEP_1)
	v_cmp_eq_u32_e32 vcc_lo, 0, v17
	v_cndmask_b32_e64 v8, 0, 1, vcc_lo
	v_add_co_ci_u32_e32 v9, vcc_lo, 0, v7, vcc_lo
	v_cmp_eq_u32_e32 vcc_lo, 0, v9
	s_delay_alu instid0(VALU_DEP_3) | instskip(SKIP_1) | instid1(VALU_DEP_2)
	v_cndmask_b32_e32 v44, 0, v8, vcc_lo
	v_mad_u64_u32 v[7:8], null, 0xd2511f53, v17, 0
	v_add_nc_u32_e32 v16, v44, v18
	s_delay_alu instid0(VALU_DEP_2) | instskip(NEXT) | instid1(VALU_DEP_2)
	v_xor_b32_e32 v8, v8, v11
	v_cmp_eq_u32_e32 vcc_lo, 0, v16
	v_cndmask_b32_e32 v17, 0, v44, vcc_lo
	v_mad_u64_u32 v[44:45], null, 0xcd9e8d57, v16, 0
	s_delay_alu instid0(VALU_DEP_2) | instskip(NEXT) | instid1(VALU_DEP_2)
	v_add_nc_u32_e32 v17, v17, v19
	v_xor3_b32 v45, v45, v10, v9
	s_delay_alu instid0(VALU_DEP_2) | instskip(NEXT) | instid1(VALU_DEP_2)
	v_xor_b32_e32 v8, v17, v8
	v_mad_u64_u32 v[18:19], null, 0xd2511f53, v45, 0
	s_delay_alu instid0(VALU_DEP_2) | instskip(NEXT) | instid1(VALU_DEP_2)
	v_mad_u64_u32 v[45:46], null, 0xcd9e8d57, v8, 0
	v_xor3_b32 v19, v21, v19, v7
	s_delay_alu instid0(VALU_DEP_2) | instskip(NEXT) | instid1(VALU_DEP_2)
	v_xor3_b32 v44, v22, v46, v44
	v_mad_u64_u32 v[7:8], null, 0xcd9e8d57, v19, 0
	s_delay_alu instid0(VALU_DEP_2) | instskip(NEXT) | instid1(VALU_DEP_2)
	v_mad_u64_u32 v[46:47], null, 0xd2511f53, v44, 0
	v_xor3_b32 v8, v23, v8, v45
	s_delay_alu instid0(VALU_DEP_2) | instskip(NEXT) | instid1(VALU_DEP_2)
	v_xor3_b32 v47, v24, v47, v18
	;; [unrolled: 6-line block ×7, first 2 shown]
	v_mad_u64_u32 v[46:47], null, 0xcd9e8d57, v8, 0
	s_delay_alu instid0(VALU_DEP_2) | instskip(NEXT) | instid1(VALU_DEP_2)
	v_mad_u64_u32 v[48:49], null, 0xd2511f53, v7, 0
	v_xor3_b32 v19, v35, v47, v45
                                        ; implicit-def: $vgpr45
	s_delay_alu instid0(VALU_DEP_2) | instskip(NEXT) | instid1(VALU_DEP_2)
	v_xor3_b32 v44, v36, v49, v18
	v_mad_u64_u32 v[7:8], null, 0xd2511f53, v19, 0
	s_delay_alu instid0(VALU_DEP_2) | instskip(NEXT) | instid1(VALU_DEP_2)
	v_mad_u64_u32 v[18:19], null, 0xcd9e8d57, v44, 0
                                        ; implicit-def: $vgpr44
	v_xor3_b32 v47, v8, v48, v38
	s_delay_alu instid0(VALU_DEP_2)
	v_xor3_b32 v48, v19, v46, v37
                                        ; implicit-def: $vgpr46
	v_cmpx_lt_i32_e32 1, v39
	s_xor_b32 s0, exec_lo, s0
	s_cbranch_execz .LBB7_32
; %bb.27:                               ;   in Loop: Header=BB7_6 Depth=1
	s_mov_b32 s1, exec_lo
	v_cmpx_lt_i32_e32 2, v39
	s_xor_b32 s1, exec_lo, s1
; %bb.28:                               ;   in Loop: Header=BB7_6 Depth=1
                                        ; implicit-def: $vgpr6
; %bb.29:                               ;   in Loop: Header=BB7_6 Depth=1
	s_delay_alu instid0(SALU_CYCLE_1)
	s_or_saveexec_b32 s1, s1
	v_dual_mov_b32 v44, v47 :: v_dual_mov_b32 v45, v18
	v_mov_b32_e32 v46, v48
	s_xor_b32 exec_lo, exec_lo, s1
; %bb.30:                               ;   in Loop: Header=BB7_6 Depth=1
	v_dual_mov_b32 v44, v18 :: v_dual_mov_b32 v45, v48
	v_dual_mov_b32 v46, v15 :: v_dual_mov_b32 v15, v6
; %bb.31:                               ;   in Loop: Header=BB7_6 Depth=1
	s_or_b32 exec_lo, exec_lo, s1
                                        ; implicit-def: $vgpr6
                                        ; implicit-def: $vgpr4
                                        ; implicit-def: $vgpr5
.LBB7_32:                               ;   in Loop: Header=BB7_6 Depth=1
	s_and_not1_saveexec_b32 s0, s0
	s_cbranch_execz .LBB7_36
; %bb.33:                               ;   in Loop: Header=BB7_6 Depth=1
	s_delay_alu instid0(VALU_DEP_1)
	v_dual_mov_b32 v44, v15 :: v_dual_mov_b32 v45, v6
	v_mov_b32_e32 v46, v4
	s_mov_b32 s1, exec_lo
	v_cmpx_eq_u32_e32 1, v39
; %bb.34:                               ;   in Loop: Header=BB7_6 Depth=1
	v_dual_mov_b32 v44, v48 :: v_dual_mov_b32 v45, v15
	v_dual_mov_b32 v46, v6 :: v_dual_mov_b32 v5, v4
; %bb.35:                               ;   in Loop: Header=BB7_6 Depth=1
	s_or_b32 exec_lo, exec_lo, s1
	s_delay_alu instid0(VALU_DEP_1)
	v_mov_b32_e32 v15, v5
.LBB7_36:                               ;   in Loop: Header=BB7_6 Depth=1
	s_or_b32 exec_lo, exec_lo, s0
	v_add_nc_u32_e32 v20, 4, v20
	s_mov_b32 s0, exec_lo
	s_delay_alu instid0(VALU_DEP_1) | instskip(SKIP_2) | instid1(VALU_DEP_1)
	v_cmp_eq_u32_e32 vcc_lo, 0, v20
	v_cndmask_b32_e64 v4, 0, 1, vcc_lo
	v_add_co_ci_u32_e32 v9, vcc_lo, 0, v9, vcc_lo
	v_cmp_eq_u32_e32 vcc_lo, 0, v9
	s_delay_alu instid0(VALU_DEP_3) | instskip(NEXT) | instid1(VALU_DEP_1)
	v_cndmask_b32_e32 v4, 0, v4, vcc_lo
	v_add_nc_u32_e32 v8, v4, v16
	s_delay_alu instid0(VALU_DEP_1) | instskip(SKIP_1) | instid1(VALU_DEP_1)
	v_cmp_eq_u32_e32 vcc_lo, 0, v8
	v_cndmask_b32_e32 v4, 0, v4, vcc_lo
	v_add_nc_u32_e32 v19, v4, v17
	v_mad_u64_u32 v[4:5], null, 0xd2511f53, v20, 0
	v_mad_u64_u32 v[16:17], null, 0xcd9e8d57, v8, 0
	s_delay_alu instid0(VALU_DEP_2) | instskip(NEXT) | instid1(VALU_DEP_2)
	v_xor_b32_e32 v5, v5, v11
	v_xor3_b32 v17, v17, v10, v9
	s_delay_alu instid0(VALU_DEP_2) | instskip(NEXT) | instid1(VALU_DEP_1)
	v_xor_b32_e32 v49, v19, v5
	v_mad_u64_u32 v[5:6], null, 0xcd9e8d57, v49, 0
	s_delay_alu instid0(VALU_DEP_3) | instskip(NEXT) | instid1(VALU_DEP_2)
	v_mad_u64_u32 v[49:50], null, 0xd2511f53, v17, 0
	v_xor3_b32 v6, v22, v6, v16
	s_delay_alu instid0(VALU_DEP_2) | instskip(NEXT) | instid1(VALU_DEP_2)
	v_xor3_b32 v4, v21, v50, v4
	v_mad_u64_u32 v[16:17], null, 0xd2511f53, v6, 0
	s_delay_alu instid0(VALU_DEP_2) | instskip(NEXT) | instid1(VALU_DEP_2)
	v_mad_u64_u32 v[50:51], null, 0xcd9e8d57, v4, 0
	v_xor3_b32 v6, v24, v17, v49
	s_delay_alu instid0(VALU_DEP_2) | instskip(NEXT) | instid1(VALU_DEP_2)
	v_xor3_b32 v17, v23, v51, v5
	v_mad_u64_u32 v[4:5], null, 0xcd9e8d57, v6, 0
	s_delay_alu instid0(VALU_DEP_2) | instskip(NEXT) | instid1(VALU_DEP_2)
	;; [unrolled: 6-line block ×8, first 2 shown]
	v_mad_u64_u32 v[16:17], null, 0xd2511f53, v49, 0
                                        ; implicit-def: $vgpr49
	v_xor3_b32 v4, v6, v52, v37
	s_delay_alu instid0(VALU_DEP_2)
	v_xor3_b32 v6, v17, v50, v38
                                        ; implicit-def: $vgpr17
                                        ; implicit-def: $vgpr50
	v_cmpx_lt_i32_e32 1, v39
	s_xor_b32 s0, exec_lo, s0
	s_cbranch_execz .LBB7_42
; %bb.37:                               ;   in Loop: Header=BB7_6 Depth=1
	s_mov_b32 s1, exec_lo
	v_cmpx_lt_i32_e32 2, v39
	s_xor_b32 s1, exec_lo, s1
; %bb.38:                               ;   in Loop: Header=BB7_6 Depth=1
                                        ; implicit-def: $vgpr47
; %bb.39:                               ;   in Loop: Header=BB7_6 Depth=1
	s_delay_alu instid0(SALU_CYCLE_1)
	s_or_saveexec_b32 s1, s1
	v_dual_mov_b32 v17, v6 :: v_dual_mov_b32 v50, v4
	v_mov_b32_e32 v49, v5
	s_xor_b32 exec_lo, exec_lo, s1
; %bb.40:                               ;   in Loop: Header=BB7_6 Depth=1
	v_dual_mov_b32 v17, v5 :: v_dual_mov_b32 v50, v7
	v_mov_b32_e32 v49, v4
	v_mov_b32_e32 v7, v47
; %bb.41:                               ;   in Loop: Header=BB7_6 Depth=1
	s_or_b32 exec_lo, exec_lo, s1
                                        ; implicit-def: $vgpr47
                                        ; implicit-def: $vgpr18
                                        ; implicit-def: $vgpr48
.LBB7_42:                               ;   in Loop: Header=BB7_6 Depth=1
	s_and_not1_saveexec_b32 s0, s0
	s_cbranch_execz .LBB7_5
; %bb.43:                               ;   in Loop: Header=BB7_6 Depth=1
	s_delay_alu instid0(VALU_DEP_1)
	v_dual_mov_b32 v17, v7 :: v_dual_mov_b32 v50, v18
	v_mov_b32_e32 v49, v47
	s_mov_b32 s1, exec_lo
	v_cmpx_eq_u32_e32 1, v39
	s_cbranch_execz .LBB7_4
; %bb.44:                               ;   in Loop: Header=BB7_6 Depth=1
	v_dual_mov_b32 v17, v4 :: v_dual_mov_b32 v50, v47
	v_dual_mov_b32 v49, v7 :: v_dual_mov_b32 v48, v18
	s_branch .LBB7_4
.LBB7_45:
	s_endpgm
	.section	.rodata,"a",@progbits
	.p2align	6, 0x0
	.amdhsa_kernel _ZN2at6native12_GLOBAL__N_124fused_dropout_kernel_vecIffjLi1ELi16EbEEvNS_4cuda6detail10TensorInfoIKT_T1_EENS5_IS6_S8_EENS5_IT4_S8_EES8_T0_NS_15PhiloxCudaStateE
		.amdhsa_group_segment_fixed_size 0
		.amdhsa_private_segment_fixed_size 0
		.amdhsa_kernarg_size 944
		.amdhsa_user_sgpr_count 15
		.amdhsa_user_sgpr_dispatch_ptr 0
		.amdhsa_user_sgpr_queue_ptr 0
		.amdhsa_user_sgpr_kernarg_segment_ptr 1
		.amdhsa_user_sgpr_dispatch_id 0
		.amdhsa_user_sgpr_private_segment_size 0
		.amdhsa_wavefront_size32 1
		.amdhsa_uses_dynamic_stack 0
		.amdhsa_enable_private_segment 0
		.amdhsa_system_sgpr_workgroup_id_x 1
		.amdhsa_system_sgpr_workgroup_id_y 0
		.amdhsa_system_sgpr_workgroup_id_z 0
		.amdhsa_system_sgpr_workgroup_info 0
		.amdhsa_system_vgpr_workitem_id 0
		.amdhsa_next_free_vgpr 82
		.amdhsa_next_free_sgpr 25
		.amdhsa_reserve_vcc 1
		.amdhsa_float_round_mode_32 0
		.amdhsa_float_round_mode_16_64 0
		.amdhsa_float_denorm_mode_32 3
		.amdhsa_float_denorm_mode_16_64 3
		.amdhsa_dx10_clamp 1
		.amdhsa_ieee_mode 1
		.amdhsa_fp16_overflow 0
		.amdhsa_workgroup_processor_mode 1
		.amdhsa_memory_ordered 1
		.amdhsa_forward_progress 0
		.amdhsa_shared_vgpr_count 0
		.amdhsa_exception_fp_ieee_invalid_op 0
		.amdhsa_exception_fp_denorm_src 0
		.amdhsa_exception_fp_ieee_div_zero 0
		.amdhsa_exception_fp_ieee_overflow 0
		.amdhsa_exception_fp_ieee_underflow 0
		.amdhsa_exception_fp_ieee_inexact 0
		.amdhsa_exception_int_div_zero 0
	.end_amdhsa_kernel
	.section	.text._ZN2at6native12_GLOBAL__N_124fused_dropout_kernel_vecIffjLi1ELi16EbEEvNS_4cuda6detail10TensorInfoIKT_T1_EENS5_IS6_S8_EENS5_IT4_S8_EES8_T0_NS_15PhiloxCudaStateE,"axG",@progbits,_ZN2at6native12_GLOBAL__N_124fused_dropout_kernel_vecIffjLi1ELi16EbEEvNS_4cuda6detail10TensorInfoIKT_T1_EENS5_IS6_S8_EENS5_IT4_S8_EES8_T0_NS_15PhiloxCudaStateE,comdat
.Lfunc_end7:
	.size	_ZN2at6native12_GLOBAL__N_124fused_dropout_kernel_vecIffjLi1ELi16EbEEvNS_4cuda6detail10TensorInfoIKT_T1_EENS5_IS6_S8_EENS5_IT4_S8_EES8_T0_NS_15PhiloxCudaStateE, .Lfunc_end7-_ZN2at6native12_GLOBAL__N_124fused_dropout_kernel_vecIffjLi1ELi16EbEEvNS_4cuda6detail10TensorInfoIKT_T1_EENS5_IS6_S8_EENS5_IT4_S8_EES8_T0_NS_15PhiloxCudaStateE
                                        ; -- End function
	.section	.AMDGPU.csdata,"",@progbits
; Kernel info:
; codeLenInByte = 4736
; NumSgprs: 27
; NumVgprs: 82
; ScratchSize: 0
; MemoryBound: 0
; FloatMode: 240
; IeeeMode: 1
; LDSByteSize: 0 bytes/workgroup (compile time only)
; SGPRBlocks: 3
; VGPRBlocks: 10
; NumSGPRsForWavesPerEU: 27
; NumVGPRsForWavesPerEU: 82
; Occupancy: 16
; WaveLimiterHint : 1
; COMPUTE_PGM_RSRC2:SCRATCH_EN: 0
; COMPUTE_PGM_RSRC2:USER_SGPR: 15
; COMPUTE_PGM_RSRC2:TRAP_HANDLER: 0
; COMPUTE_PGM_RSRC2:TGID_X_EN: 1
; COMPUTE_PGM_RSRC2:TGID_Y_EN: 0
; COMPUTE_PGM_RSRC2:TGID_Z_EN: 0
; COMPUTE_PGM_RSRC2:TIDIG_COMP_CNT: 0
	.section	.text._ZN2at6native12_GLOBAL__N_124fused_dropout_kernel_vecIffjLi1ELi8EbEEvNS_4cuda6detail10TensorInfoIKT_T1_EENS5_IS6_S8_EENS5_IT4_S8_EES8_T0_NS_15PhiloxCudaStateE,"axG",@progbits,_ZN2at6native12_GLOBAL__N_124fused_dropout_kernel_vecIffjLi1ELi8EbEEvNS_4cuda6detail10TensorInfoIKT_T1_EENS5_IS6_S8_EENS5_IT4_S8_EES8_T0_NS_15PhiloxCudaStateE,comdat
	.globl	_ZN2at6native12_GLOBAL__N_124fused_dropout_kernel_vecIffjLi1ELi8EbEEvNS_4cuda6detail10TensorInfoIKT_T1_EENS5_IS6_S8_EENS5_IT4_S8_EES8_T0_NS_15PhiloxCudaStateE ; -- Begin function _ZN2at6native12_GLOBAL__N_124fused_dropout_kernel_vecIffjLi1ELi8EbEEvNS_4cuda6detail10TensorInfoIKT_T1_EENS5_IS6_S8_EENS5_IT4_S8_EES8_T0_NS_15PhiloxCudaStateE
	.p2align	8
	.type	_ZN2at6native12_GLOBAL__N_124fused_dropout_kernel_vecIffjLi1ELi8EbEEvNS_4cuda6detail10TensorInfoIKT_T1_EENS5_IS6_S8_EENS5_IT4_S8_EES8_T0_NS_15PhiloxCudaStateE,@function
_ZN2at6native12_GLOBAL__N_124fused_dropout_kernel_vecIffjLi1ELi8EbEEvNS_4cuda6detail10TensorInfoIKT_T1_EENS5_IS6_S8_EENS5_IT4_S8_EES8_T0_NS_15PhiloxCudaStateE: ; @_ZN2at6native12_GLOBAL__N_124fused_dropout_kernel_vecIffjLi1ELi8EbEEvNS_4cuda6detail10TensorInfoIKT_T1_EENS5_IS6_S8_EENS5_IT4_S8_EES8_T0_NS_15PhiloxCudaStateE
; %bb.0:
	s_clause 0x1
	s_load_b128 s[4:7], s[0:1], 0x290
	s_load_b32 s2, s[0:1], 0x2a8
	s_waitcnt lgkmcnt(0)
	v_dual_mov_b32 v3, s6 :: v_dual_mov_b32 v4, s7
	v_dual_mov_b32 v11, s5 :: v_dual_mov_b32 v10, s4
	s_bitcmp0_b32 s2, 0
	s_cbranch_scc1 .LBB8_2
; %bb.1:
	v_dual_mov_b32 v1, s6 :: v_dual_mov_b32 v2, s7
	v_dual_mov_b32 v3, s4 :: v_dual_mov_b32 v4, s5
	s_load_b64 s[2:3], s[0:1], 0x2a0
	flat_load_b64 v[1:2], v[1:2]
	flat_load_b64 v[10:11], v[3:4]
	s_waitcnt vmcnt(1) lgkmcnt(0)
	v_add_co_u32 v3, vcc_lo, v1, s2
	v_add_co_ci_u32_e32 v4, vcc_lo, s3, v2, vcc_lo
.LBB8_2:
	s_clause 0x1
	s_load_b32 s4, s[0:1], 0x2bc
	s_load_b64 s[8:9], s[0:1], 0x288
	s_add_u32 s2, s0, 0x2b0
	s_addc_u32 s3, s1, 0
	s_mov_b32 s5, exec_lo
	s_waitcnt lgkmcnt(0)
	s_and_b32 s4, s4, 0xffff
	s_delay_alu instid0(SALU_CYCLE_1) | instskip(NEXT) | instid1(VALU_DEP_1)
	v_mad_u64_u32 v[14:15], null, s15, s4, v[0:1]
	v_lshlrev_b32_e32 v12, 3, v14
	s_delay_alu instid0(VALU_DEP_1)
	v_cmpx_gt_u32_e64 s8, v12
	s_cbranch_execz .LBB8_25
; %bb.3:
	v_mad_u64_u32 v[0:1], null, 0xcd9e8d57, v14, 0
	v_alignbit_b32 v18, v4, v3, 2
	v_lshrrev_b32_e32 v39, 2, v4
	s_waitcnt vmcnt(0)
	v_mov_b32_e32 v13, v11
	v_add_co_u32 v20, null, 0x9e3779b9, v10
	v_mad_u64_u32 v[4:5], null, 0xd2511f53, v18, 0
	v_xor3_b32 v6, v10, v1, v39
	s_delay_alu instid0(VALU_DEP_4) | instskip(SKIP_1) | instid1(VALU_DEP_3)
	v_add_co_u32 v19, null, 0xbb67ae85, v13
	v_add_co_u32 v21, null, 0x3c6ef372, v10
	v_mad_u64_u32 v[1:2], null, 0xd2511f53, v6, 0
	v_xor_b32_e32 v7, v5, v11
	v_add_co_u32 v22, null, 0x76cf5d0a, v13
	v_add_co_u32 v23, null, 0x32370b8f, v13
	s_delay_alu instid0(VALU_DEP_3) | instskip(SKIP_3) | instid1(VALU_DEP_3)
	v_mad_u64_u32 v[5:6], null, 0xcd9e8d57, v7, 0
	v_xor3_b32 v2, v19, v2, v4
	v_add_co_u32 v24, null, 0xdaa66d2b, v10
	v_add_co_u32 v25, null, 0x78dde6e4, v10
	v_mad_u64_u32 v[7:8], null, 0xcd9e8d57, v2, 0
	v_xor3_b32 v0, v6, v20, v0
	v_add_co_u32 v26, null, 0xed9eba14, v13
	v_add_co_u32 v27, null, 0xa9066899, v13
	s_delay_alu instid0(VALU_DEP_3) | instskip(SKIP_3) | instid1(VALU_DEP_3)
	v_mad_u64_u32 v[15:16], null, 0xd2511f53, v0, 0
	v_xor3_b32 v0, v21, v8, v5
	v_div_scale_f32 v17, null, s9, s9, 1.0
	v_add_co_u32 v29, null, 0xb54cda56, v10
	v_mad_u64_u32 v[4:5], null, 0xd2511f53, v0, 0
	v_xor3_b32 v2, v16, v22, v1
	s_delay_alu instid0(VALU_DEP_4) | instskip(SKIP_2) | instid1(VALU_DEP_3)
	v_rcp_f32_e32 v35, v17
	v_add_co_u32 v28, null, 0x1715609d, v10
	v_add_co_u32 v32, null, 0x5384540f, v10
	v_mad_u64_u32 v[0:1], null, 0xcd9e8d57, v2, 0
	v_xor3_b32 v2, v23, v5, v15
	s_load_b32 s2, s[2:3], 0x0
	v_add_co_u32 v33, null, 0xf1bbcdc8, v10
	s_clause 0x2
	s_load_b64 s[10:11], s[0:1], 0x0
	s_load_b64 s[12:13], s[0:1], 0xd8
	s_load_b64 s[14:15], s[0:1], 0x1b0
	v_mad_u64_u32 v[5:6], null, 0xcd9e8d57, v2, 0
	v_xor3_b32 v7, v1, v24, v7
	v_and_b32_e32 v37, 3, v3
	s_mov_b32 s7, 0
	s_delay_alu instid0(VALU_DEP_2) | instskip(NEXT) | instid1(VALU_DEP_4)
	v_mad_u64_u32 v[1:2], null, 0xd2511f53, v7, 0
	v_xor3_b32 v0, v25, v6, v0
	s_delay_alu instid0(VALU_DEP_1) | instskip(NEXT) | instid1(VALU_DEP_3)
	v_mad_u64_u32 v[6:7], null, 0xd2511f53, v0, 0
	v_xor3_b32 v0, v2, v26, v4
	s_waitcnt lgkmcnt(0)
	s_mul_i32 s2, s2, s4
	s_delay_alu instid0(SALU_CYCLE_1) | instskip(NEXT) | instid1(VALU_DEP_1)
	s_lshl_b32 s16, s2, 3
	v_mad_u64_u32 v[8:9], null, 0xcd9e8d57, v0, 0
	s_delay_alu instid0(VALU_DEP_3) | instskip(NEXT) | instid1(VALU_DEP_1)
	v_xor3_b32 v2, v27, v7, v1
	v_mad_u64_u32 v[0:1], null, 0xcd9e8d57, v2, 0
	s_delay_alu instid0(VALU_DEP_3) | instskip(SKIP_1) | instid1(VALU_DEP_2)
	v_xor3_b32 v2, v9, v28, v5
	v_div_scale_f32 v9, vcc_lo, 1.0, s9, 1.0
	v_mad_u64_u32 v[4:5], null, 0xd2511f53, v2, 0
	s_delay_alu instid0(VALU_DEP_4) | instskip(SKIP_1) | instid1(VALU_DEP_2)
	v_xor3_b32 v7, v29, v1, v8
	v_fma_f32 v8, -v17, v35, 1.0
	v_mad_u64_u32 v[1:2], null, 0xd2511f53, v7, 0
	s_delay_alu instid0(VALU_DEP_2) | instskip(NEXT) | instid1(VALU_DEP_1)
	v_fmac_f32_e32 v35, v8, v35
	v_mul_f32_e32 v36, v9, v35
	v_add_co_u32 v30, null, 0x646e171e, v13
	v_add_co_u32 v31, null, 0x1fd5c5a3, v13
	;; [unrolled: 1-line block ×3, first 2 shown]
	s_delay_alu instid0(VALU_DEP_3) | instskip(NEXT) | instid1(VALU_DEP_3)
	v_xor3_b32 v7, v5, v30, v6
	v_xor3_b32 v2, v31, v2, v4
	v_mov_b32_e32 v13, 0
	s_delay_alu instid0(VALU_DEP_3) | instskip(NEXT) | instid1(VALU_DEP_3)
	v_mad_u64_u32 v[5:6], null, 0xcd9e8d57, v7, 0
	v_mad_u64_u32 v[7:8], null, 0xcd9e8d57, v2, 0
	v_fma_f32 v2, -v17, v36, v9
	s_delay_alu instid0(VALU_DEP_4) | instskip(NEXT) | instid1(VALU_DEP_4)
	v_mov_b32_e32 v40, v13
	v_xor3_b32 v0, v6, v32, v0
	s_delay_alu instid0(VALU_DEP_3) | instskip(NEXT) | instid1(VALU_DEP_2)
	v_fmac_f32_e32 v36, v2, v35
	v_mad_u64_u32 v[15:16], null, 0xd2511f53, v0, 0
	v_xor3_b32 v0, v33, v8, v5
	s_delay_alu instid0(VALU_DEP_3) | instskip(NEXT) | instid1(VALU_DEP_2)
	v_fma_f32 v8, -v17, v36, v9
	v_mad_u64_u32 v[4:5], null, 0xd2511f53, v0, 0
	s_delay_alu instid0(VALU_DEP_4) | instskip(NEXT) | instid1(VALU_DEP_3)
	v_xor3_b32 v6, v16, v34, v1
	v_div_fmas_f32 v0, v8, v35, v36
	v_add_nc_u32_e32 v35, 0x8ff34781, v10
	v_add_nc_u32_e32 v36, 0x96a522ad, v11
	s_delay_alu instid0(VALU_DEP_4) | instskip(NEXT) | instid1(VALU_DEP_4)
	v_mad_u64_u32 v[1:2], null, 0xcd9e8d57, v6, 0
	v_div_fixup_f32 v38, v0, s9, 1.0
	v_mov_b32_e32 v3, v4
	s_delay_alu instid0(VALU_DEP_3)
	v_xor3_b32 v0, v7, v2, v35
	v_xor3_b32 v2, v5, v15, v36
	s_branch .LBB8_6
.LBB8_4:                                ;   in Loop: Header=BB8_6 Depth=1
	s_or_b32 exec_lo, exec_lo, s1
	s_delay_alu instid0(VALU_DEP_1)
	v_mov_b32_e32 v15, v41
.LBB8_5:                                ;   in Loop: Header=BB8_6 Depth=1
	s_or_b32 exec_lo, exec_lo, s0
	v_lshlrev_b64 v[8:9], 2, v[12:13]
	v_cvt_f32_u32_e32 v6, v6
	v_cvt_f32_u32_e32 v7, v7
	;; [unrolled: 1-line block ×5, first 2 shown]
	v_add_co_u32 v47, vcc_lo, s10, v8
	v_add_co_ci_u32_e32 v48, vcc_lo, s11, v9, vcc_lo
	v_dual_fmaak_f32 v6, 0x2f800000, v6, 0x2f800000 :: v_dual_fmaak_f32 v7, 0x2f800000, v7, 0x2f800000
	v_dual_fmaak_f32 v4, 0x2f800000, v4, 0x2f800000 :: v_dual_fmaak_f32 v5, 0x2f800000, v5, 0x2f800000
	s_clause 0x1
	global_load_b128 v[43:46], v[47:48], off
	global_load_b128 v[47:50], v[47:48], off offset:16
	v_cvt_f32_u32_e32 v3, v3
	v_cmp_gt_f32_e64 s2, s9, v7
	v_cmp_gt_f32_e32 vcc_lo, s9, v4
	v_cmp_gt_f32_e64 s1, s9, v6
	v_cvt_f32_u32_e32 v15, v15
	v_cvt_f32_u32_e32 v17, v17
	v_cndmask_b32_e64 v54, 0, 1, s2
	v_cndmask_b32_e64 v4, 0, 1.0, vcc_lo
	v_fmaak_f32 v41, 0x2f800000, v41, 0x2f800000
	v_cndmask_b32_e64 v42, 0, 1.0, s2
	v_fmaak_f32 v3, 0x2f800000, v3, 0x2f800000
	v_cndmask_b32_e64 v57, 0, 1, s1
	v_lshlrev_b16 v54, 8, v54
	v_cndmask_b32_e64 v6, 0, 1.0, s1
	v_fmaak_f32 v17, 0x2f800000, v17, 0x2f800000
	v_cmp_gt_f32_e64 s0, s9, v5
	v_cndmask_b32_e64 v7, 0, 1, vcc_lo
	v_or_b32_e32 v54, v57, v54
	v_fmaak_f32 v15, 0x2f800000, v15, 0x2f800000
	s_delay_alu instid0(VALU_DEP_4) | instskip(SKIP_1) | instid1(VALU_DEP_4)
	v_cndmask_b32_e64 v51, 0, 1, s0
	v_cndmask_b32_e64 v5, 0, 1.0, s0
	v_lshlrev_b32_e32 v54, 16, v54
	s_delay_alu instid0(VALU_DEP_4) | instskip(NEXT) | instid1(VALU_DEP_4)
	v_cmp_gt_f32_e64 s3, s9, v15
	v_lshlrev_b16 v51, 8, v51
	s_delay_alu instid0(VALU_DEP_2) | instskip(SKIP_1) | instid1(VALU_DEP_3)
	v_cndmask_b32_e64 v55, 0, 1, s3
	v_cndmask_b32_e64 v15, 0, 1.0, s3
	v_or_b32_e32 v51, v7, v51
	v_add_co_u32 v7, vcc_lo, s12, v8
	v_add_co_ci_u32_e32 v8, vcc_lo, s13, v9, vcc_lo
	s_waitcnt vmcnt(1)
	v_mul_f32_e32 v4, v43, v4
	v_cmp_gt_f32_e64 s4, s9, v41
	v_mul_f32_e32 v42, v46, v42
	v_cmp_gt_f32_e64 s6, s9, v3
	;; [unrolled: 2-line block ×3, first 2 shown]
	v_cndmask_b32_e64 v52, 0, 1, s4
	v_cndmask_b32_e64 v41, 0, 1.0, s4
	v_cndmask_b32_e64 v53, 0, 1, s6
	v_cndmask_b32_e64 v3, 0, 1.0, s6
	v_cndmask_b32_e64 v56, 0, 1, s5
	v_lshlrev_b16 v52, 8, v52
	v_cndmask_b32_e64 v17, 0, 1.0, s5
	v_lshlrev_b16 v53, 8, v53
	s_waitcnt vmcnt(0)
	v_mul_f32_e32 v15, v47, v15
	v_mul_f32_e32 v5, v44, v5
	v_or_b32_e32 v52, v55, v52
	v_mul_f32_e32 v44, v50, v3
	v_or_b32_e32 v53, v56, v53
	v_mul_f32_e32 v43, v48, v41
	v_and_b32_e32 v9, 0xffff, v51
	v_and_b32_e32 v52, 0xffff, v52
	v_mul_f32_e32 v3, v38, v4
	v_dual_mul_f32 v44, v38, v44 :: v_dual_lshlrev_b32 v53, 16, v53
	v_mul_f32_e32 v17, v49, v17
	v_mul_f32_e32 v4, v38, v5
	v_mul_f32_e32 v5, v38, v6
	v_mul_f32_e32 v6, v38, v42
	v_mul_f32_e32 v41, v38, v15
	v_mul_f32_e32 v42, v38, v43
	v_mul_f32_e32 v43, v38, v17
	v_or_b32_e32 v51, v52, v53
	v_or_b32_e32 v50, v9, v54
	s_clause 0x1
	global_store_b128 v[7:8], v[3:6], off
	global_store_b128 v[7:8], v[41:44], off offset:16
	global_store_b64 v12, v[50:51], s[14:15]
	v_dual_mov_b32 v3, v16 :: v_dual_add_nc_u32 v12, s16, v12
	s_waitcnt_vscnt null, 0x0
	s_barrier
	buffer_gl0_inv
	v_cmp_le_u32_e32 vcc_lo, s8, v12
	s_or_b32 s7, vcc_lo, s7
	s_delay_alu instid0(SALU_CYCLE_1)
	s_and_not1_b32 exec_lo, exec_lo, s7
	s_cbranch_execz .LBB8_25
.LBB8_6:                                ; =>This Inner Loop Header: Depth=1
	v_add_co_u32 v6, vcc_lo, v18, 1
	s_delay_alu instid0(VALU_DEP_1) | instskip(SKIP_2) | instid1(VALU_DEP_1)
	v_cndmask_b32_e64 v4, 0, 1, vcc_lo
	v_add_co_ci_u32_e32 v17, vcc_lo, 0, v39, vcc_lo
	s_mov_b32 s0, exec_lo
	v_cmp_eq_u32_e32 vcc_lo, 0, v17
	s_delay_alu instid0(VALU_DEP_3) | instskip(SKIP_1) | instid1(VALU_DEP_2)
	v_cndmask_b32_e32 v7, 0, v4, vcc_lo
	v_mad_u64_u32 v[4:5], null, 0xd2511f53, v6, 0
	v_add_nc_u32_e32 v14, v7, v14
	s_delay_alu instid0(VALU_DEP_2) | instskip(NEXT) | instid1(VALU_DEP_2)
	v_xor_b32_e32 v8, v5, v11
	v_cmp_eq_u32_e32 vcc_lo, 0, v14
	v_cndmask_b32_e32 v7, 0, v7, vcc_lo
	v_mad_u64_u32 v[5:6], null, 0xcd9e8d57, v14, 0
	s_delay_alu instid0(VALU_DEP_2) | instskip(NEXT) | instid1(VALU_DEP_2)
	v_add_nc_u32_e32 v40, v7, v40
	v_xor3_b32 v15, v6, v10, v17
	s_delay_alu instid0(VALU_DEP_2) | instskip(NEXT) | instid1(VALU_DEP_1)
	v_xor_b32_e32 v8, v40, v8
	v_mad_u64_u32 v[6:7], null, 0xcd9e8d57, v8, 0
	s_delay_alu instid0(VALU_DEP_3) | instskip(NEXT) | instid1(VALU_DEP_2)
	v_mad_u64_u32 v[8:9], null, 0xd2511f53, v15, 0
	v_xor3_b32 v7, v20, v7, v5
	s_delay_alu instid0(VALU_DEP_2) | instskip(NEXT) | instid1(VALU_DEP_2)
	v_xor3_b32 v9, v19, v9, v4
	v_mad_u64_u32 v[4:5], null, 0xd2511f53, v7, 0
	s_delay_alu instid0(VALU_DEP_2) | instskip(NEXT) | instid1(VALU_DEP_2)
	v_mad_u64_u32 v[15:16], null, 0xcd9e8d57, v9, 0
	v_xor3_b32 v7, v22, v5, v8
	s_delay_alu instid0(VALU_DEP_2) | instskip(NEXT) | instid1(VALU_DEP_2)
	v_xor3_b32 v9, v21, v16, v6
	v_mad_u64_u32 v[5:6], null, 0xcd9e8d57, v7, 0
	s_delay_alu instid0(VALU_DEP_2) | instskip(NEXT) | instid1(VALU_DEP_2)
	;; [unrolled: 6-line block ×8, first 2 shown]
	v_mad_u64_u32 v[15:16], null, 0xd2511f53, v4, 0
	v_xor3_b32 v41, v9, v41, v35
	s_delay_alu instid0(VALU_DEP_2)
	v_xor3_b32 v9, v16, v5, v36
                                        ; implicit-def: $vgpr4_vgpr5_vgpr6_vgpr7
	v_cmpx_lt_i32_e32 1, v37
	s_xor_b32 s0, exec_lo, s0
	s_cbranch_execz .LBB8_12
; %bb.7:                                ;   in Loop: Header=BB8_6 Depth=1
	s_mov_b32 s1, exec_lo
                                        ; implicit-def: $vgpr4_vgpr5_vgpr6_vgpr7
	v_cmpx_lt_i32_e32 2, v37
	s_xor_b32 s1, exec_lo, s1
; %bb.8:                                ;   in Loop: Header=BB8_6 Depth=1
	v_dual_mov_b32 v6, v3 :: v_dual_mov_b32 v7, v41
                                        ; implicit-def: $vgpr0_vgpr1_vgpr2_vgpr3
	s_delay_alu instid0(VALU_DEP_1) | instskip(NEXT) | instid1(VALU_DEP_2)
	v_mov_b32_e32 v4, v6
	v_dual_mov_b32 v5, v7 :: v_dual_mov_b32 v6, v8
	v_mov_b32_e32 v7, v9
; %bb.9:                                ;   in Loop: Header=BB8_6 Depth=1
	s_and_not1_saveexec_b32 s1, s1
; %bb.10:                               ;   in Loop: Header=BB8_6 Depth=1
	v_dual_mov_b32 v4, v2 :: v_dual_mov_b32 v5, v3
	v_dual_mov_b32 v6, v41 :: v_dual_mov_b32 v7, v8
; %bb.11:                               ;   in Loop: Header=BB8_6 Depth=1
	s_or_b32 exec_lo, exec_lo, s1
                                        ; implicit-def: $vgpr0_vgpr1_vgpr2_vgpr3
.LBB8_12:                               ;   in Loop: Header=BB8_6 Depth=1
	s_and_not1_saveexec_b32 s0, s0
	s_cbranch_execz .LBB8_16
; %bb.13:                               ;   in Loop: Header=BB8_6 Depth=1
	s_mov_b32 s1, exec_lo
	v_cmpx_eq_u32_e32 1, v37
; %bb.14:                               ;   in Loop: Header=BB8_6 Depth=1
	v_dual_mov_b32 v0, v1 :: v_dual_mov_b32 v1, v2
	v_dual_mov_b32 v2, v3 :: v_dual_mov_b32 v3, v41
; %bb.15:                               ;   in Loop: Header=BB8_6 Depth=1
	s_or_b32 exec_lo, exec_lo, s1
	s_delay_alu instid0(VALU_DEP_1) | instskip(NEXT) | instid1(VALU_DEP_3)
	v_dual_mov_b32 v7, v3 :: v_dual_mov_b32 v6, v2
	v_dual_mov_b32 v5, v1 :: v_dual_mov_b32 v4, v0
.LBB8_16:                               ;   in Loop: Header=BB8_6 Depth=1
	s_or_b32 exec_lo, exec_lo, s0
	v_add_nc_u32_e32 v18, 2, v18
	s_mov_b32 s0, exec_lo
	s_delay_alu instid0(VALU_DEP_1) | instskip(SKIP_2) | instid1(VALU_DEP_1)
	v_cmp_eq_u32_e32 vcc_lo, 0, v18
	v_cndmask_b32_e64 v0, 0, 1, vcc_lo
	v_add_co_ci_u32_e32 v39, vcc_lo, 0, v17, vcc_lo
	v_cmp_eq_u32_e32 vcc_lo, 0, v39
	s_delay_alu instid0(VALU_DEP_3) | instskip(NEXT) | instid1(VALU_DEP_1)
	v_cndmask_b32_e32 v0, 0, v0, vcc_lo
	v_add_nc_u32_e32 v14, v0, v14
	s_delay_alu instid0(VALU_DEP_1) | instskip(SKIP_2) | instid1(VALU_DEP_2)
	v_cmp_eq_u32_e32 vcc_lo, 0, v14
	v_mad_u64_u32 v[2:3], null, 0xcd9e8d57, v14, 0
	v_cndmask_b32_e32 v0, 0, v0, vcc_lo
	v_xor3_b32 v3, v3, v10, v39
	s_delay_alu instid0(VALU_DEP_2) | instskip(SKIP_1) | instid1(VALU_DEP_3)
	v_add_nc_u32_e32 v40, v0, v40
	v_mad_u64_u32 v[0:1], null, 0xd2511f53, v18, 0
	v_mad_u64_u32 v[42:43], null, 0xd2511f53, v3, 0
	s_delay_alu instid0(VALU_DEP_2) | instskip(NEXT) | instid1(VALU_DEP_1)
	v_xor_b32_e32 v1, v1, v11
	v_xor_b32_e32 v1, v40, v1
	s_delay_alu instid0(VALU_DEP_1) | instskip(NEXT) | instid1(VALU_DEP_1)
	v_mad_u64_u32 v[16:17], null, 0xcd9e8d57, v1, 0
	v_xor3_b32 v2, v20, v17, v2
	v_xor3_b32 v17, v19, v43, v0
	s_delay_alu instid0(VALU_DEP_2) | instskip(NEXT) | instid1(VALU_DEP_2)
	v_mad_u64_u32 v[0:1], null, 0xd2511f53, v2, 0
	v_mad_u64_u32 v[2:3], null, 0xcd9e8d57, v17, 0
	s_delay_alu instid0(VALU_DEP_2) | instskip(NEXT) | instid1(VALU_DEP_2)
	v_xor3_b32 v1, v22, v1, v42
	v_xor3_b32 v3, v21, v3, v16
	s_delay_alu instid0(VALU_DEP_2) | instskip(NEXT) | instid1(VALU_DEP_2)
	v_mad_u64_u32 v[16:17], null, 0xcd9e8d57, v1, 0
	v_mad_u64_u32 v[42:43], null, 0xd2511f53, v3, 0
	s_delay_alu instid0(VALU_DEP_2) | instskip(NEXT) | instid1(VALU_DEP_2)
	;; [unrolled: 6-line block ×7, first 2 shown]
	v_xor3_b32 v3, v34, v44, v42
	v_xor3_b32 v42, v33, v1, v16
	s_delay_alu instid0(VALU_DEP_2) | instskip(NEXT) | instid1(VALU_DEP_2)
	v_mad_u64_u32 v[1:2], null, 0xcd9e8d57, v3, 0
	v_mad_u64_u32 v[16:17], null, 0xd2511f53, v42, 0
                                        ; implicit-def: $vgpr3
                                        ; implicit-def: $vgpr42
	s_delay_alu instid0(VALU_DEP_2) | instskip(NEXT) | instid1(VALU_DEP_2)
	v_xor3_b32 v0, v2, v0, v35
	v_xor3_b32 v2, v17, v43, v36
                                        ; implicit-def: $vgpr17
	v_cmpx_lt_i32_e32 1, v37
	s_xor_b32 s0, exec_lo, s0
	s_cbranch_execz .LBB8_22
; %bb.17:                               ;   in Loop: Header=BB8_6 Depth=1
	s_mov_b32 s1, exec_lo
	v_cmpx_lt_i32_e32 2, v37
	s_xor_b32 s1, exec_lo, s1
; %bb.18:                               ;   in Loop: Header=BB8_6 Depth=1
                                        ; implicit-def: $vgpr9
; %bb.19:                               ;   in Loop: Header=BB8_6 Depth=1
	s_delay_alu instid0(SALU_CYCLE_1)
	s_or_saveexec_b32 s1, s1
	v_dual_mov_b32 v3, v2 :: v_dual_mov_b32 v42, v0
	v_mov_b32_e32 v17, v1
	s_xor_b32 exec_lo, exec_lo, s1
; %bb.20:                               ;   in Loop: Header=BB8_6 Depth=1
	v_dual_mov_b32 v3, v1 :: v_dual_mov_b32 v42, v15
	v_mov_b32_e32 v17, v0
	v_mov_b32_e32 v15, v9
; %bb.21:                               ;   in Loop: Header=BB8_6 Depth=1
	s_or_b32 exec_lo, exec_lo, s1
                                        ; implicit-def: $vgpr9
                                        ; implicit-def: $vgpr41
.LBB8_22:                               ;   in Loop: Header=BB8_6 Depth=1
	s_and_not1_saveexec_b32 s0, s0
	s_cbranch_execz .LBB8_5
; %bb.23:                               ;   in Loop: Header=BB8_6 Depth=1
	s_delay_alu instid0(VALU_DEP_1)
	v_dual_mov_b32 v3, v15 :: v_dual_mov_b32 v42, v8
	v_mov_b32_e32 v17, v9
	s_mov_b32 s1, exec_lo
	v_cmpx_eq_u32_e32 1, v37
	s_cbranch_execz .LBB8_4
; %bb.24:                               ;   in Loop: Header=BB8_6 Depth=1
	v_dual_mov_b32 v3, v0 :: v_dual_mov_b32 v42, v9
	v_mov_b32_e32 v17, v15
	v_mov_b32_e32 v41, v8
	s_branch .LBB8_4
.LBB8_25:
	s_endpgm
	.section	.rodata,"a",@progbits
	.p2align	6, 0x0
	.amdhsa_kernel _ZN2at6native12_GLOBAL__N_124fused_dropout_kernel_vecIffjLi1ELi8EbEEvNS_4cuda6detail10TensorInfoIKT_T1_EENS5_IS6_S8_EENS5_IT4_S8_EES8_T0_NS_15PhiloxCudaStateE
		.amdhsa_group_segment_fixed_size 0
		.amdhsa_private_segment_fixed_size 0
		.amdhsa_kernarg_size 944
		.amdhsa_user_sgpr_count 15
		.amdhsa_user_sgpr_dispatch_ptr 0
		.amdhsa_user_sgpr_queue_ptr 0
		.amdhsa_user_sgpr_kernarg_segment_ptr 1
		.amdhsa_user_sgpr_dispatch_id 0
		.amdhsa_user_sgpr_private_segment_size 0
		.amdhsa_wavefront_size32 1
		.amdhsa_uses_dynamic_stack 0
		.amdhsa_enable_private_segment 0
		.amdhsa_system_sgpr_workgroup_id_x 1
		.amdhsa_system_sgpr_workgroup_id_y 0
		.amdhsa_system_sgpr_workgroup_id_z 0
		.amdhsa_system_sgpr_workgroup_info 0
		.amdhsa_system_vgpr_workitem_id 0
		.amdhsa_next_free_vgpr 58
		.amdhsa_next_free_sgpr 17
		.amdhsa_reserve_vcc 1
		.amdhsa_float_round_mode_32 0
		.amdhsa_float_round_mode_16_64 0
		.amdhsa_float_denorm_mode_32 3
		.amdhsa_float_denorm_mode_16_64 3
		.amdhsa_dx10_clamp 1
		.amdhsa_ieee_mode 1
		.amdhsa_fp16_overflow 0
		.amdhsa_workgroup_processor_mode 1
		.amdhsa_memory_ordered 1
		.amdhsa_forward_progress 0
		.amdhsa_shared_vgpr_count 0
		.amdhsa_exception_fp_ieee_invalid_op 0
		.amdhsa_exception_fp_denorm_src 0
		.amdhsa_exception_fp_ieee_div_zero 0
		.amdhsa_exception_fp_ieee_overflow 0
		.amdhsa_exception_fp_ieee_underflow 0
		.amdhsa_exception_fp_ieee_inexact 0
		.amdhsa_exception_int_div_zero 0
	.end_amdhsa_kernel
	.section	.text._ZN2at6native12_GLOBAL__N_124fused_dropout_kernel_vecIffjLi1ELi8EbEEvNS_4cuda6detail10TensorInfoIKT_T1_EENS5_IS6_S8_EENS5_IT4_S8_EES8_T0_NS_15PhiloxCudaStateE,"axG",@progbits,_ZN2at6native12_GLOBAL__N_124fused_dropout_kernel_vecIffjLi1ELi8EbEEvNS_4cuda6detail10TensorInfoIKT_T1_EENS5_IS6_S8_EENS5_IT4_S8_EES8_T0_NS_15PhiloxCudaStateE,comdat
.Lfunc_end8:
	.size	_ZN2at6native12_GLOBAL__N_124fused_dropout_kernel_vecIffjLi1ELi8EbEEvNS_4cuda6detail10TensorInfoIKT_T1_EENS5_IS6_S8_EENS5_IT4_S8_EES8_T0_NS_15PhiloxCudaStateE, .Lfunc_end8-_ZN2at6native12_GLOBAL__N_124fused_dropout_kernel_vecIffjLi1ELi8EbEEvNS_4cuda6detail10TensorInfoIKT_T1_EENS5_IS6_S8_EENS5_IT4_S8_EES8_T0_NS_15PhiloxCudaStateE
                                        ; -- End function
	.section	.AMDGPU.csdata,"",@progbits
; Kernel info:
; codeLenInByte = 2948
; NumSgprs: 19
; NumVgprs: 58
; ScratchSize: 0
; MemoryBound: 0
; FloatMode: 240
; IeeeMode: 1
; LDSByteSize: 0 bytes/workgroup (compile time only)
; SGPRBlocks: 2
; VGPRBlocks: 7
; NumSGPRsForWavesPerEU: 19
; NumVGPRsForWavesPerEU: 58
; Occupancy: 16
; WaveLimiterHint : 1
; COMPUTE_PGM_RSRC2:SCRATCH_EN: 0
; COMPUTE_PGM_RSRC2:USER_SGPR: 15
; COMPUTE_PGM_RSRC2:TRAP_HANDLER: 0
; COMPUTE_PGM_RSRC2:TGID_X_EN: 1
; COMPUTE_PGM_RSRC2:TGID_Y_EN: 0
; COMPUTE_PGM_RSRC2:TGID_Z_EN: 0
; COMPUTE_PGM_RSRC2:TIDIG_COMP_CNT: 0
	.section	.text._ZN2at6native12_GLOBAL__N_124fused_dropout_kernel_vecIffjLi1ELi4EbEEvNS_4cuda6detail10TensorInfoIKT_T1_EENS5_IS6_S8_EENS5_IT4_S8_EES8_T0_NS_15PhiloxCudaStateE,"axG",@progbits,_ZN2at6native12_GLOBAL__N_124fused_dropout_kernel_vecIffjLi1ELi4EbEEvNS_4cuda6detail10TensorInfoIKT_T1_EENS5_IS6_S8_EENS5_IT4_S8_EES8_T0_NS_15PhiloxCudaStateE,comdat
	.globl	_ZN2at6native12_GLOBAL__N_124fused_dropout_kernel_vecIffjLi1ELi4EbEEvNS_4cuda6detail10TensorInfoIKT_T1_EENS5_IS6_S8_EENS5_IT4_S8_EES8_T0_NS_15PhiloxCudaStateE ; -- Begin function _ZN2at6native12_GLOBAL__N_124fused_dropout_kernel_vecIffjLi1ELi4EbEEvNS_4cuda6detail10TensorInfoIKT_T1_EENS5_IS6_S8_EENS5_IT4_S8_EES8_T0_NS_15PhiloxCudaStateE
	.p2align	8
	.type	_ZN2at6native12_GLOBAL__N_124fused_dropout_kernel_vecIffjLi1ELi4EbEEvNS_4cuda6detail10TensorInfoIKT_T1_EENS5_IS6_S8_EENS5_IT4_S8_EES8_T0_NS_15PhiloxCudaStateE,@function
_ZN2at6native12_GLOBAL__N_124fused_dropout_kernel_vecIffjLi1ELi4EbEEvNS_4cuda6detail10TensorInfoIKT_T1_EENS5_IS6_S8_EENS5_IT4_S8_EES8_T0_NS_15PhiloxCudaStateE: ; @_ZN2at6native12_GLOBAL__N_124fused_dropout_kernel_vecIffjLi1ELi4EbEEvNS_4cuda6detail10TensorInfoIKT_T1_EENS5_IS6_S8_EENS5_IT4_S8_EES8_T0_NS_15PhiloxCudaStateE
; %bb.0:
	s_clause 0x1
	s_load_b128 s[4:7], s[0:1], 0x290
	s_load_b32 s2, s[0:1], 0x2a8
	s_waitcnt lgkmcnt(0)
	v_dual_mov_b32 v3, s6 :: v_dual_mov_b32 v4, s7
	v_dual_mov_b32 v12, s5 :: v_dual_mov_b32 v11, s4
	s_bitcmp0_b32 s2, 0
	s_cbranch_scc1 .LBB9_2
; %bb.1:
	v_dual_mov_b32 v1, s6 :: v_dual_mov_b32 v2, s7
	v_dual_mov_b32 v3, s4 :: v_dual_mov_b32 v4, s5
	s_load_b64 s[2:3], s[0:1], 0x2a0
	flat_load_b64 v[1:2], v[1:2]
	flat_load_b64 v[11:12], v[3:4]
	s_waitcnt vmcnt(1) lgkmcnt(0)
	v_add_co_u32 v3, vcc_lo, v1, s2
	v_add_co_ci_u32_e32 v4, vcc_lo, s3, v2, vcc_lo
.LBB9_2:
	s_clause 0x1
	s_load_b32 s6, s[0:1], 0x2bc
	s_load_b64 s[2:3], s[0:1], 0x288
	s_add_u32 s4, s0, 0x2b0
	s_addc_u32 s5, s1, 0
	s_waitcnt lgkmcnt(0)
	s_and_b32 s10, s6, 0xffff
	s_mov_b32 s6, exec_lo
	v_mad_u64_u32 v[13:14], null, s15, s10, v[0:1]
	s_delay_alu instid0(VALU_DEP_1) | instskip(NEXT) | instid1(VALU_DEP_1)
	v_lshlrev_b32_e32 v14, 2, v13
	v_cmpx_gt_u32_e64 s2, v14
	s_cbranch_execz .LBB9_15
; %bb.3:
	v_mad_u64_u32 v[0:1], null, 0xcd9e8d57, v13, 0
	v_alignbit_b32 v18, v4, v3, 2
	v_lshrrev_b32_e32 v19, 2, v4
	s_waitcnt vmcnt(0)
	v_mov_b32_e32 v15, v12
	v_add_co_u32 v21, null, 0x9e3779b9, v11
	v_mad_u64_u32 v[4:5], null, 0xd2511f53, v18, 0
	v_xor3_b32 v6, v11, v1, v19
	s_delay_alu instid0(VALU_DEP_4) | instskip(SKIP_1) | instid1(VALU_DEP_3)
	v_add_co_u32 v20, null, 0xbb67ae85, v15
	v_add_co_u32 v22, null, 0x3c6ef372, v11
	v_mad_u64_u32 v[1:2], null, 0xd2511f53, v6, 0
	v_xor_b32_e32 v7, v5, v12
	v_add_co_u32 v23, null, 0x76cf5d0a, v15
	v_add_co_u32 v24, null, 0x32370b8f, v15
	s_delay_alu instid0(VALU_DEP_3) | instskip(SKIP_3) | instid1(VALU_DEP_3)
	v_mad_u64_u32 v[5:6], null, 0xcd9e8d57, v7, 0
	v_xor3_b32 v2, v20, v2, v4
	v_add_co_u32 v25, null, 0xdaa66d2b, v11
	v_add_co_u32 v26, null, 0x78dde6e4, v11
	v_mad_u64_u32 v[7:8], null, 0xcd9e8d57, v2, 0
	v_xor3_b32 v0, v6, v21, v0
	v_add_co_u32 v27, null, 0xed9eba14, v15
	v_add_co_u32 v28, null, 0xa9066899, v15
	s_delay_alu instid0(VALU_DEP_3) | instskip(SKIP_3) | instid1(VALU_DEP_3)
	v_mad_u64_u32 v[9:10], null, 0xd2511f53, v0, 0
	v_xor3_b32 v0, v22, v8, v5
	v_div_scale_f32 v16, null, s3, s3, 1.0
	v_add_co_u32 v29, null, 0x1715609d, v11
	v_mad_u64_u32 v[4:5], null, 0xd2511f53, v0, 0
	v_xor3_b32 v2, v10, v23, v1
	s_delay_alu instid0(VALU_DEP_4) | instskip(SKIP_2) | instid1(VALU_DEP_3)
	v_rcp_f32_e32 v17, v16
	v_add_co_u32 v30, null, 0xb54cda56, v11
	v_add_co_u32 v31, null, 0x646e171e, v15
	v_mad_u64_u32 v[0:1], null, 0xcd9e8d57, v2, 0
	v_xor3_b32 v2, v24, v5, v9
	v_add_co_u32 v32, null, 0x1fd5c5a3, v15
	v_div_scale_f32 v36, vcc_lo, 1.0, s3, 1.0
	s_delay_alu instid0(VALU_DEP_3) | instskip(SKIP_3) | instid1(VALU_DEP_3)
	v_mad_u64_u32 v[5:6], null, 0xcd9e8d57, v2, 0
	v_xor3_b32 v7, v1, v25, v7
	v_add_co_u32 v33, null, 0x5384540f, v11
	v_add_co_u32 v34, null, 0xf1bbcdc8, v11
	v_mad_u64_u32 v[1:2], null, 0xd2511f53, v7, 0
	v_xor3_b32 v0, v26, v6, v0
	s_load_b32 s11, s[4:5], 0x0
	s_clause 0x2
	s_load_b64 s[4:5], s[0:1], 0x0
	s_load_b64 s[6:7], s[0:1], 0xd8
	;; [unrolled: 1-line block ×3, first 2 shown]
	v_and_b32_e32 v38, 3, v3
	v_mad_u64_u32 v[6:7], null, 0xd2511f53, v0, 0
	v_xor3_b32 v0, v2, v27, v4
	s_delay_alu instid0(VALU_DEP_1) | instskip(NEXT) | instid1(VALU_DEP_3)
	v_mad_u64_u32 v[8:9], null, 0xcd9e8d57, v0, 0
	v_xor3_b32 v2, v28, v7, v1
	s_delay_alu instid0(VALU_DEP_1) | instskip(NEXT) | instid1(VALU_DEP_3)
	v_mad_u64_u32 v[0:1], null, 0xcd9e8d57, v2, 0
	v_xor3_b32 v2, v9, v29, v5
	s_waitcnt lgkmcnt(0)
	s_mul_i32 s11, s11, s10
	s_mov_b32 s10, 0
	s_lshl_b32 s11, s11, 2
	v_mad_u64_u32 v[4:5], null, 0xd2511f53, v2, 0
	s_delay_alu instid0(VALU_DEP_3) | instskip(SKIP_1) | instid1(VALU_DEP_2)
	v_xor3_b32 v7, v30, v1, v8
	v_fma_f32 v8, -v16, v17, 1.0
	v_mad_u64_u32 v[1:2], null, 0xd2511f53, v7, 0
	s_delay_alu instid0(VALU_DEP_4) | instskip(NEXT) | instid1(VALU_DEP_3)
	v_xor3_b32 v7, v5, v31, v6
	v_fmac_f32_e32 v17, v8, v17
	s_delay_alu instid0(VALU_DEP_2) | instskip(NEXT) | instid1(VALU_DEP_4)
	v_mad_u64_u32 v[5:6], null, 0xcd9e8d57, v7, 0
	v_xor3_b32 v2, v32, v2, v4
	s_delay_alu instid0(VALU_DEP_3) | instskip(NEXT) | instid1(VALU_DEP_2)
	v_mul_f32_e32 v37, v36, v17
	v_mad_u64_u32 v[7:8], null, 0xcd9e8d57, v2, 0
	s_delay_alu instid0(VALU_DEP_2) | instskip(SKIP_1) | instid1(VALU_DEP_2)
	v_fma_f32 v2, -v16, v37, v36
	v_xor3_b32 v0, v6, v33, v0
	v_fmac_f32_e32 v37, v2, v17
	s_delay_alu instid0(VALU_DEP_2) | instskip(SKIP_1) | instid1(VALU_DEP_3)
	v_mad_u64_u32 v[9:10], null, 0xd2511f53, v0, 0
	v_xor3_b32 v0, v34, v8, v5
	v_fma_f32 v8, -v16, v37, v36
	v_add_nc_u32_e32 v36, 0x8ff34781, v11
	v_add_co_u32 v35, null, 0xdb3d7428, v15
	s_delay_alu instid0(VALU_DEP_4) | instskip(NEXT) | instid1(VALU_DEP_4)
	v_mad_u64_u32 v[4:5], null, 0xd2511f53, v0, 0
	v_div_fmas_f32 v0, v8, v17, v37
	s_delay_alu instid0(VALU_DEP_3) | instskip(SKIP_2) | instid1(VALU_DEP_4)
	v_xor3_b32 v6, v10, v35, v1
	v_mov_b32_e32 v15, 0
	v_add_nc_u32_e32 v37, 0x96a522ad, v12
	v_div_fixup_f32 v39, v0, s3, 1.0
	s_delay_alu instid0(VALU_DEP_4) | instskip(NEXT) | instid1(VALU_DEP_4)
	v_mad_u64_u32 v[1:2], null, 0xcd9e8d57, v6, 0
	v_dual_mov_b32 v40, v15 :: v_dual_mov_b32 v3, v4
	s_delay_alu instid0(VALU_DEP_2)
	v_xor3_b32 v0, v7, v2, v36
	v_xor3_b32 v2, v5, v9, v37
	s_branch .LBB9_6
.LBB9_4:                                ;   in Loop: Header=BB9_6 Depth=1
	s_or_b32 exec_lo, exec_lo, s1
.LBB9_5:                                ;   in Loop: Header=BB9_6 Depth=1
	s_delay_alu instid0(SALU_CYCLE_1)
	s_or_b32 exec_lo, exec_lo, s0
	v_lshlrev_b64 v[41:42], 2, v[14:15]
	v_cvt_f32_u32_e32 v1, v1
	v_cvt_f32_u32_e32 v2, v2
	;; [unrolled: 1-line block ×4, first 2 shown]
	s_delay_alu instid0(VALU_DEP_4) | instskip(SKIP_1) | instid1(VALU_DEP_3)
	v_fmaak_f32 v1, 0x2f800000, v1, 0x2f800000
	v_add_co_u32 v7, vcc_lo, s4, v41
	v_fmaak_f32 v0, 0x2f800000, v0, 0x2f800000
	v_add_co_ci_u32_e32 v8, vcc_lo, s5, v42, vcc_lo
	v_dual_fmaak_f32 v2, 0x2f800000, v2, 0x2f800000 :: v_dual_fmaak_f32 v3, 0x2f800000, v3, 0x2f800000
	v_cmp_gt_f32_e32 vcc_lo, s3, v1
	global_load_b128 v[7:10], v[7:8], off
	v_cmp_gt_f32_e64 s0, s3, v0
	v_cmp_gt_f32_e64 s1, s3, v3
	v_cndmask_b32_e64 v3, 0, 1, vcc_lo
	v_cndmask_b32_e64 v1, 0, 1.0, vcc_lo
	v_cmp_gt_f32_e32 vcc_lo, s3, v2
	v_cndmask_b32_e64 v43, 0, 1, s0
	v_cndmask_b32_e64 v2, 0, 1, s1
	v_lshlrev_b16 v3, 8, v3
	v_cndmask_b32_e64 v0, 0, 1.0, s0
	v_cndmask_b32_e64 v45, 0, 1, vcc_lo
	v_cndmask_b32_e64 v17, 0, 1.0, s1
	v_lshlrev_b16 v2, 8, v2
	v_cndmask_b32_e64 v44, 0, 1.0, vcc_lo
	v_or_b32_e32 v3, v43, v3
	v_add_co_u32 v41, vcc_lo, s6, v41
	s_delay_alu instid0(VALU_DEP_4) | instskip(SKIP_3) | instid1(VALU_DEP_3)
	v_or_b32_e32 v2, v45, v2
	v_add_co_ci_u32_e32 v42, vcc_lo, s7, v42, vcc_lo
	s_waitcnt vmcnt(0)
	v_dual_mul_f32 v0, v7, v0 :: v_dual_and_b32 v43, 0xffff, v3
	v_dual_mul_f32 v1, v8, v1 :: v_dual_lshlrev_b32 v8, 16, v2
	v_mul_f32_e32 v3, v9, v44
	s_delay_alu instid0(VALU_DEP_3) | instskip(NEXT) | instid1(VALU_DEP_3)
	v_dual_mul_f32 v7, v10, v17 :: v_dual_mul_f32 v0, v39, v0
	v_mul_f32_e32 v1, v39, v1
	s_delay_alu instid0(VALU_DEP_3) | instskip(NEXT) | instid1(VALU_DEP_3)
	v_mul_f32_e32 v2, v39, v3
	v_mul_f32_e32 v3, v39, v7
	v_or_b32_e32 v7, v43, v8
	global_store_b128 v[41:42], v[0:3], off
	global_store_b32 v14, v7, s[8:9]
	v_dual_mov_b32 v7, v16 :: v_dual_add_nc_u32 v14, s11, v14
	v_dual_mov_b32 v0, v4 :: v_dual_mov_b32 v1, v5
	s_delay_alu instid0(VALU_DEP_2) | instskip(NEXT) | instid1(VALU_DEP_3)
	v_dual_mov_b32 v2, v6 :: v_dual_mov_b32 v3, v7
	v_cmp_le_u32_e32 vcc_lo, s2, v14
	s_waitcnt_vscnt null, 0x0
	s_barrier
	buffer_gl0_inv
	s_or_b32 s10, vcc_lo, s10
	s_delay_alu instid0(SALU_CYCLE_1)
	s_and_not1_b32 exec_lo, exec_lo, s10
	s_cbranch_execz .LBB9_15
.LBB9_6:                                ; =>This Inner Loop Header: Depth=1
	v_add_co_u32 v18, vcc_lo, v18, 1
	s_delay_alu instid0(VALU_DEP_1) | instskip(SKIP_2) | instid1(VALU_DEP_1)
	v_cndmask_b32_e64 v4, 0, 1, vcc_lo
	v_add_co_ci_u32_e32 v19, vcc_lo, 0, v19, vcc_lo
	s_mov_b32 s0, exec_lo
	v_cmp_eq_u32_e32 vcc_lo, 0, v19
	s_delay_alu instid0(VALU_DEP_3) | instskip(NEXT) | instid1(VALU_DEP_1)
	v_cndmask_b32_e32 v4, 0, v4, vcc_lo
	v_add_nc_u32_e32 v13, v4, v13
	s_delay_alu instid0(VALU_DEP_1) | instskip(SKIP_2) | instid1(VALU_DEP_2)
	v_cmp_eq_u32_e32 vcc_lo, 0, v13
	v_cndmask_b32_e32 v4, 0, v4, vcc_lo
	v_mad_u64_u32 v[6:7], null, 0xcd9e8d57, v13, 0
	v_add_nc_u32_e32 v40, v4, v40
	v_mad_u64_u32 v[4:5], null, 0xd2511f53, v18, 0
	s_delay_alu instid0(VALU_DEP_3) | instskip(NEXT) | instid1(VALU_DEP_2)
	v_xor3_b32 v9, v7, v11, v19
	v_xor_b32_e32 v5, v5, v12
	s_delay_alu instid0(VALU_DEP_2) | instskip(NEXT) | instid1(VALU_DEP_2)
	v_mad_u64_u32 v[7:8], null, 0xd2511f53, v9, 0
	v_xor_b32_e32 v5, v40, v5
	s_delay_alu instid0(VALU_DEP_2) | instskip(NEXT) | instid1(VALU_DEP_2)
	v_xor3_b32 v8, v20, v8, v4
	v_mad_u64_u32 v[9:10], null, 0xcd9e8d57, v5, 0
	s_delay_alu instid0(VALU_DEP_2) | instskip(NEXT) | instid1(VALU_DEP_2)
	v_mad_u64_u32 v[4:5], null, 0xcd9e8d57, v8, 0
	v_xor3_b32 v6, v21, v10, v6
	s_delay_alu instid0(VALU_DEP_2) | instskip(NEXT) | instid1(VALU_DEP_2)
	v_xor3_b32 v8, v22, v5, v9
	v_mad_u64_u32 v[16:17], null, 0xd2511f53, v6, 0
	s_delay_alu instid0(VALU_DEP_2) | instskip(NEXT) | instid1(VALU_DEP_2)
	v_mad_u64_u32 v[5:6], null, 0xd2511f53, v8, 0
	v_xor3_b32 v9, v23, v17, v7
	s_delay_alu instid0(VALU_DEP_2) | instskip(NEXT) | instid1(VALU_DEP_2)
	v_xor3_b32 v6, v24, v6, v16
	v_mad_u64_u32 v[7:8], null, 0xcd9e8d57, v9, 0
	s_delay_alu instid0(VALU_DEP_1) | instskip(NEXT) | instid1(VALU_DEP_3)
	v_xor3_b32 v4, v25, v8, v4
	v_mad_u64_u32 v[8:9], null, 0xcd9e8d57, v6, 0
	s_delay_alu instid0(VALU_DEP_2) | instskip(NEXT) | instid1(VALU_DEP_2)
	v_mad_u64_u32 v[16:17], null, 0xd2511f53, v4, 0
	v_xor3_b32 v6, v26, v9, v7
	s_delay_alu instid0(VALU_DEP_2) | instskip(NEXT) | instid1(VALU_DEP_2)
	v_xor3_b32 v9, v27, v17, v5
	v_mad_u64_u32 v[4:5], null, 0xd2511f53, v6, 0
	s_delay_alu instid0(VALU_DEP_2) | instskip(NEXT) | instid1(VALU_DEP_2)
	v_mad_u64_u32 v[6:7], null, 0xcd9e8d57, v9, 0
	v_xor3_b32 v5, v28, v5, v16
	s_delay_alu instid0(VALU_DEP_2) | instskip(NEXT) | instid1(VALU_DEP_2)
	;; [unrolled: 6-line block ×6, first 2 shown]
	v_xor3_b32 v4, v6, v7, v36
	v_mov_b32_e32 v6, v10
	v_cmpx_lt_i32_e32 1, v38
	s_xor_b32 s0, exec_lo, s0
	s_cbranch_execz .LBB9_12
; %bb.7:                                ;   in Loop: Header=BB9_6 Depth=1
	s_mov_b32 s1, exec_lo
	v_cmpx_lt_i32_e32 2, v38
	s_xor_b32 s1, exec_lo, s1
; %bb.8:                                ;   in Loop: Header=BB9_6 Depth=1
	v_dual_mov_b32 v7, v3 :: v_dual_mov_b32 v8, v4
	v_mov_b32_e32 v9, v5
	s_delay_alu instid0(VALU_DEP_2) | instskip(NEXT) | instid1(VALU_DEP_2)
	v_dual_mov_b32 v0, v7 :: v_dual_mov_b32 v1, v8
	v_dual_mov_b32 v2, v9 :: v_dual_mov_b32 v3, v10
; %bb.9:                                ;   in Loop: Header=BB9_6 Depth=1
	s_and_not1_saveexec_b32 s1, s1
; %bb.10:                               ;   in Loop: Header=BB9_6 Depth=1
	s_delay_alu instid0(VALU_DEP_1)
	v_dual_mov_b32 v0, v2 :: v_dual_mov_b32 v1, v3
	v_dual_mov_b32 v2, v4 :: v_dual_mov_b32 v3, v5
; %bb.11:                               ;   in Loop: Header=BB9_6 Depth=1
	s_or_b32 exec_lo, exec_lo, s1
.LBB9_12:                               ;   in Loop: Header=BB9_6 Depth=1
	s_and_not1_saveexec_b32 s0, s0
	s_cbranch_execz .LBB9_5
; %bb.13:                               ;   in Loop: Header=BB9_6 Depth=1
	s_mov_b32 s1, exec_lo
	v_cmpx_eq_u32_e32 1, v38
	s_cbranch_execz .LBB9_4
; %bb.14:                               ;   in Loop: Header=BB9_6 Depth=1
	v_dual_mov_b32 v0, v1 :: v_dual_mov_b32 v1, v2
	v_dual_mov_b32 v2, v3 :: v_dual_mov_b32 v3, v4
	s_branch .LBB9_4
.LBB9_15:
	s_endpgm
	.section	.rodata,"a",@progbits
	.p2align	6, 0x0
	.amdhsa_kernel _ZN2at6native12_GLOBAL__N_124fused_dropout_kernel_vecIffjLi1ELi4EbEEvNS_4cuda6detail10TensorInfoIKT_T1_EENS5_IS6_S8_EENS5_IT4_S8_EES8_T0_NS_15PhiloxCudaStateE
		.amdhsa_group_segment_fixed_size 0
		.amdhsa_private_segment_fixed_size 0
		.amdhsa_kernarg_size 944
		.amdhsa_user_sgpr_count 15
		.amdhsa_user_sgpr_dispatch_ptr 0
		.amdhsa_user_sgpr_queue_ptr 0
		.amdhsa_user_sgpr_kernarg_segment_ptr 1
		.amdhsa_user_sgpr_dispatch_id 0
		.amdhsa_user_sgpr_private_segment_size 0
		.amdhsa_wavefront_size32 1
		.amdhsa_uses_dynamic_stack 0
		.amdhsa_enable_private_segment 0
		.amdhsa_system_sgpr_workgroup_id_x 1
		.amdhsa_system_sgpr_workgroup_id_y 0
		.amdhsa_system_sgpr_workgroup_id_z 0
		.amdhsa_system_sgpr_workgroup_info 0
		.amdhsa_system_vgpr_workitem_id 0
		.amdhsa_next_free_vgpr 46
		.amdhsa_next_free_sgpr 16
		.amdhsa_reserve_vcc 1
		.amdhsa_float_round_mode_32 0
		.amdhsa_float_round_mode_16_64 0
		.amdhsa_float_denorm_mode_32 3
		.amdhsa_float_denorm_mode_16_64 3
		.amdhsa_dx10_clamp 1
		.amdhsa_ieee_mode 1
		.amdhsa_fp16_overflow 0
		.amdhsa_workgroup_processor_mode 1
		.amdhsa_memory_ordered 1
		.amdhsa_forward_progress 0
		.amdhsa_shared_vgpr_count 0
		.amdhsa_exception_fp_ieee_invalid_op 0
		.amdhsa_exception_fp_denorm_src 0
		.amdhsa_exception_fp_ieee_div_zero 0
		.amdhsa_exception_fp_ieee_overflow 0
		.amdhsa_exception_fp_ieee_underflow 0
		.amdhsa_exception_fp_ieee_inexact 0
		.amdhsa_exception_int_div_zero 0
	.end_amdhsa_kernel
	.section	.text._ZN2at6native12_GLOBAL__N_124fused_dropout_kernel_vecIffjLi1ELi4EbEEvNS_4cuda6detail10TensorInfoIKT_T1_EENS5_IS6_S8_EENS5_IT4_S8_EES8_T0_NS_15PhiloxCudaStateE,"axG",@progbits,_ZN2at6native12_GLOBAL__N_124fused_dropout_kernel_vecIffjLi1ELi4EbEEvNS_4cuda6detail10TensorInfoIKT_T1_EENS5_IS6_S8_EENS5_IT4_S8_EES8_T0_NS_15PhiloxCudaStateE,comdat
.Lfunc_end9:
	.size	_ZN2at6native12_GLOBAL__N_124fused_dropout_kernel_vecIffjLi1ELi4EbEEvNS_4cuda6detail10TensorInfoIKT_T1_EENS5_IS6_S8_EENS5_IT4_S8_EES8_T0_NS_15PhiloxCudaStateE, .Lfunc_end9-_ZN2at6native12_GLOBAL__N_124fused_dropout_kernel_vecIffjLi1ELi4EbEEvNS_4cuda6detail10TensorInfoIKT_T1_EENS5_IS6_S8_EENS5_IT4_S8_EES8_T0_NS_15PhiloxCudaStateE
                                        ; -- End function
	.section	.AMDGPU.csdata,"",@progbits
; Kernel info:
; codeLenInByte = 2044
; NumSgprs: 18
; NumVgprs: 46
; ScratchSize: 0
; MemoryBound: 0
; FloatMode: 240
; IeeeMode: 1
; LDSByteSize: 0 bytes/workgroup (compile time only)
; SGPRBlocks: 2
; VGPRBlocks: 5
; NumSGPRsForWavesPerEU: 18
; NumVGPRsForWavesPerEU: 46
; Occupancy: 16
; WaveLimiterHint : 1
; COMPUTE_PGM_RSRC2:SCRATCH_EN: 0
; COMPUTE_PGM_RSRC2:USER_SGPR: 15
; COMPUTE_PGM_RSRC2:TRAP_HANDLER: 0
; COMPUTE_PGM_RSRC2:TGID_X_EN: 1
; COMPUTE_PGM_RSRC2:TGID_Y_EN: 0
; COMPUTE_PGM_RSRC2:TGID_Z_EN: 0
; COMPUTE_PGM_RSRC2:TIDIG_COMP_CNT: 0
	.section	.text._ZN2at6native12_GLOBAL__N_124fused_dropout_kernel_vecIffjLi1ELi2EbEEvNS_4cuda6detail10TensorInfoIKT_T1_EENS5_IS6_S8_EENS5_IT4_S8_EES8_T0_NS_15PhiloxCudaStateE,"axG",@progbits,_ZN2at6native12_GLOBAL__N_124fused_dropout_kernel_vecIffjLi1ELi2EbEEvNS_4cuda6detail10TensorInfoIKT_T1_EENS5_IS6_S8_EENS5_IT4_S8_EES8_T0_NS_15PhiloxCudaStateE,comdat
	.globl	_ZN2at6native12_GLOBAL__N_124fused_dropout_kernel_vecIffjLi1ELi2EbEEvNS_4cuda6detail10TensorInfoIKT_T1_EENS5_IS6_S8_EENS5_IT4_S8_EES8_T0_NS_15PhiloxCudaStateE ; -- Begin function _ZN2at6native12_GLOBAL__N_124fused_dropout_kernel_vecIffjLi1ELi2EbEEvNS_4cuda6detail10TensorInfoIKT_T1_EENS5_IS6_S8_EENS5_IT4_S8_EES8_T0_NS_15PhiloxCudaStateE
	.p2align	8
	.type	_ZN2at6native12_GLOBAL__N_124fused_dropout_kernel_vecIffjLi1ELi2EbEEvNS_4cuda6detail10TensorInfoIKT_T1_EENS5_IS6_S8_EENS5_IT4_S8_EES8_T0_NS_15PhiloxCudaStateE,@function
_ZN2at6native12_GLOBAL__N_124fused_dropout_kernel_vecIffjLi1ELi2EbEEvNS_4cuda6detail10TensorInfoIKT_T1_EENS5_IS6_S8_EENS5_IT4_S8_EES8_T0_NS_15PhiloxCudaStateE: ; @_ZN2at6native12_GLOBAL__N_124fused_dropout_kernel_vecIffjLi1ELi2EbEEvNS_4cuda6detail10TensorInfoIKT_T1_EENS5_IS6_S8_EENS5_IT4_S8_EES8_T0_NS_15PhiloxCudaStateE
; %bb.0:
	s_clause 0x1
	s_load_b128 s[4:7], s[0:1], 0x290
	s_load_b32 s2, s[0:1], 0x2a8
	s_waitcnt lgkmcnt(0)
	v_dual_mov_b32 v3, s6 :: v_dual_mov_b32 v4, s7
	v_dual_mov_b32 v9, s5 :: v_dual_mov_b32 v8, s4
	s_bitcmp0_b32 s2, 0
	s_cbranch_scc1 .LBB10_2
; %bb.1:
	v_dual_mov_b32 v1, s6 :: v_dual_mov_b32 v2, s7
	v_dual_mov_b32 v3, s4 :: v_dual_mov_b32 v4, s5
	s_load_b64 s[2:3], s[0:1], 0x2a0
	flat_load_b64 v[1:2], v[1:2]
	flat_load_b64 v[8:9], v[3:4]
	s_waitcnt vmcnt(1) lgkmcnt(0)
	v_add_co_u32 v3, vcc_lo, v1, s2
	v_add_co_ci_u32_e32 v4, vcc_lo, s3, v2, vcc_lo
.LBB10_2:
	s_clause 0x1
	s_load_b32 s6, s[0:1], 0x2bc
	s_load_b64 s[2:3], s[0:1], 0x288
	s_add_u32 s4, s0, 0x2b0
	s_addc_u32 s5, s1, 0
	s_waitcnt lgkmcnt(0)
	s_and_b32 s10, s6, 0xffff
	s_mov_b32 s6, exec_lo
	v_mad_u64_u32 v[10:11], null, s15, s10, v[0:1]
	s_delay_alu instid0(VALU_DEP_1) | instskip(NEXT) | instid1(VALU_DEP_1)
	v_lshlrev_b32_e32 v11, 1, v10
	v_cmpx_gt_u32_e64 s2, v11
	s_cbranch_execz .LBB10_15
; %bb.3:
	v_mad_u64_u32 v[0:1], null, 0xcd9e8d57, v10, 0
	v_alignbit_b32 v15, v4, v3, 2
	v_lshrrev_b32_e32 v16, 2, v4
	s_waitcnt vmcnt(0)
	v_mov_b32_e32 v32, v9
	v_add_co_u32 v18, null, 0x9e3779b9, v8
	v_mad_u64_u32 v[4:5], null, 0xd2511f53, v15, 0
	v_xor3_b32 v6, v8, v1, v16
	s_delay_alu instid0(VALU_DEP_4) | instskip(SKIP_1) | instid1(VALU_DEP_3)
	v_add_co_u32 v17, null, 0xbb67ae85, v32
	v_add_co_u32 v19, null, 0x3c6ef372, v8
	v_mad_u64_u32 v[1:2], null, 0xd2511f53, v6, 0
	v_xor_b32_e32 v7, v5, v9
	v_add_co_u32 v20, null, 0x76cf5d0a, v32
	v_add_co_u32 v21, null, 0x32370b8f, v32
	s_delay_alu instid0(VALU_DEP_3) | instskip(SKIP_3) | instid1(VALU_DEP_3)
	v_mad_u64_u32 v[5:6], null, 0xcd9e8d57, v7, 0
	v_xor3_b32 v2, v17, v2, v4
	v_add_co_u32 v22, null, 0xdaa66d2b, v8
	v_add_co_u32 v23, null, 0x78dde6e4, v8
	v_mad_u64_u32 v[12:13], null, 0xcd9e8d57, v2, 0
	v_xor3_b32 v0, v6, v18, v0
	v_add_co_u32 v24, null, 0xed9eba14, v32
	v_add_co_u32 v25, null, 0xa9066899, v32
	s_delay_alu instid0(VALU_DEP_3) | instskip(SKIP_3) | instid1(VALU_DEP_3)
	v_mad_u64_u32 v[6:7], null, 0xd2511f53, v0, 0
	v_xor3_b32 v0, v19, v13, v5
	v_add_co_u32 v26, null, 0x1715609d, v8
	v_add_co_u32 v27, null, 0xb54cda56, v8
	v_mad_u64_u32 v[4:5], null, 0xd2511f53, v0, 0
	v_xor3_b32 v2, v7, v20, v1
	v_add_co_u32 v28, null, 0x646e171e, v32
	v_div_scale_f32 v33, null, s3, s3, 1.0
	s_delay_alu instid0(VALU_DEP_3) | instskip(SKIP_2) | instid1(VALU_DEP_4)
	v_mad_u64_u32 v[0:1], null, 0xcd9e8d57, v2, 0
	v_xor3_b32 v2, v21, v5, v6
	v_add_co_u32 v29, null, 0x1fd5c5a3, v32
	v_rcp_f32_e32 v34, v33
	v_add_co_u32 v30, null, 0x5384540f, v8
	s_delay_alu instid0(VALU_DEP_3) | instskip(SKIP_3) | instid1(VALU_DEP_3)
	v_mad_u64_u32 v[5:6], null, 0xcd9e8d57, v2, 0
	v_xor3_b32 v7, v1, v22, v12
	v_add_co_u32 v31, null, 0xf1bbcdc8, v8
	v_div_scale_f32 v35, vcc_lo, 1.0, s3, 1.0
	v_mad_u64_u32 v[1:2], null, 0xd2511f53, v7, 0
	v_xor3_b32 v0, v23, v6, v0
	s_load_b32 s11, s[4:5], 0x0
	s_clause 0x2
	s_load_b64 s[4:5], s[0:1], 0x0
	s_load_b64 s[6:7], s[0:1], 0xd8
	;; [unrolled: 1-line block ×3, first 2 shown]
	s_mov_b32 s1, 0
	v_mad_u64_u32 v[6:7], null, 0xd2511f53, v0, 0
	v_xor3_b32 v0, v2, v24, v4
	s_delay_alu instid0(VALU_DEP_1) | instskip(NEXT) | instid1(VALU_DEP_3)
	v_mad_u64_u32 v[12:13], null, 0xcd9e8d57, v0, 0
	v_xor3_b32 v2, v25, v7, v1
	s_delay_alu instid0(VALU_DEP_1) | instskip(NEXT) | instid1(VALU_DEP_3)
	v_mad_u64_u32 v[0:1], null, 0xcd9e8d57, v2, 0
	v_xor3_b32 v2, v13, v26, v5
	s_waitcnt lgkmcnt(0)
	s_mul_i32 s11, s11, s10
	s_delay_alu instid0(SALU_CYCLE_1) | instskip(NEXT) | instid1(VALU_DEP_1)
	s_lshl_b32 s10, s11, 1
	v_mad_u64_u32 v[4:5], null, 0xd2511f53, v2, 0
	s_delay_alu instid0(VALU_DEP_3) | instskip(SKIP_1) | instid1(VALU_DEP_2)
	v_xor3_b32 v7, v27, v1, v12
	v_fma_f32 v12, -v33, v34, 1.0
	v_mad_u64_u32 v[1:2], null, 0xd2511f53, v7, 0
	s_delay_alu instid0(VALU_DEP_4) | instskip(NEXT) | instid1(VALU_DEP_3)
	v_xor3_b32 v7, v5, v28, v6
	v_fmac_f32_e32 v34, v12, v34
	s_delay_alu instid0(VALU_DEP_2) | instskip(NEXT) | instid1(VALU_DEP_4)
	v_mad_u64_u32 v[5:6], null, 0xcd9e8d57, v7, 0
	v_xor3_b32 v2, v29, v2, v4
	s_delay_alu instid0(VALU_DEP_1) | instskip(NEXT) | instid1(VALU_DEP_3)
	v_mad_u64_u32 v[13:14], null, 0xcd9e8d57, v2, 0
	v_xor3_b32 v0, v6, v30, v0
	s_delay_alu instid0(VALU_DEP_1) | instskip(NEXT) | instid1(VALU_DEP_3)
	v_mad_u64_u32 v[6:7], null, 0xd2511f53, v0, 0
	v_xor3_b32 v0, v31, v14, v5
	s_delay_alu instid0(VALU_DEP_1) | instskip(SKIP_1) | instid1(VALU_DEP_1)
	v_mad_u64_u32 v[4:5], null, 0xd2511f53, v0, 0
	v_mul_f32_e32 v12, v35, v34
	v_fma_f32 v2, -v33, v12, v35
	s_delay_alu instid0(VALU_DEP_1) | instskip(NEXT) | instid1(VALU_DEP_1)
	v_fmac_f32_e32 v12, v2, v34
	v_fma_f32 v14, -v33, v12, v35
	v_add_nc_u32_e32 v33, 0x8ff34781, v8
	v_add_co_u32 v32, null, 0xdb3d7428, v32
	v_and_b32_e32 v35, 3, v3
	v_mov_b32_e32 v3, v4
	v_div_fmas_f32 v0, v14, v34, v12
	s_delay_alu instid0(VALU_DEP_4) | instskip(SKIP_2) | instid1(VALU_DEP_4)
	v_xor3_b32 v7, v7, v32, v1
	v_mov_b32_e32 v12, 0
	v_add_nc_u32_e32 v34, 0x96a522ad, v9
	v_div_fixup_f32 v36, v0, s3, 1.0
	s_delay_alu instid0(VALU_DEP_4) | instskip(NEXT) | instid1(VALU_DEP_4)
	v_mad_u64_u32 v[1:2], null, 0xcd9e8d57, v7, 0
	v_mov_b32_e32 v37, v12
	s_delay_alu instid0(VALU_DEP_2)
	v_xor3_b32 v0, v13, v2, v33
	v_xor3_b32 v2, v5, v6, v34
	s_branch .LBB10_6
.LBB10_4:                               ;   in Loop: Header=BB10_6 Depth=1
	s_or_b32 exec_lo, exec_lo, s11
.LBB10_5:                               ;   in Loop: Header=BB10_6 Depth=1
	s_delay_alu instid0(SALU_CYCLE_1) | instskip(SKIP_3) | instid1(VALU_DEP_1)
	s_or_b32 exec_lo, exec_lo, s0
	v_lshlrev_b64 v[2:3], 2, v[11:12]
	v_cvt_f32_u32_e32 v1, v1
	v_cvt_f32_u32_e32 v0, v0
	v_dual_fmaak_f32 v1, 0x2f800000, v1, 0x2f800000 :: v_dual_fmaak_f32 v0, 0x2f800000, v0, 0x2f800000
	s_delay_alu instid0(VALU_DEP_4) | instskip(SKIP_1) | instid1(VALU_DEP_3)
	v_add_co_u32 v38, vcc_lo, s4, v2
	v_add_co_ci_u32_e32 v39, vcc_lo, s5, v3, vcc_lo
	v_cmp_gt_f32_e32 vcc_lo, s3, v1
	s_delay_alu instid0(VALU_DEP_4)
	v_cmp_gt_f32_e64 s0, s3, v0
	global_load_b64 v[38:39], v[38:39], off
	v_cndmask_b32_e64 v1, 0, 1.0, vcc_lo
	v_cndmask_b32_e64 v7, 0, 1.0, s0
	v_cndmask_b32_e64 v0, 0, 1, vcc_lo
	v_cndmask_b32_e64 v14, 0, 1, s0
	s_delay_alu instid0(VALU_DEP_2) | instskip(SKIP_4) | instid1(VALU_DEP_2)
	v_lshlrev_b16 v40, 8, v0
	v_add_co_u32 v0, vcc_lo, s6, v2
	s_waitcnt vmcnt(0)
	v_dual_mul_f32 v7, v38, v7 :: v_dual_mul_f32 v38, v39, v1
	v_add_co_ci_u32_e32 v1, vcc_lo, s7, v3, vcc_lo
	v_mul_f32_e32 v2, v36, v7
	s_delay_alu instid0(VALU_DEP_3)
	v_mul_f32_e32 v3, v36, v38
	v_or_b32_e32 v7, v14, v40
	global_store_b64 v[0:1], v[2:3], off
	global_store_b16 v11, v7, s[8:9]
	v_mov_b32_e32 v7, v13
	v_dual_mov_b32 v0, v4 :: v_dual_add_nc_u32 v11, s10, v11
	v_dual_mov_b32 v1, v5 :: v_dual_mov_b32 v2, v6
	s_delay_alu instid0(VALU_DEP_3) | instskip(NEXT) | instid1(VALU_DEP_3)
	v_mov_b32_e32 v3, v7
	v_cmp_le_u32_e32 vcc_lo, s2, v11
	s_waitcnt_vscnt null, 0x0
	s_barrier
	buffer_gl0_inv
	s_or_b32 s1, vcc_lo, s1
	s_delay_alu instid0(SALU_CYCLE_1)
	s_and_not1_b32 exec_lo, exec_lo, s1
	s_cbranch_execz .LBB10_15
.LBB10_6:                               ; =>This Inner Loop Header: Depth=1
	v_add_co_u32 v15, vcc_lo, v15, 1
	s_delay_alu instid0(VALU_DEP_1) | instskip(SKIP_2) | instid1(VALU_DEP_1)
	v_cndmask_b32_e64 v4, 0, 1, vcc_lo
	v_add_co_ci_u32_e32 v16, vcc_lo, 0, v16, vcc_lo
	s_mov_b32 s0, exec_lo
	v_cmp_eq_u32_e32 vcc_lo, 0, v16
	s_delay_alu instid0(VALU_DEP_3) | instskip(NEXT) | instid1(VALU_DEP_1)
	v_cndmask_b32_e32 v4, 0, v4, vcc_lo
	v_add_nc_u32_e32 v10, v4, v10
	s_delay_alu instid0(VALU_DEP_1) | instskip(SKIP_2) | instid1(VALU_DEP_2)
	v_cmp_eq_u32_e32 vcc_lo, 0, v10
	v_mad_u64_u32 v[6:7], null, 0xcd9e8d57, v10, 0
	v_cndmask_b32_e32 v4, 0, v4, vcc_lo
	v_xor3_b32 v7, v7, v8, v16
	s_delay_alu instid0(VALU_DEP_2) | instskip(SKIP_1) | instid1(VALU_DEP_3)
	v_add_nc_u32_e32 v37, v4, v37
	v_mad_u64_u32 v[4:5], null, 0xd2511f53, v15, 0
	v_mad_u64_u32 v[38:39], null, 0xd2511f53, v7, 0
	s_delay_alu instid0(VALU_DEP_2) | instskip(NEXT) | instid1(VALU_DEP_1)
	v_xor_b32_e32 v5, v5, v9
	v_xor_b32_e32 v5, v37, v5
	s_delay_alu instid0(VALU_DEP_1) | instskip(NEXT) | instid1(VALU_DEP_1)
	v_mad_u64_u32 v[13:14], null, 0xcd9e8d57, v5, 0
	v_xor3_b32 v6, v18, v14, v6
	v_xor3_b32 v14, v17, v39, v4
	s_delay_alu instid0(VALU_DEP_2) | instskip(NEXT) | instid1(VALU_DEP_2)
	v_mad_u64_u32 v[4:5], null, 0xd2511f53, v6, 0
	v_mad_u64_u32 v[6:7], null, 0xcd9e8d57, v14, 0
	s_delay_alu instid0(VALU_DEP_2) | instskip(NEXT) | instid1(VALU_DEP_2)
	v_xor3_b32 v5, v20, v5, v38
	v_xor3_b32 v7, v19, v7, v13
	s_delay_alu instid0(VALU_DEP_2) | instskip(NEXT) | instid1(VALU_DEP_2)
	v_mad_u64_u32 v[13:14], null, 0xcd9e8d57, v5, 0
	v_mad_u64_u32 v[38:39], null, 0xd2511f53, v7, 0
	s_delay_alu instid0(VALU_DEP_2) | instskip(NEXT) | instid1(VALU_DEP_2)
	;; [unrolled: 6-line block ×8, first 2 shown]
	v_xor3_b32 v4, v6, v4, v33
	v_xor3_b32 v6, v14, v39, v34
	v_cmpx_lt_i32_e32 1, v35
	s_xor_b32 s0, exec_lo, s0
	s_cbranch_execz .LBB10_12
; %bb.7:                                ;   in Loop: Header=BB10_6 Depth=1
	s_mov_b32 s11, exec_lo
	v_cmpx_lt_i32_e32 2, v35
	s_xor_b32 s11, exec_lo, s11
; %bb.8:                                ;   in Loop: Header=BB10_6 Depth=1
	v_dual_mov_b32 v0, v3 :: v_dual_mov_b32 v1, v4
; %bb.9:                                ;   in Loop: Header=BB10_6 Depth=1
	s_and_not1_saveexec_b32 s11, s11
; %bb.10:                               ;   in Loop: Header=BB10_6 Depth=1
	v_dual_mov_b32 v0, v2 :: v_dual_mov_b32 v1, v3
; %bb.11:                               ;   in Loop: Header=BB10_6 Depth=1
	s_or_b32 exec_lo, exec_lo, s11
.LBB10_12:                              ;   in Loop: Header=BB10_6 Depth=1
	s_and_not1_saveexec_b32 s0, s0
	s_cbranch_execz .LBB10_5
; %bb.13:                               ;   in Loop: Header=BB10_6 Depth=1
	s_mov_b32 s11, exec_lo
	v_cmpx_eq_u32_e32 1, v35
	s_cbranch_execz .LBB10_4
; %bb.14:                               ;   in Loop: Header=BB10_6 Depth=1
	v_dual_mov_b32 v0, v1 :: v_dual_mov_b32 v1, v2
	s_branch .LBB10_4
.LBB10_15:
	s_endpgm
	.section	.rodata,"a",@progbits
	.p2align	6, 0x0
	.amdhsa_kernel _ZN2at6native12_GLOBAL__N_124fused_dropout_kernel_vecIffjLi1ELi2EbEEvNS_4cuda6detail10TensorInfoIKT_T1_EENS5_IS6_S8_EENS5_IT4_S8_EES8_T0_NS_15PhiloxCudaStateE
		.amdhsa_group_segment_fixed_size 0
		.amdhsa_private_segment_fixed_size 0
		.amdhsa_kernarg_size 944
		.amdhsa_user_sgpr_count 15
		.amdhsa_user_sgpr_dispatch_ptr 0
		.amdhsa_user_sgpr_queue_ptr 0
		.amdhsa_user_sgpr_kernarg_segment_ptr 1
		.amdhsa_user_sgpr_dispatch_id 0
		.amdhsa_user_sgpr_private_segment_size 0
		.amdhsa_wavefront_size32 1
		.amdhsa_uses_dynamic_stack 0
		.amdhsa_enable_private_segment 0
		.amdhsa_system_sgpr_workgroup_id_x 1
		.amdhsa_system_sgpr_workgroup_id_y 0
		.amdhsa_system_sgpr_workgroup_id_z 0
		.amdhsa_system_sgpr_workgroup_info 0
		.amdhsa_system_vgpr_workitem_id 0
		.amdhsa_next_free_vgpr 41
		.amdhsa_next_free_sgpr 16
		.amdhsa_reserve_vcc 1
		.amdhsa_float_round_mode_32 0
		.amdhsa_float_round_mode_16_64 0
		.amdhsa_float_denorm_mode_32 3
		.amdhsa_float_denorm_mode_16_64 3
		.amdhsa_dx10_clamp 1
		.amdhsa_ieee_mode 1
		.amdhsa_fp16_overflow 0
		.amdhsa_workgroup_processor_mode 1
		.amdhsa_memory_ordered 1
		.amdhsa_forward_progress 0
		.amdhsa_shared_vgpr_count 0
		.amdhsa_exception_fp_ieee_invalid_op 0
		.amdhsa_exception_fp_denorm_src 0
		.amdhsa_exception_fp_ieee_div_zero 0
		.amdhsa_exception_fp_ieee_overflow 0
		.amdhsa_exception_fp_ieee_underflow 0
		.amdhsa_exception_fp_ieee_inexact 0
		.amdhsa_exception_int_div_zero 0
	.end_amdhsa_kernel
	.section	.text._ZN2at6native12_GLOBAL__N_124fused_dropout_kernel_vecIffjLi1ELi2EbEEvNS_4cuda6detail10TensorInfoIKT_T1_EENS5_IS6_S8_EENS5_IT4_S8_EES8_T0_NS_15PhiloxCudaStateE,"axG",@progbits,_ZN2at6native12_GLOBAL__N_124fused_dropout_kernel_vecIffjLi1ELi2EbEEvNS_4cuda6detail10TensorInfoIKT_T1_EENS5_IS6_S8_EENS5_IT4_S8_EES8_T0_NS_15PhiloxCudaStateE,comdat
.Lfunc_end10:
	.size	_ZN2at6native12_GLOBAL__N_124fused_dropout_kernel_vecIffjLi1ELi2EbEEvNS_4cuda6detail10TensorInfoIKT_T1_EENS5_IS6_S8_EENS5_IT4_S8_EES8_T0_NS_15PhiloxCudaStateE, .Lfunc_end10-_ZN2at6native12_GLOBAL__N_124fused_dropout_kernel_vecIffjLi1ELi2EbEEvNS_4cuda6detail10TensorInfoIKT_T1_EENS5_IS6_S8_EENS5_IT4_S8_EES8_T0_NS_15PhiloxCudaStateE
                                        ; -- End function
	.section	.AMDGPU.csdata,"",@progbits
; Kernel info:
; codeLenInByte = 1884
; NumSgprs: 18
; NumVgprs: 41
; ScratchSize: 0
; MemoryBound: 0
; FloatMode: 240
; IeeeMode: 1
; LDSByteSize: 0 bytes/workgroup (compile time only)
; SGPRBlocks: 2
; VGPRBlocks: 5
; NumSGPRsForWavesPerEU: 18
; NumVGPRsForWavesPerEU: 41
; Occupancy: 16
; WaveLimiterHint : 1
; COMPUTE_PGM_RSRC2:SCRATCH_EN: 0
; COMPUTE_PGM_RSRC2:USER_SGPR: 15
; COMPUTE_PGM_RSRC2:TRAP_HANDLER: 0
; COMPUTE_PGM_RSRC2:TGID_X_EN: 1
; COMPUTE_PGM_RSRC2:TGID_Y_EN: 0
; COMPUTE_PGM_RSRC2:TGID_Z_EN: 0
; COMPUTE_PGM_RSRC2:TIDIG_COMP_CNT: 0
	.section	.text._ZN2at6native12_GLOBAL__N_120fused_dropout_kernelIffjLi1ELi1EbEEvNS_4cuda6detail10TensorInfoIKT_T1_EENS5_IS6_S8_EENS5_IT4_S8_EES8_T0_NS_15PhiloxCudaStateE,"axG",@progbits,_ZN2at6native12_GLOBAL__N_120fused_dropout_kernelIffjLi1ELi1EbEEvNS_4cuda6detail10TensorInfoIKT_T1_EENS5_IS6_S8_EENS5_IT4_S8_EES8_T0_NS_15PhiloxCudaStateE,comdat
	.globl	_ZN2at6native12_GLOBAL__N_120fused_dropout_kernelIffjLi1ELi1EbEEvNS_4cuda6detail10TensorInfoIKT_T1_EENS5_IS6_S8_EENS5_IT4_S8_EES8_T0_NS_15PhiloxCudaStateE ; -- Begin function _ZN2at6native12_GLOBAL__N_120fused_dropout_kernelIffjLi1ELi1EbEEvNS_4cuda6detail10TensorInfoIKT_T1_EENS5_IS6_S8_EENS5_IT4_S8_EES8_T0_NS_15PhiloxCudaStateE
	.p2align	8
	.type	_ZN2at6native12_GLOBAL__N_120fused_dropout_kernelIffjLi1ELi1EbEEvNS_4cuda6detail10TensorInfoIKT_T1_EENS5_IS6_S8_EENS5_IT4_S8_EES8_T0_NS_15PhiloxCudaStateE,@function
_ZN2at6native12_GLOBAL__N_120fused_dropout_kernelIffjLi1ELi1EbEEvNS_4cuda6detail10TensorInfoIKT_T1_EENS5_IS6_S8_EENS5_IT4_S8_EES8_T0_NS_15PhiloxCudaStateE: ; @_ZN2at6native12_GLOBAL__N_120fused_dropout_kernelIffjLi1ELi1EbEEvNS_4cuda6detail10TensorInfoIKT_T1_EENS5_IS6_S8_EENS5_IT4_S8_EES8_T0_NS_15PhiloxCudaStateE
; %bb.0:
	s_clause 0x1
	s_load_b128 s[4:7], s[0:1], 0x290
	s_load_b32 s2, s[0:1], 0x2a8
	s_waitcnt lgkmcnt(0)
	v_dual_mov_b32 v1, s6 :: v_dual_mov_b32 v2, s7
	v_dual_mov_b32 v17, s5 :: v_dual_mov_b32 v16, s4
	s_bitcmp0_b32 s2, 0
	s_cbranch_scc1 .LBB11_2
; %bb.1:
	v_dual_mov_b32 v1, s6 :: v_dual_mov_b32 v2, s7
	v_dual_mov_b32 v3, s4 :: v_dual_mov_b32 v4, s5
	s_load_b64 s[2:3], s[0:1], 0x2a0
	flat_load_b64 v[1:2], v[1:2]
	flat_load_b64 v[16:17], v[3:4]
	s_waitcnt vmcnt(1) lgkmcnt(0)
	v_add_co_u32 v1, vcc_lo, v1, s2
	v_add_co_ci_u32_e32 v2, vcc_lo, s3, v2, vcc_lo
.LBB11_2:
	s_clause 0x1
	s_load_b32 s2, s[0:1], 0x2bc
	s_load_b32 s3, s[0:1], 0x2b0
	s_waitcnt lgkmcnt(0)
	s_and_b32 s2, s2, 0xffff
	s_delay_alu instid0(SALU_CYCLE_1)
	s_mul_i32 s4, s3, s2
	s_mul_i32 s13, s15, s2
	s_lshl_b32 s12, s4, 2
	s_load_b64 s[4:5], s[0:1], 0x288
	v_cvt_f32_u32_e32 v3, s12
	s_sub_i32 s7, 0, s12
	v_add_nc_u32_e32 v22, s13, v0
	s_delay_alu instid0(VALU_DEP_2) | instskip(SKIP_4) | instid1(VALU_DEP_1)
	v_rcp_iflag_f32_e32 v3, v3
	s_waitcnt_depctr 0xfff
	v_mul_f32_e32 v3, 0x4f7ffffe, v3
	s_waitcnt lgkmcnt(0)
	s_add_i32 s8, s4, -1
	v_cvt_u32_f32_e32 v3, v3
	s_delay_alu instid0(VALU_DEP_1) | instskip(NEXT) | instid1(VALU_DEP_1)
	v_readfirstlane_b32 s6, v3
	s_mul_i32 s7, s7, s6
	s_delay_alu instid0(SALU_CYCLE_1) | instskip(NEXT) | instid1(SALU_CYCLE_1)
	s_mul_hi_u32 s7, s6, s7
	s_add_i32 s6, s6, s7
	s_delay_alu instid0(SALU_CYCLE_1) | instskip(NEXT) | instid1(SALU_CYCLE_1)
	s_mul_hi_u32 s6, s8, s6
	s_mul_i32 s7, s6, s12
	s_delay_alu instid0(SALU_CYCLE_1)
	s_sub_i32 s7, s8, s7
	s_add_i32 s8, s6, 1
	s_sub_i32 s9, s7, s12
	s_cmp_ge_u32 s7, s12
	s_cselect_b32 s6, s8, s6
	s_cselect_b32 s7, s9, s7
	s_add_i32 s8, s6, 1
	s_cmp_ge_u32 s7, s12
	s_cselect_b32 s6, s8, s6
	s_delay_alu instid0(SALU_CYCLE_1) | instskip(NEXT) | instid1(SALU_CYCLE_1)
	s_add_i32 s6, s6, 1
	s_mul_i32 s14, s12, s6
	s_mov_b32 s6, exec_lo
	v_cmpx_gt_u32_e64 s14, v22
	s_cbranch_execz .LBB11_31
; %bb.3:
	v_alignbit_b32 v23, v2, v1, 2
	v_mad_u64_u32 v[3:4], null, 0xcd9e8d57, v22, 0
	v_lshrrev_b32_e32 v24, 2, v2
	s_waitcnt vmcnt(0)
	v_dual_mov_b32 v11, v17 :: v_dual_add_nc_u32 v34, 0x8ff34781, v16
	v_mad_u64_u32 v[5:6], null, 0xd2511f53, v23, 0
	v_add_co_u32 v26, null, 0x9e3779b9, v16
	v_xor3_b32 v2, v16, v4, v24
	s_delay_alu instid0(VALU_DEP_4) | instskip(SKIP_2) | instid1(VALU_DEP_4)
	v_add_co_u32 v25, null, 0xbb67ae85, v11
	v_add_co_u32 v27, null, 0x3c6ef372, v16
	v_xor_b32_e32 v4, v6, v17
	v_mad_u64_u32 v[6:7], null, 0xd2511f53, v2, 0
	v_add_co_u32 v28, null, 0x76cf5d0a, v11
	s_delay_alu instid0(VALU_DEP_3) | instskip(SKIP_1) | instid1(VALU_DEP_4)
	v_mad_u64_u32 v[8:9], null, 0xcd9e8d57, v4, 0
	v_add_co_u32 v29, null, 0x32370b8f, v11
	v_xor3_b32 v4, v25, v7, v5
	v_add_co_u32 v30, null, 0xdaa66d2b, v16
	v_add_co_u32 v31, null, 0x78dde6e4, v16
	v_xor3_b32 v7, v9, v26, v3
	s_delay_alu instid0(VALU_DEP_4) | instskip(SKIP_1) | instid1(VALU_DEP_3)
	v_mad_u64_u32 v[2:3], null, 0xcd9e8d57, v4, 0
	v_add_co_u32 v32, null, 0xed9eba14, v11
	v_mad_u64_u32 v[4:5], null, 0xd2511f53, v7, 0
	v_div_scale_f32 v13, vcc_lo, 1.0, s5, 1.0
	s_delay_alu instid0(VALU_DEP_4) | instskip(SKIP_3) | instid1(VALU_DEP_4)
	v_xor3_b32 v3, v27, v3, v8
	v_and_b32_e32 v33, 3, v1
	v_add_co_u32 v36, null, 0xa9066899, v11
	v_xor3_b32 v9, v5, v28, v6
	v_mad_u64_u32 v[5:6], null, 0xd2511f53, v3, 0
	v_add_co_u32 v37, null, 0x1715609d, v16
	s_delay_alu instid0(VALU_DEP_3) | instskip(SKIP_1) | instid1(VALU_DEP_4)
	v_mad_u64_u32 v[7:8], null, 0xcd9e8d57, v9, 0
	v_div_scale_f32 v12, null, s5, s5, 1.0
	v_xor3_b32 v4, v29, v6, v4
	v_add_co_u32 v38, null, 0xb54cda56, v16
	s_delay_alu instid0(VALU_DEP_3) | instskip(NEXT) | instid1(VALU_DEP_4)
	v_rcp_f32_e32 v14, v12
	v_xor3_b32 v6, v8, v30, v2
	s_delay_alu instid0(VALU_DEP_3) | instskip(SKIP_1) | instid1(VALU_DEP_3)
	v_mad_u64_u32 v[2:3], null, 0xcd9e8d57, v4, 0
	v_add_co_u32 v40, null, 0x646e171e, v11
	v_mad_u64_u32 v[8:9], null, 0xd2511f53, v6, 0
	v_add_co_u32 v39, null, 0x5384540f, v16
	s_delay_alu instid0(VALU_DEP_4) | instskip(SKIP_3) | instid1(VALU_DEP_4)
	v_xor3_b32 v1, v31, v3, v7
	v_add_co_u32 v42, null, 0x1fd5c5a3, v11
	v_add_co_u32 v41, null, 0xf1bbcdc8, v16
	v_xor3_b32 v7, v9, v32, v5
	v_mad_u64_u32 v[3:4], null, 0xd2511f53, v1, 0
	v_add_co_u32 v43, null, 0xdb3d7428, v11
	s_delay_alu instid0(VALU_DEP_3) | instskip(SKIP_3) | instid1(VALU_DEP_3)
	v_mad_u64_u32 v[5:6], null, 0xcd9e8d57, v7, 0
	s_clause 0x1
	s_load_b64 s[6:7], s[0:1], 0x0
	s_load_b32 s19, s[0:1], 0x144
	v_xor3_b32 v4, v36, v4, v8
	s_clause 0x2
	s_load_b64 s[8:9], s[0:1], 0x1b0
	s_load_b64 s[10:11], s[0:1], 0xd8
	s_load_b32 s0, s[0:1], 0x6c
	s_lshl_b32 s1, s3, 1
	v_xor3_b32 v8, v6, v37, v2
	v_mad_u64_u32 v[1:2], null, 0xcd9e8d57, v4, 0
	v_fma_f32 v4, -v12, v14, 1.0
	v_mov_b32_e32 v19, 0
	s_delay_alu instid0(VALU_DEP_4) | instskip(SKIP_1) | instid1(VALU_DEP_3)
	v_mad_u64_u32 v[6:7], null, 0xd2511f53, v8, 0
	s_mul_i32 s17, s3, 3
	v_fmac_f32_e32 v14, v4, v14
	v_xor3_b32 v5, v38, v2, v5
	s_add_i32 s1, s15, s1
	s_add_i32 s18, s15, s17
	s_add_i32 s15, s15, s3
	s_delay_alu instid0(VALU_DEP_3) | instskip(SKIP_3) | instid1(VALU_DEP_3)
	v_xor3_b32 v7, v7, v40, v3
	v_mad_u64_u32 v[2:3], null, 0xd2511f53, v5, 0
	v_mul_f32_e32 v8, v13, v14
	s_mul_i32 s17, s1, s2
	v_mad_u64_u32 v[4:5], null, 0xcd9e8d57, v7, 0
	s_mul_i32 s18, s18, s2
	s_delay_alu instid0(VALU_DEP_2) | instskip(NEXT) | instid1(VALU_DEP_4)
	v_fma_f32 v7, -v12, v8, v13
	v_xor3_b32 v3, v42, v3, v6
	v_add_nc_u32_e32 v35, 0x96a522ad, v17
	s_mul_i32 s15, s15, s2
	s_waitcnt lgkmcnt(0)
	v_mul_lo_u32 v44, s19, v22
	v_fmac_f32_e32 v8, v7, v14
	v_xor3_b32 v1, v5, v39, v1
	v_mad_u64_u32 v[5:6], null, 0xcd9e8d57, v3, 0
	v_mul_lo_u32 v45, s0, v22
	s_delay_alu instid0(VALU_DEP_4) | instskip(NEXT) | instid1(VALU_DEP_4)
	v_fma_f32 v11, -v12, v8, v13
	v_mad_u64_u32 v[9:10], null, 0xd2511f53, v1, 0
	v_mov_b32_e32 v53, 0
	s_mul_i32 s1, s3, s19
	v_xor3_b32 v3, v41, v6, v4
	v_add_nc_u32_e32 v4, s17, v0
	s_mul_i32 s3, s3, s0
	s_mul_i32 s1, s1, s2
	s_delay_alu instid0(VALU_DEP_4) | instskip(SKIP_3) | instid1(VALU_DEP_4)
	v_xor3_b32 v10, v10, v43, v2
	v_mad_u64_u32 v[1:2], null, 0xd2511f53, v3, 0
	v_div_fmas_f32 v3, v11, v14, v8
	v_mul_lo_u32 v47, s0, v4
	v_mad_u64_u32 v[6:7], null, 0xcd9e8d57, v10, 0
	v_mul_lo_u32 v48, s19, v4
	s_delay_alu instid0(VALU_DEP_4) | instskip(SKIP_3) | instid1(VALU_DEP_4)
	v_div_fixup_f32 v46, v3, s5, 1.0
	v_dual_mov_b32 v8, v1 :: v_dual_add_nc_u32 v1, s18, v0
	s_mul_i32 s3, s3, s2
	s_mov_b32 s16, 0
	v_xor3_b32 v5, v5, v7, v34
	v_xor3_b32 v7, v2, v9, v35
	v_add_nc_u32_e32 v2, s15, v0
	v_mul_lo_u32 v49, s0, v1
	v_mul_lo_u32 v50, s19, v1
	s_lshl_b32 s20, s3, 2
	s_mov_b32 s21, 0
	v_mul_lo_u32 v51, s19, v2
	v_mul_lo_u32 v52, s0, v2
	s_lshl_b32 s19, s1, 2
	s_mov_b32 s22, 0
                                        ; implicit-def: $vgpr1_vgpr2_vgpr3_vgpr4
	s_branch .LBB11_5
.LBB11_4:                               ;   in Loop: Header=BB11_5 Depth=1
	s_or_b32 exec_lo, exec_lo, s1
	v_mov_b32_e32 v12, v20
	v_add_nc_u32_e32 v0, s12, v0
	s_add_i32 s22, s22, s19
	s_add_i32 s21, s21, s20
	s_waitcnt vmcnt(0)
	s_waitcnt_vscnt null, 0x0
	s_barrier
	v_add_nc_u32_e32 v5, s13, v0
	buffer_gl0_inv
	v_cmp_le_u32_e32 vcc_lo, s14, v5
	v_dual_mov_b32 v5, v9 :: v_dual_mov_b32 v6, v10
	v_dual_mov_b32 v7, v11 :: v_dual_mov_b32 v8, v12
	s_or_b32 s16, vcc_lo, s16
	s_delay_alu instid0(SALU_CYCLE_1)
	s_and_not1_b32 exec_lo, exec_lo, s16
	s_cbranch_execz .LBB11_31
.LBB11_5:                               ; =>This Inner Loop Header: Depth=1
	v_add_co_u32 v23, vcc_lo, v23, 1
	s_delay_alu instid0(VALU_DEP_1) | instskip(SKIP_2) | instid1(VALU_DEP_1)
	v_cndmask_b32_e64 v9, 0, 1, vcc_lo
	v_add_co_ci_u32_e32 v24, vcc_lo, 0, v24, vcc_lo
	s_mov_b32 s0, exec_lo
	v_cmp_eq_u32_e32 vcc_lo, 0, v24
	s_delay_alu instid0(VALU_DEP_3) | instskip(NEXT) | instid1(VALU_DEP_1)
	v_cndmask_b32_e32 v9, 0, v9, vcc_lo
	v_add_nc_u32_e32 v22, v9, v22
	s_delay_alu instid0(VALU_DEP_1) | instskip(SKIP_2) | instid1(VALU_DEP_2)
	v_cmp_eq_u32_e32 vcc_lo, 0, v22
	v_cndmask_b32_e32 v9, 0, v9, vcc_lo
	v_mad_u64_u32 v[11:12], null, 0xcd9e8d57, v22, 0
	v_add_nc_u32_e32 v53, v9, v53
	v_mad_u64_u32 v[9:10], null, 0xd2511f53, v23, 0
	s_delay_alu instid0(VALU_DEP_3) | instskip(NEXT) | instid1(VALU_DEP_2)
	v_xor3_b32 v14, v12, v16, v24
	v_xor_b32_e32 v10, v10, v17
	s_delay_alu instid0(VALU_DEP_2) | instskip(NEXT) | instid1(VALU_DEP_2)
	v_mad_u64_u32 v[12:13], null, 0xd2511f53, v14, 0
	v_xor_b32_e32 v10, v53, v10
	s_delay_alu instid0(VALU_DEP_2) | instskip(NEXT) | instid1(VALU_DEP_2)
	v_xor3_b32 v13, v25, v13, v9
	v_mad_u64_u32 v[14:15], null, 0xcd9e8d57, v10, 0
	s_delay_alu instid0(VALU_DEP_2) | instskip(NEXT) | instid1(VALU_DEP_2)
	v_mad_u64_u32 v[9:10], null, 0xcd9e8d57, v13, 0
	v_xor3_b32 v11, v26, v15, v11
	s_delay_alu instid0(VALU_DEP_2) | instskip(NEXT) | instid1(VALU_DEP_2)
	v_xor3_b32 v13, v27, v10, v14
	v_mad_u64_u32 v[20:21], null, 0xd2511f53, v11, 0
	s_delay_alu instid0(VALU_DEP_2) | instskip(NEXT) | instid1(VALU_DEP_2)
	v_mad_u64_u32 v[10:11], null, 0xd2511f53, v13, 0
	v_xor3_b32 v14, v28, v21, v12
	s_delay_alu instid0(VALU_DEP_2) | instskip(NEXT) | instid1(VALU_DEP_2)
	v_xor3_b32 v11, v29, v11, v20
	v_mad_u64_u32 v[12:13], null, 0xcd9e8d57, v14, 0
	s_delay_alu instid0(VALU_DEP_1) | instskip(NEXT) | instid1(VALU_DEP_3)
	v_xor3_b32 v9, v30, v13, v9
	v_mad_u64_u32 v[13:14], null, 0xcd9e8d57, v11, 0
	s_delay_alu instid0(VALU_DEP_2) | instskip(NEXT) | instid1(VALU_DEP_2)
	v_mad_u64_u32 v[20:21], null, 0xd2511f53, v9, 0
	v_xor3_b32 v11, v31, v14, v12
	s_delay_alu instid0(VALU_DEP_2) | instskip(NEXT) | instid1(VALU_DEP_2)
	v_xor3_b32 v14, v32, v21, v10
	v_mad_u64_u32 v[9:10], null, 0xd2511f53, v11, 0
	s_delay_alu instid0(VALU_DEP_2) | instskip(NEXT) | instid1(VALU_DEP_2)
	v_mad_u64_u32 v[11:12], null, 0xcd9e8d57, v14, 0
	v_xor3_b32 v10, v36, v10, v20
	s_delay_alu instid0(VALU_DEP_2) | instskip(NEXT) | instid1(VALU_DEP_2)
	;; [unrolled: 6-line block ×6, first 2 shown]
	v_xor3_b32 v9, v11, v12, v34
	v_mov_b32_e32 v11, v15
	v_cmpx_lt_i32_e32 1, v33
	s_xor_b32 s0, exec_lo, s0
	s_cbranch_execz .LBB11_11
; %bb.6:                                ;   in Loop: Header=BB11_5 Depth=1
	s_mov_b32 s1, exec_lo
	v_cmpx_lt_i32_e32 2, v33
	s_xor_b32 s1, exec_lo, s1
; %bb.7:                                ;   in Loop: Header=BB11_5 Depth=1
	v_dual_mov_b32 v12, v8 :: v_dual_mov_b32 v13, v9
	v_mov_b32_e32 v14, v10
	s_delay_alu instid0(VALU_DEP_2) | instskip(NEXT) | instid1(VALU_DEP_2)
	v_dual_mov_b32 v5, v12 :: v_dual_mov_b32 v6, v13
	v_dual_mov_b32 v7, v14 :: v_dual_mov_b32 v8, v15
; %bb.8:                                ;   in Loop: Header=BB11_5 Depth=1
	s_and_not1_saveexec_b32 s1, s1
; %bb.9:                                ;   in Loop: Header=BB11_5 Depth=1
	s_delay_alu instid0(VALU_DEP_1)
	v_dual_mov_b32 v5, v7 :: v_dual_mov_b32 v6, v8
	v_dual_mov_b32 v7, v9 :: v_dual_mov_b32 v8, v10
; %bb.10:                               ;   in Loop: Header=BB11_5 Depth=1
	s_or_b32 exec_lo, exec_lo, s1
.LBB11_11:                              ;   in Loop: Header=BB11_5 Depth=1
	s_and_not1_saveexec_b32 s0, s0
	s_cbranch_execz .LBB11_15
; %bb.12:                               ;   in Loop: Header=BB11_5 Depth=1
	s_mov_b32 s1, exec_lo
	v_cmpx_eq_u32_e32 1, v33
; %bb.13:                               ;   in Loop: Header=BB11_5 Depth=1
	v_dual_mov_b32 v5, v6 :: v_dual_mov_b32 v6, v7
	v_dual_mov_b32 v7, v8 :: v_dual_mov_b32 v8, v9
; %bb.14:                               ;   in Loop: Header=BB11_5 Depth=1
	s_or_b32 exec_lo, exec_lo, s1
.LBB11_15:                              ;   in Loop: Header=BB11_5 Depth=1
	s_delay_alu instid0(SALU_CYCLE_1) | instskip(SKIP_1) | instid1(VALU_DEP_1)
	s_or_b32 exec_lo, exec_lo, s0
	v_add_nc_u32_e32 v12, s13, v0
	v_cmp_gt_u32_e64 s2, s4, v12
	s_delay_alu instid0(VALU_DEP_1)
	s_and_saveexec_b32 s0, s2
	s_cbranch_execz .LBB11_17
; %bb.16:                               ;   in Loop: Header=BB11_5 Depth=1
	v_add_nc_u32_e32 v18, s21, v45
	s_delay_alu instid0(VALU_DEP_1) | instskip(NEXT) | instid1(VALU_DEP_1)
	v_lshlrev_b64 v[12:13], 2, v[18:19]
	v_add_co_u32 v12, vcc_lo, s6, v12
	s_delay_alu instid0(VALU_DEP_2)
	v_add_co_ci_u32_e32 v13, vcc_lo, s7, v13, vcc_lo
	global_load_b32 v1, v[12:13], off
.LBB11_17:                              ;   in Loop: Header=BB11_5 Depth=1
	s_or_b32 exec_lo, exec_lo, s0
	v_add_nc_u32_e32 v12, s15, v0
	s_delay_alu instid0(VALU_DEP_1) | instskip(NEXT) | instid1(VALU_DEP_1)
	v_cmp_gt_u32_e64 s1, s4, v12
	s_and_saveexec_b32 s0, s1
	s_cbranch_execz .LBB11_19
; %bb.18:                               ;   in Loop: Header=BB11_5 Depth=1
	v_add_nc_u32_e32 v18, s21, v52
	s_delay_alu instid0(VALU_DEP_1) | instskip(NEXT) | instid1(VALU_DEP_1)
	v_lshlrev_b64 v[12:13], 2, v[18:19]
	v_add_co_u32 v12, vcc_lo, s6, v12
	s_delay_alu instid0(VALU_DEP_2)
	v_add_co_ci_u32_e32 v13, vcc_lo, s7, v13, vcc_lo
	global_load_b32 v2, v[12:13], off
.LBB11_19:                              ;   in Loop: Header=BB11_5 Depth=1
	s_or_b32 exec_lo, exec_lo, s0
	v_add_nc_u32_e32 v12, s17, v0
	s_delay_alu instid0(VALU_DEP_1) | instskip(NEXT) | instid1(VALU_DEP_1)
	v_cmp_gt_u32_e64 s0, s4, v12
	s_and_saveexec_b32 s3, s0
	s_cbranch_execz .LBB11_21
; %bb.20:                               ;   in Loop: Header=BB11_5 Depth=1
	v_add_nc_u32_e32 v18, s21, v47
	s_delay_alu instid0(VALU_DEP_1) | instskip(NEXT) | instid1(VALU_DEP_1)
	v_lshlrev_b64 v[12:13], 2, v[18:19]
	v_add_co_u32 v12, vcc_lo, s6, v12
	s_delay_alu instid0(VALU_DEP_2)
	v_add_co_ci_u32_e32 v13, vcc_lo, s7, v13, vcc_lo
	global_load_b32 v3, v[12:13], off
.LBB11_21:                              ;   in Loop: Header=BB11_5 Depth=1
	s_or_b32 exec_lo, exec_lo, s3
	v_add_nc_u32_e32 v12, s18, v0
	s_delay_alu instid0(VALU_DEP_1)
	v_cmp_gt_u32_e32 vcc_lo, s4, v12
	s_and_saveexec_b32 s23, vcc_lo
	s_cbranch_execnz .LBB11_26
; %bb.22:                               ;   in Loop: Header=BB11_5 Depth=1
	s_or_b32 exec_lo, exec_lo, s23
	s_and_saveexec_b32 s23, s2
	s_cbranch_execnz .LBB11_27
.LBB11_23:                              ;   in Loop: Header=BB11_5 Depth=1
	s_or_b32 exec_lo, exec_lo, s23
	s_and_saveexec_b32 s3, s1
	s_cbranch_execnz .LBB11_28
.LBB11_24:                              ;   in Loop: Header=BB11_5 Depth=1
	s_or_b32 exec_lo, exec_lo, s3
	s_and_saveexec_b32 s2, s0
	s_cbranch_execnz .LBB11_29
.LBB11_25:                              ;   in Loop: Header=BB11_5 Depth=1
	s_or_b32 exec_lo, exec_lo, s2
	s_and_saveexec_b32 s1, vcc_lo
	s_cbranch_execz .LBB11_4
	s_branch .LBB11_30
.LBB11_26:                              ;   in Loop: Header=BB11_5 Depth=1
	v_add_nc_u32_e32 v18, s21, v49
	s_delay_alu instid0(VALU_DEP_1) | instskip(NEXT) | instid1(VALU_DEP_1)
	v_lshlrev_b64 v[12:13], 2, v[18:19]
	v_add_co_u32 v12, s3, s6, v12
	s_delay_alu instid0(VALU_DEP_1)
	v_add_co_ci_u32_e64 v13, s3, s7, v13, s3
	global_load_b32 v4, v[12:13], off
	s_or_b32 exec_lo, exec_lo, s23
	s_and_saveexec_b32 s23, s2
	s_cbranch_execz .LBB11_23
.LBB11_27:                              ;   in Loop: Header=BB11_5 Depth=1
	v_cvt_f32_u32_e32 v5, v5
	s_delay_alu instid0(VALU_DEP_1) | instskip(NEXT) | instid1(VALU_DEP_1)
	v_dual_fmaak_f32 v5, 0x2f800000, v5, 0x2f800000 :: v_dual_add_nc_u32 v18, s22, v44
	v_lshlrev_b64 v[12:13], 2, v[18:19]
	s_delay_alu instid0(VALU_DEP_2) | instskip(NEXT) | instid1(VALU_DEP_2)
	v_cmp_gt_f32_e64 s2, s5, v5
	v_add_co_u32 v12, s3, s10, v12
	s_delay_alu instid0(VALU_DEP_1) | instskip(NEXT) | instid1(VALU_DEP_3)
	v_add_co_ci_u32_e64 v13, s3, s11, v13, s3
	v_cndmask_b32_e64 v5, 0, 1.0, s2
	v_cndmask_b32_e64 v14, 0, 1, s2
	s_waitcnt vmcnt(0)
	s_delay_alu instid0(VALU_DEP_2) | instskip(NEXT) | instid1(VALU_DEP_1)
	v_mul_f32_e32 v5, v1, v5
	v_mul_f32_e32 v5, v46, v5
	global_store_b32 v[12:13], v5, off
	global_store_b8 v18, v14, s[8:9]
	s_or_b32 exec_lo, exec_lo, s23
	s_and_saveexec_b32 s3, s1
	s_cbranch_execz .LBB11_24
.LBB11_28:                              ;   in Loop: Header=BB11_5 Depth=1
	v_cvt_f32_u32_e32 v5, v6
	s_delay_alu instid0(VALU_DEP_1) | instskip(NEXT) | instid1(VALU_DEP_1)
	v_dual_fmaak_f32 v5, 0x2f800000, v5, 0x2f800000 :: v_dual_add_nc_u32 v18, s22, v51
	v_cmp_gt_f32_e64 s1, s5, v5
	s_delay_alu instid0(VALU_DEP_2) | instskip(NEXT) | instid1(VALU_DEP_2)
	v_lshlrev_b64 v[5:6], 2, v[18:19]
	v_cndmask_b32_e64 v12, 0, 1.0, s1
	v_cndmask_b32_e64 v13, 0, 1, s1
	s_delay_alu instid0(VALU_DEP_3) | instskip(NEXT) | instid1(VALU_DEP_1)
	v_add_co_u32 v5, s2, s10, v5
	v_add_co_ci_u32_e64 v6, s2, s11, v6, s2
	s_waitcnt vmcnt(0)
	v_mul_f32_e32 v12, v2, v12
	s_delay_alu instid0(VALU_DEP_1)
	v_mul_f32_e32 v12, v46, v12
	global_store_b32 v[5:6], v12, off
	global_store_b8 v18, v13, s[8:9]
	s_or_b32 exec_lo, exec_lo, s3
	s_and_saveexec_b32 s2, s0
	s_cbranch_execz .LBB11_25
.LBB11_29:                              ;   in Loop: Header=BB11_5 Depth=1
	v_cvt_f32_u32_e32 v5, v7
	s_delay_alu instid0(VALU_DEP_1) | instskip(NEXT) | instid1(VALU_DEP_1)
	v_dual_fmaak_f32 v5, 0x2f800000, v5, 0x2f800000 :: v_dual_add_nc_u32 v18, s22, v48
	v_cmp_gt_f32_e64 s0, s5, v5
	s_delay_alu instid0(VALU_DEP_2) | instskip(NEXT) | instid1(VALU_DEP_2)
	v_lshlrev_b64 v[5:6], 2, v[18:19]
	v_cndmask_b32_e64 v7, 0, 1.0, s0
	v_cndmask_b32_e64 v12, 0, 1, s0
	s_delay_alu instid0(VALU_DEP_3) | instskip(NEXT) | instid1(VALU_DEP_1)
	v_add_co_u32 v5, s1, s10, v5
	v_add_co_ci_u32_e64 v6, s1, s11, v6, s1
	s_waitcnt vmcnt(0)
	v_mul_f32_e32 v7, v3, v7
	s_delay_alu instid0(VALU_DEP_1)
	v_mul_f32_e32 v7, v46, v7
	global_store_b32 v[5:6], v7, off
	global_store_b8 v18, v12, s[8:9]
	s_or_b32 exec_lo, exec_lo, s2
	s_and_saveexec_b32 s1, vcc_lo
	s_cbranch_execz .LBB11_4
.LBB11_30:                              ;   in Loop: Header=BB11_5 Depth=1
	v_cvt_f32_u32_e32 v5, v8
	s_delay_alu instid0(VALU_DEP_1) | instskip(NEXT) | instid1(VALU_DEP_1)
	v_dual_fmaak_f32 v5, 0x2f800000, v5, 0x2f800000 :: v_dual_add_nc_u32 v18, s22, v50
	v_cmp_gt_f32_e32 vcc_lo, s5, v5
	s_delay_alu instid0(VALU_DEP_2) | instskip(SKIP_2) | instid1(VALU_DEP_3)
	v_lshlrev_b64 v[5:6], 2, v[18:19]
	v_cndmask_b32_e64 v7, 0, 1.0, vcc_lo
	v_cndmask_b32_e64 v8, 0, 1, vcc_lo
	v_add_co_u32 v5, s0, s10, v5
	s_delay_alu instid0(VALU_DEP_1) | instskip(SKIP_2) | instid1(VALU_DEP_1)
	v_add_co_ci_u32_e64 v6, s0, s11, v6, s0
	s_waitcnt vmcnt(0)
	v_mul_f32_e32 v7, v4, v7
	v_mul_f32_e32 v7, v46, v7
	global_store_b32 v[5:6], v7, off
	global_store_b8 v18, v8, s[8:9]
	s_branch .LBB11_4
.LBB11_31:
	s_endpgm
	.section	.rodata,"a",@progbits
	.p2align	6, 0x0
	.amdhsa_kernel _ZN2at6native12_GLOBAL__N_120fused_dropout_kernelIffjLi1ELi1EbEEvNS_4cuda6detail10TensorInfoIKT_T1_EENS5_IS6_S8_EENS5_IT4_S8_EES8_T0_NS_15PhiloxCudaStateE
		.amdhsa_group_segment_fixed_size 0
		.amdhsa_private_segment_fixed_size 0
		.amdhsa_kernarg_size 944
		.amdhsa_user_sgpr_count 15
		.amdhsa_user_sgpr_dispatch_ptr 0
		.amdhsa_user_sgpr_queue_ptr 0
		.amdhsa_user_sgpr_kernarg_segment_ptr 1
		.amdhsa_user_sgpr_dispatch_id 0
		.amdhsa_user_sgpr_private_segment_size 0
		.amdhsa_wavefront_size32 1
		.amdhsa_uses_dynamic_stack 0
		.amdhsa_enable_private_segment 0
		.amdhsa_system_sgpr_workgroup_id_x 1
		.amdhsa_system_sgpr_workgroup_id_y 0
		.amdhsa_system_sgpr_workgroup_id_z 0
		.amdhsa_system_sgpr_workgroup_info 0
		.amdhsa_system_vgpr_workitem_id 0
		.amdhsa_next_free_vgpr 54
		.amdhsa_next_free_sgpr 24
		.amdhsa_reserve_vcc 1
		.amdhsa_float_round_mode_32 0
		.amdhsa_float_round_mode_16_64 0
		.amdhsa_float_denorm_mode_32 3
		.amdhsa_float_denorm_mode_16_64 3
		.amdhsa_dx10_clamp 1
		.amdhsa_ieee_mode 1
		.amdhsa_fp16_overflow 0
		.amdhsa_workgroup_processor_mode 1
		.amdhsa_memory_ordered 1
		.amdhsa_forward_progress 0
		.amdhsa_shared_vgpr_count 0
		.amdhsa_exception_fp_ieee_invalid_op 0
		.amdhsa_exception_fp_denorm_src 0
		.amdhsa_exception_fp_ieee_div_zero 0
		.amdhsa_exception_fp_ieee_overflow 0
		.amdhsa_exception_fp_ieee_underflow 0
		.amdhsa_exception_fp_ieee_inexact 0
		.amdhsa_exception_int_div_zero 0
	.end_amdhsa_kernel
	.section	.text._ZN2at6native12_GLOBAL__N_120fused_dropout_kernelIffjLi1ELi1EbEEvNS_4cuda6detail10TensorInfoIKT_T1_EENS5_IS6_S8_EENS5_IT4_S8_EES8_T0_NS_15PhiloxCudaStateE,"axG",@progbits,_ZN2at6native12_GLOBAL__N_120fused_dropout_kernelIffjLi1ELi1EbEEvNS_4cuda6detail10TensorInfoIKT_T1_EENS5_IS6_S8_EENS5_IT4_S8_EES8_T0_NS_15PhiloxCudaStateE,comdat
.Lfunc_end11:
	.size	_ZN2at6native12_GLOBAL__N_120fused_dropout_kernelIffjLi1ELi1EbEEvNS_4cuda6detail10TensorInfoIKT_T1_EENS5_IS6_S8_EENS5_IT4_S8_EES8_T0_NS_15PhiloxCudaStateE, .Lfunc_end11-_ZN2at6native12_GLOBAL__N_120fused_dropout_kernelIffjLi1ELi1EbEEvNS_4cuda6detail10TensorInfoIKT_T1_EENS5_IS6_S8_EENS5_IT4_S8_EES8_T0_NS_15PhiloxCudaStateE
                                        ; -- End function
	.section	.AMDGPU.csdata,"",@progbits
; Kernel info:
; codeLenInByte = 2832
; NumSgprs: 26
; NumVgprs: 54
; ScratchSize: 0
; MemoryBound: 0
; FloatMode: 240
; IeeeMode: 1
; LDSByteSize: 0 bytes/workgroup (compile time only)
; SGPRBlocks: 3
; VGPRBlocks: 6
; NumSGPRsForWavesPerEU: 26
; NumVGPRsForWavesPerEU: 54
; Occupancy: 16
; WaveLimiterHint : 1
; COMPUTE_PGM_RSRC2:SCRATCH_EN: 0
; COMPUTE_PGM_RSRC2:USER_SGPR: 15
; COMPUTE_PGM_RSRC2:TRAP_HANDLER: 0
; COMPUTE_PGM_RSRC2:TGID_X_EN: 1
; COMPUTE_PGM_RSRC2:TGID_Y_EN: 0
; COMPUTE_PGM_RSRC2:TGID_Z_EN: 0
; COMPUTE_PGM_RSRC2:TIDIG_COMP_CNT: 0
	.section	.text._ZN2at6native12_GLOBAL__N_120fused_dropout_kernelIffjLin1ELi1EbEEvNS_4cuda6detail10TensorInfoIKT_T1_EENS5_IS6_S8_EENS5_IT4_S8_EES8_T0_NS_15PhiloxCudaStateE,"axG",@progbits,_ZN2at6native12_GLOBAL__N_120fused_dropout_kernelIffjLin1ELi1EbEEvNS_4cuda6detail10TensorInfoIKT_T1_EENS5_IS6_S8_EENS5_IT4_S8_EES8_T0_NS_15PhiloxCudaStateE,comdat
	.globl	_ZN2at6native12_GLOBAL__N_120fused_dropout_kernelIffjLin1ELi1EbEEvNS_4cuda6detail10TensorInfoIKT_T1_EENS5_IS6_S8_EENS5_IT4_S8_EES8_T0_NS_15PhiloxCudaStateE ; -- Begin function _ZN2at6native12_GLOBAL__N_120fused_dropout_kernelIffjLin1ELi1EbEEvNS_4cuda6detail10TensorInfoIKT_T1_EENS5_IS6_S8_EENS5_IT4_S8_EES8_T0_NS_15PhiloxCudaStateE
	.p2align	8
	.type	_ZN2at6native12_GLOBAL__N_120fused_dropout_kernelIffjLin1ELi1EbEEvNS_4cuda6detail10TensorInfoIKT_T1_EENS5_IS6_S8_EENS5_IT4_S8_EES8_T0_NS_15PhiloxCudaStateE,@function
_ZN2at6native12_GLOBAL__N_120fused_dropout_kernelIffjLin1ELi1EbEEvNS_4cuda6detail10TensorInfoIKT_T1_EENS5_IS6_S8_EENS5_IT4_S8_EES8_T0_NS_15PhiloxCudaStateE: ; @_ZN2at6native12_GLOBAL__N_120fused_dropout_kernelIffjLin1ELi1EbEEvNS_4cuda6detail10TensorInfoIKT_T1_EENS5_IS6_S8_EENS5_IT4_S8_EES8_T0_NS_15PhiloxCudaStateE
; %bb.0:
	s_clause 0x1
	s_load_b128 s[4:7], s[0:1], 0x290
	s_load_b32 s2, s[0:1], 0x2a8
	s_waitcnt lgkmcnt(0)
	v_dual_mov_b32 v1, s6 :: v_dual_mov_b32 v2, s7
	v_dual_mov_b32 v16, s5 :: v_dual_mov_b32 v15, s4
	s_bitcmp0_b32 s2, 0
	s_cbranch_scc1 .LBB12_2
; %bb.1:
	v_dual_mov_b32 v1, s6 :: v_dual_mov_b32 v2, s7
	v_dual_mov_b32 v3, s4 :: v_dual_mov_b32 v4, s5
	s_load_b64 s[2:3], s[0:1], 0x2a0
	flat_load_b64 v[1:2], v[1:2]
	flat_load_b64 v[15:16], v[3:4]
	s_waitcnt vmcnt(1) lgkmcnt(0)
	v_add_co_u32 v1, vcc_lo, v1, s2
	v_add_co_ci_u32_e32 v2, vcc_lo, s3, v2, vcc_lo
.LBB12_2:
	s_clause 0x2
	s_load_b32 s2, s[0:1], 0x2bc
	s_load_b32 s18, s[0:1], 0x2b0
	s_load_b64 s[4:5], s[0:1], 0x288
	s_waitcnt lgkmcnt(0)
	s_and_b32 s2, s2, 0xffff
	s_add_i32 s7, s4, -1
	s_mul_i32 s18, s18, s2
	v_mad_u64_u32 v[17:18], null, s15, s2, v[0:1]
	s_lshl_b32 s19, s18, 2
	s_delay_alu instid0(SALU_CYCLE_1) | instskip(SKIP_1) | instid1(VALU_DEP_1)
	v_cvt_f32_u32_e32 v3, s19
	s_sub_i32 s6, 0, s19
	v_rcp_iflag_f32_e32 v3, v3
	s_waitcnt_depctr 0xfff
	v_mul_f32_e32 v3, 0x4f7ffffe, v3
	s_delay_alu instid0(VALU_DEP_1) | instskip(NEXT) | instid1(VALU_DEP_1)
	v_cvt_u32_f32_e32 v3, v3
	v_readfirstlane_b32 s3, v3
	s_delay_alu instid0(VALU_DEP_1) | instskip(NEXT) | instid1(SALU_CYCLE_1)
	s_mul_i32 s6, s6, s3
	s_mul_hi_u32 s6, s3, s6
	s_delay_alu instid0(SALU_CYCLE_1) | instskip(NEXT) | instid1(SALU_CYCLE_1)
	s_add_i32 s3, s3, s6
	s_mul_hi_u32 s3, s7, s3
	s_delay_alu instid0(SALU_CYCLE_1) | instskip(NEXT) | instid1(SALU_CYCLE_1)
	s_mul_i32 s6, s3, s19
	s_sub_i32 s6, s7, s6
	s_add_i32 s7, s3, 1
	s_sub_i32 s8, s6, s19
	s_cmp_ge_u32 s6, s19
	s_cselect_b32 s2, s7, s3
	s_cselect_b32 s3, s8, s6
	s_add_i32 s6, s2, 1
	s_cmp_ge_u32 s3, s19
	s_cselect_b32 s2, s6, s2
	s_delay_alu instid0(SALU_CYCLE_1) | instskip(NEXT) | instid1(SALU_CYCLE_1)
	s_add_i32 s2, s2, 1
	s_mul_i32 s19, s19, s2
	s_mov_b32 s2, exec_lo
	v_cmpx_gt_u32_e64 s19, v17
	s_cbranch_execz .LBB12_43
; %bb.3:
	v_alignbit_b32 v21, v2, v1, 2
	v_mad_u64_u32 v[3:4], null, 0xcd9e8d57, v17, 0
	v_lshrrev_b32_e32 v22, 2, v2
	s_waitcnt vmcnt(0)
	v_dual_mov_b32 v10, v16 :: v_dual_and_b32 v31, 3, v1
	v_mad_u64_u32 v[5:6], null, 0xd2511f53, v21, 0
	v_add_co_u32 v24, null, 0x9e3779b9, v15
	v_xor3_b32 v0, v15, v4, v22
	s_delay_alu instid0(VALU_DEP_4) | instskip(SKIP_2) | instid1(VALU_DEP_4)
	v_add_co_u32 v23, null, 0xbb67ae85, v10
	v_add_co_u32 v25, null, 0x3c6ef372, v15
	v_xor_b32_e32 v2, v6, v16
	v_mad_u64_u32 v[6:7], null, 0xd2511f53, v0, 0
	v_add_co_u32 v26, null, 0x76cf5d0a, v10
	s_delay_alu instid0(VALU_DEP_3) | instskip(SKIP_1) | instid1(VALU_DEP_4)
	v_mad_u64_u32 v[8:9], null, 0xcd9e8d57, v2, 0
	v_add_co_u32 v27, null, 0x32370b8f, v10
	v_xor3_b32 v0, v23, v7, v5
	v_add_co_u32 v28, null, 0xdaa66d2b, v15
	v_add_co_u32 v29, null, 0x78dde6e4, v15
	v_xor3_b32 v7, v9, v24, v3
	s_delay_alu instid0(VALU_DEP_4) | instskip(SKIP_1) | instid1(VALU_DEP_3)
	v_mad_u64_u32 v[2:3], null, 0xcd9e8d57, v0, 0
	v_add_co_u32 v30, null, 0xed9eba14, v10
	v_mad_u64_u32 v[4:5], null, 0xd2511f53, v7, 0
	v_add_co_u32 v34, null, 0xa9066899, v10
	s_delay_alu instid0(VALU_DEP_4) | instskip(SKIP_3) | instid1(VALU_DEP_4)
	v_xor3_b32 v0, v25, v3, v8
	v_add_co_u32 v35, null, 0x1715609d, v15
	v_add_co_u32 v36, null, 0xb54cda56, v15
	v_xor3_b32 v3, v5, v26, v6
	v_mad_u64_u32 v[5:6], null, 0xd2511f53, v0, 0
	v_add_co_u32 v37, null, 0x646e171e, v10
	s_delay_alu instid0(VALU_DEP_3) | instskip(SKIP_1) | instid1(VALU_DEP_4)
	v_mad_u64_u32 v[7:8], null, 0xcd9e8d57, v3, 0
	v_add_co_u32 v38, null, 0x1fd5c5a3, v10
	v_xor3_b32 v0, v27, v6, v4
	v_add_co_u32 v39, null, 0x5384540f, v15
	v_add_co_u32 v40, null, 0xf1bbcdc8, v15
	v_xor3_b32 v4, v8, v28, v2
	s_delay_alu instid0(VALU_DEP_4) | instskip(SKIP_1) | instid1(VALU_DEP_3)
	v_mad_u64_u32 v[2:3], null, 0xcd9e8d57, v0, 0
	v_div_scale_f32 v11, vcc_lo, 1.0, s5, 1.0
	v_mad_u64_u32 v[8:9], null, 0xd2511f53, v4, 0
	v_add_co_u32 v41, null, 0xdb3d7428, v10
	s_delay_alu instid0(VALU_DEP_4) | instskip(SKIP_4) | instid1(VALU_DEP_4)
	v_xor3_b32 v3, v29, v3, v7
	v_div_scale_f32 v7, null, s5, s5, 1.0
	s_clause 0x1
	s_load_b64 s[6:7], s[0:1], 0x1b0
	s_load_b32 s20, s[0:1], 0x144
	v_xor3_b32 v5, v9, v30, v5
	v_mad_u64_u32 v[0:1], null, 0xd2511f53, v3, 0
	v_rcp_f32_e32 v9, v7
	s_clause 0x1
	s_load_b64 s[10:11], s[0:1], 0xd8
	s_load_b32 s14, s[0:1], 0xd0
	v_mad_u64_u32 v[3:4], null, 0xcd9e8d57, v5, 0
	s_clause 0x1
	s_load_b32 s21, s[0:1], 0x6c
	s_load_b64 s[12:13], s[0:1], 0x0
	v_dual_mov_b32 v18, 0 :: v_dual_add_nc_u32 v33, 0x96a522ad, v16
	v_xor3_b32 v5, v34, v1, v8
	s_mov_b32 s9, 0
	v_mov_b32_e32 v42, v17
	v_xor3_b32 v6, v4, v35, v2
	v_mov_b32_e32 v44, 0
	v_mad_u64_u32 v[1:2], null, 0xcd9e8d57, v5, 0
	s_delay_alu instid0(VALU_DEP_3) | instskip(SKIP_4) | instid1(VALU_DEP_2)
	v_mad_u64_u32 v[4:5], null, 0xd2511f53, v6, 0
	v_fma_f32 v6, -v7, v9, 1.0
	v_add_nc_u32_e32 v32, 0x8ff34781, v15
	s_waitcnt lgkmcnt(0)
	s_cmp_gt_i32 s14, 1
	v_fmac_f32_e32 v9, v6, v9
	v_xor3_b32 v6, v36, v2, v3
	v_xor3_b32 v0, v5, v37, v0
	s_cselect_b32 s22, -1, 0
	s_add_i32 s8, s14, -1
	s_delay_alu instid0(VALU_DEP_2) | instskip(NEXT) | instid1(VALU_DEP_2)
	v_mad_u64_u32 v[2:3], null, 0xd2511f53, v6, 0
	v_mad_u64_u32 v[5:6], null, 0xcd9e8d57, v0, 0
	s_lshl_b64 s[2:3], s[8:9], 2
	s_add_i32 s8, s14, 1
	s_add_u32 s0, s2, s0
	s_addc_u32 s1, s3, s1
	s_delay_alu instid0(VALU_DEP_2) | instskip(SKIP_1) | instid1(VALU_DEP_2)
	v_xor3_b32 v3, v38, v3, v4
	s_add_u32 s14, s0, 8
	v_xor3_b32 v6, v6, v39, v1
	s_addc_u32 s15, s1, 0
	s_delay_alu instid0(VALU_DEP_2) | instskip(NEXT) | instid1(VALU_DEP_2)
	v_mad_u64_u32 v[0:1], null, 0xcd9e8d57, v3, 0
	v_mad_u64_u32 v[3:4], null, 0xd2511f53, v6, 0
	s_delay_alu instid0(VALU_DEP_2) | instskip(NEXT) | instid1(VALU_DEP_2)
	v_xor3_b32 v5, v40, v1, v5
	v_xor3_b32 v4, v4, v41, v2
	s_delay_alu instid0(VALU_DEP_2) | instskip(SKIP_1) | instid1(VALU_DEP_3)
	v_mad_u64_u32 v[1:2], null, 0xd2511f53, v5, 0
	v_mul_f32_e32 v8, v11, v9
	v_mad_u64_u32 v[5:6], null, 0xcd9e8d57, v4, 0
	s_delay_alu instid0(VALU_DEP_2) | instskip(NEXT) | instid1(VALU_DEP_1)
	v_fma_f32 v12, -v7, v8, v11
	v_fmac_f32_e32 v8, v12, v9
	s_delay_alu instid0(VALU_DEP_1) | instskip(NEXT) | instid1(VALU_DEP_1)
	v_fma_f32 v7, -v7, v8, v11
	v_div_fmas_f32 v4, v7, v9, v8
	v_mov_b32_e32 v7, v1
	s_delay_alu instid0(VALU_DEP_2)
	v_div_fixup_f32 v43, v4, s5, 1.0
	v_xor3_b32 v4, v0, v6, v32
	v_xor3_b32 v6, v2, v3, v33
                                        ; implicit-def: $vgpr0_vgpr1_vgpr2_vgpr3
	s_branch .LBB12_5
.LBB12_4:                               ;   in Loop: Header=BB12_5 Depth=1
	s_or_b32 exec_lo, exec_lo, s1
	v_mov_b32_e32 v11, v19
	v_dual_mov_b32 v4, v8 :: v_dual_add_nc_u32 v17, s18, v13
	v_dual_mov_b32 v5, v9 :: v_dual_mov_b32 v6, v10
	s_delay_alu instid0(VALU_DEP_3) | instskip(NEXT) | instid1(VALU_DEP_3)
	v_mov_b32_e32 v7, v11
	v_cmp_le_u32_e32 vcc_lo, s19, v17
	s_waitcnt vmcnt(0)
	s_waitcnt_vscnt null, 0x0
	s_barrier
	buffer_gl0_inv
	s_or_b32 s9, vcc_lo, s9
	s_delay_alu instid0(SALU_CYCLE_1)
	s_and_not1_b32 exec_lo, exec_lo, s9
	s_cbranch_execz .LBB12_43
.LBB12_5:                               ; =>This Loop Header: Depth=1
                                        ;     Child Loop BB12_18 Depth 2
                                        ;     Child Loop BB12_23 Depth 2
	;; [unrolled: 1-line block ×4, first 2 shown]
	v_add_co_u32 v21, vcc_lo, v21, 1
	s_delay_alu instid0(VALU_DEP_1) | instskip(SKIP_2) | instid1(VALU_DEP_1)
	v_cndmask_b32_e64 v8, 0, 1, vcc_lo
	v_add_co_ci_u32_e32 v22, vcc_lo, 0, v22, vcc_lo
	s_mov_b32 s0, exec_lo
	v_cmp_eq_u32_e32 vcc_lo, 0, v22
	s_delay_alu instid0(VALU_DEP_3) | instskip(NEXT) | instid1(VALU_DEP_1)
	v_cndmask_b32_e32 v8, 0, v8, vcc_lo
	v_add_nc_u32_e32 v42, v8, v42
	s_delay_alu instid0(VALU_DEP_1) | instskip(SKIP_2) | instid1(VALU_DEP_2)
	v_cmp_eq_u32_e32 vcc_lo, 0, v42
	v_mad_u64_u32 v[10:11], null, 0xcd9e8d57, v42, 0
	v_cndmask_b32_e32 v8, 0, v8, vcc_lo
	v_xor3_b32 v13, v11, v15, v22
	s_delay_alu instid0(VALU_DEP_2) | instskip(SKIP_1) | instid1(VALU_DEP_3)
	v_add_nc_u32_e32 v44, v8, v44
	v_mad_u64_u32 v[8:9], null, 0xd2511f53, v21, 0
	v_mad_u64_u32 v[11:12], null, 0xd2511f53, v13, 0
	s_delay_alu instid0(VALU_DEP_2) | instskip(NEXT) | instid1(VALU_DEP_2)
	v_xor_b32_e32 v9, v9, v16
	v_xor3_b32 v12, v23, v12, v8
	s_delay_alu instid0(VALU_DEP_2) | instskip(NEXT) | instid1(VALU_DEP_1)
	v_xor_b32_e32 v9, v44, v9
	v_mad_u64_u32 v[13:14], null, 0xcd9e8d57, v9, 0
	s_delay_alu instid0(VALU_DEP_3) | instskip(NEXT) | instid1(VALU_DEP_2)
	v_mad_u64_u32 v[8:9], null, 0xcd9e8d57, v12, 0
	v_xor3_b32 v10, v24, v14, v10
	s_delay_alu instid0(VALU_DEP_2) | instskip(NEXT) | instid1(VALU_DEP_2)
	v_xor3_b32 v12, v25, v9, v13
	v_mad_u64_u32 v[19:20], null, 0xd2511f53, v10, 0
	s_delay_alu instid0(VALU_DEP_2) | instskip(NEXT) | instid1(VALU_DEP_2)
	v_mad_u64_u32 v[9:10], null, 0xd2511f53, v12, 0
	v_xor3_b32 v13, v26, v20, v11
	s_delay_alu instid0(VALU_DEP_2) | instskip(NEXT) | instid1(VALU_DEP_2)
	v_xor3_b32 v10, v27, v10, v19
	v_mad_u64_u32 v[11:12], null, 0xcd9e8d57, v13, 0
	s_delay_alu instid0(VALU_DEP_1) | instskip(NEXT) | instid1(VALU_DEP_3)
	v_xor3_b32 v8, v28, v12, v8
	v_mad_u64_u32 v[12:13], null, 0xcd9e8d57, v10, 0
	s_delay_alu instid0(VALU_DEP_2) | instskip(NEXT) | instid1(VALU_DEP_2)
	v_mad_u64_u32 v[19:20], null, 0xd2511f53, v8, 0
	v_xor3_b32 v10, v29, v13, v11
	s_delay_alu instid0(VALU_DEP_2) | instskip(NEXT) | instid1(VALU_DEP_2)
	v_xor3_b32 v13, v30, v20, v9
	v_mad_u64_u32 v[8:9], null, 0xd2511f53, v10, 0
	s_delay_alu instid0(VALU_DEP_2) | instskip(NEXT) | instid1(VALU_DEP_2)
	v_mad_u64_u32 v[10:11], null, 0xcd9e8d57, v13, 0
	v_xor3_b32 v9, v34, v9, v19
	s_delay_alu instid0(VALU_DEP_2) | instskip(NEXT) | instid1(VALU_DEP_2)
	;; [unrolled: 6-line block ×6, first 2 shown]
	v_xor3_b32 v8, v10, v11, v32
	v_mov_b32_e32 v10, v14
	v_cmpx_lt_i32_e32 1, v31
	s_xor_b32 s0, exec_lo, s0
	s_cbranch_execnz .LBB12_8
; %bb.6:                                ;   in Loop: Header=BB12_5 Depth=1
	s_and_not1_saveexec_b32 s0, s0
	s_cbranch_execnz .LBB12_13
.LBB12_7:                               ;   in Loop: Header=BB12_5 Depth=1
	s_or_b32 exec_lo, exec_lo, s0
	v_cmp_gt_u32_e64 s0, s4, v17
	s_delay_alu instid0(VALU_DEP_1)
	s_and_saveexec_b32 s1, s0
	s_cbranch_execnz .LBB12_16
	s_branch .LBB12_20
.LBB12_8:                               ;   in Loop: Header=BB12_5 Depth=1
	s_mov_b32 s1, exec_lo
	v_cmpx_lt_i32_e32 2, v31
	s_xor_b32 s1, exec_lo, s1
; %bb.9:                                ;   in Loop: Header=BB12_5 Depth=1
	v_dual_mov_b32 v11, v7 :: v_dual_mov_b32 v12, v8
	v_mov_b32_e32 v13, v9
	s_delay_alu instid0(VALU_DEP_2) | instskip(NEXT) | instid1(VALU_DEP_2)
	v_dual_mov_b32 v4, v11 :: v_dual_mov_b32 v5, v12
	v_dual_mov_b32 v6, v13 :: v_dual_mov_b32 v7, v14
; %bb.10:                               ;   in Loop: Header=BB12_5 Depth=1
	s_and_not1_saveexec_b32 s1, s1
; %bb.11:                               ;   in Loop: Header=BB12_5 Depth=1
	s_delay_alu instid0(VALU_DEP_1)
	v_dual_mov_b32 v4, v6 :: v_dual_mov_b32 v5, v7
	v_dual_mov_b32 v6, v8 :: v_dual_mov_b32 v7, v9
; %bb.12:                               ;   in Loop: Header=BB12_5 Depth=1
	s_or_b32 exec_lo, exec_lo, s1
	s_and_not1_saveexec_b32 s0, s0
	s_cbranch_execz .LBB12_7
.LBB12_13:                              ;   in Loop: Header=BB12_5 Depth=1
	s_mov_b32 s1, exec_lo
	v_cmpx_eq_u32_e32 1, v31
; %bb.14:                               ;   in Loop: Header=BB12_5 Depth=1
	v_dual_mov_b32 v4, v5 :: v_dual_mov_b32 v5, v6
	v_dual_mov_b32 v6, v7 :: v_dual_mov_b32 v7, v8
; %bb.15:                               ;   in Loop: Header=BB12_5 Depth=1
	s_or_b32 exec_lo, exec_lo, s1
	s_delay_alu instid0(SALU_CYCLE_1) | instskip(SKIP_1) | instid1(VALU_DEP_1)
	s_or_b32 exec_lo, exec_lo, s0
	v_cmp_gt_u32_e64 s0, s4, v17
	s_and_saveexec_b32 s1, s0
	s_cbranch_execz .LBB12_20
.LBB12_16:                              ;   in Loop: Header=BB12_5 Depth=1
	v_dual_mov_b32 v0, 0 :: v_dual_mov_b32 v11, v17
	s_and_not1_b32 vcc_lo, exec_lo, s22
	s_cbranch_vccnz .LBB12_19
; %bb.17:                               ;   in Loop: Header=BB12_5 Depth=1
	v_dual_mov_b32 v0, 0 :: v_dual_mov_b32 v11, v17
	s_mov_b64 s[2:3], s[14:15]
	s_mov_b32 s16, s8
	s_set_inst_prefetch_distance 0x1
	.p2align	6
.LBB12_18:                              ;   Parent Loop BB12_5 Depth=1
                                        ; =>  This Inner Loop Header: Depth=2
	s_clause 0x1
	s_load_b32 s17, s[2:3], 0x0
	s_load_b32 s23, s[2:3], 0x64
	s_add_i32 s16, s16, -1
	s_waitcnt lgkmcnt(0)
	v_cvt_f32_u32_e32 v12, s17
	s_sub_i32 s24, 0, s17
	s_add_u32 s2, s2, -4
	s_addc_u32 s3, s3, -1
	s_cmp_gt_u32 s16, 2
	v_rcp_iflag_f32_e32 v12, v12
	s_waitcnt_depctr 0xfff
	v_mul_f32_e32 v12, 0x4f7ffffe, v12
	s_delay_alu instid0(VALU_DEP_1) | instskip(NEXT) | instid1(VALU_DEP_1)
	v_cvt_u32_f32_e32 v12, v12
	v_mul_lo_u32 v13, s24, v12
	s_delay_alu instid0(VALU_DEP_1) | instskip(NEXT) | instid1(VALU_DEP_1)
	v_mul_hi_u32 v13, v12, v13
	v_dual_mov_b32 v14, v11 :: v_dual_add_nc_u32 v11, v12, v13
	s_delay_alu instid0(VALU_DEP_1) | instskip(NEXT) | instid1(VALU_DEP_1)
	v_mul_hi_u32 v11, v14, v11
	v_mul_lo_u32 v12, v11, s17
	v_add_nc_u32_e32 v13, 1, v11
	s_delay_alu instid0(VALU_DEP_2) | instskip(NEXT) | instid1(VALU_DEP_1)
	v_sub_nc_u32_e32 v12, v14, v12
	v_subrev_nc_u32_e32 v20, s17, v12
	v_cmp_le_u32_e32 vcc_lo, s17, v12
	s_delay_alu instid0(VALU_DEP_2) | instskip(NEXT) | instid1(VALU_DEP_1)
	v_dual_cndmask_b32 v11, v11, v13 :: v_dual_cndmask_b32 v12, v12, v20
	v_add_nc_u32_e32 v13, 1, v11
	s_delay_alu instid0(VALU_DEP_2) | instskip(NEXT) | instid1(VALU_DEP_2)
	v_cmp_le_u32_e32 vcc_lo, s17, v12
	v_cndmask_b32_e32 v11, v11, v13, vcc_lo
	s_delay_alu instid0(VALU_DEP_1) | instskip(NEXT) | instid1(VALU_DEP_1)
	v_mul_lo_u32 v12, v11, s17
	v_sub_nc_u32_e32 v14, v14, v12
	s_delay_alu instid0(VALU_DEP_1) | instskip(NEXT) | instid1(VALU_DEP_1)
	v_mad_u64_u32 v[12:13], null, s23, v14, v[0:1]
	v_mov_b32_e32 v0, v12
	s_cbranch_scc1 .LBB12_18
.LBB12_19:                              ;   in Loop: Header=BB12_5 Depth=1
	s_set_inst_prefetch_distance 0x2
	s_delay_alu instid0(VALU_DEP_1) | instskip(SKIP_1) | instid1(VALU_DEP_1)
	v_mad_u64_u32 v[12:13], null, s21, v11, v[0:1]
	v_mov_b32_e32 v13, v18
	v_lshlrev_b64 v[11:12], 2, v[12:13]
	s_delay_alu instid0(VALU_DEP_1) | instskip(NEXT) | instid1(VALU_DEP_2)
	v_add_co_u32 v11, vcc_lo, s12, v11
	v_add_co_ci_u32_e32 v12, vcc_lo, s13, v12, vcc_lo
	global_load_b32 v0, v[11:12], off
.LBB12_20:                              ;   in Loop: Header=BB12_5 Depth=1
	s_or_b32 exec_lo, exec_lo, s1
	v_add_nc_u32_e32 v11, s18, v17
	s_delay_alu instid0(VALU_DEP_1) | instskip(NEXT) | instid1(VALU_DEP_1)
	v_cmp_gt_u32_e64 s1, s4, v11
	s_and_saveexec_b32 s16, s1
	s_cbranch_execz .LBB12_25
; %bb.21:                               ;   in Loop: Header=BB12_5 Depth=1
	v_dual_mov_b32 v1, 0 :: v_dual_mov_b32 v12, v11
	s_and_not1_b32 vcc_lo, exec_lo, s22
	s_cbranch_vccnz .LBB12_24
; %bb.22:                               ;   in Loop: Header=BB12_5 Depth=1
	v_dual_mov_b32 v1, 0 :: v_dual_mov_b32 v12, v11
	s_mov_b64 s[2:3], s[14:15]
	s_mov_b32 s17, s8
	s_set_inst_prefetch_distance 0x1
	.p2align	6
.LBB12_23:                              ;   Parent Loop BB12_5 Depth=1
                                        ; =>  This Inner Loop Header: Depth=2
	s_clause 0x1
	s_load_b32 s23, s[2:3], 0x0
	s_load_b32 s24, s[2:3], 0x64
	s_add_i32 s17, s17, -1
	v_mov_b32_e32 v20, v12
	s_waitcnt lgkmcnt(0)
	v_cvt_f32_u32_e32 v13, s23
	s_sub_i32 s25, 0, s23
	s_add_u32 s2, s2, -4
	s_addc_u32 s3, s3, -1
	s_cmp_gt_u32 s17, 2
	v_rcp_iflag_f32_e32 v13, v13
	s_waitcnt_depctr 0xfff
	v_mul_f32_e32 v13, 0x4f7ffffe, v13
	s_delay_alu instid0(VALU_DEP_1) | instskip(NEXT) | instid1(VALU_DEP_1)
	v_cvt_u32_f32_e32 v13, v13
	v_mul_lo_u32 v14, s25, v13
	s_delay_alu instid0(VALU_DEP_1) | instskip(NEXT) | instid1(VALU_DEP_1)
	v_mul_hi_u32 v14, v13, v14
	v_add_nc_u32_e32 v12, v13, v14
	s_delay_alu instid0(VALU_DEP_1) | instskip(NEXT) | instid1(VALU_DEP_1)
	v_mul_hi_u32 v12, v20, v12
	v_mul_lo_u32 v13, v12, s23
	s_delay_alu instid0(VALU_DEP_1) | instskip(NEXT) | instid1(VALU_DEP_1)
	v_sub_nc_u32_e32 v13, v20, v13
	v_subrev_nc_u32_e32 v45, s23, v13
	v_cmp_le_u32_e32 vcc_lo, s23, v13
	s_delay_alu instid0(VALU_DEP_2) | instskip(NEXT) | instid1(VALU_DEP_1)
	v_dual_cndmask_b32 v13, v13, v45 :: v_dual_add_nc_u32 v14, 1, v12
	v_cndmask_b32_e32 v12, v12, v14, vcc_lo
	s_delay_alu instid0(VALU_DEP_2) | instskip(NEXT) | instid1(VALU_DEP_2)
	v_cmp_le_u32_e32 vcc_lo, s23, v13
	v_add_nc_u32_e32 v14, 1, v12
	s_delay_alu instid0(VALU_DEP_1) | instskip(NEXT) | instid1(VALU_DEP_1)
	v_cndmask_b32_e32 v12, v12, v14, vcc_lo
	v_mul_lo_u32 v13, v12, s23
	s_delay_alu instid0(VALU_DEP_1) | instskip(NEXT) | instid1(VALU_DEP_1)
	v_sub_nc_u32_e32 v20, v20, v13
	v_mad_u64_u32 v[13:14], null, s24, v20, v[1:2]
	s_delay_alu instid0(VALU_DEP_1)
	v_mov_b32_e32 v1, v13
	s_cbranch_scc1 .LBB12_23
.LBB12_24:                              ;   in Loop: Header=BB12_5 Depth=1
	s_set_inst_prefetch_distance 0x2
	s_delay_alu instid0(VALU_DEP_1) | instskip(SKIP_1) | instid1(VALU_DEP_1)
	v_mad_u64_u32 v[13:14], null, s21, v12, v[1:2]
	v_mov_b32_e32 v14, v18
	v_lshlrev_b64 v[12:13], 2, v[13:14]
	s_delay_alu instid0(VALU_DEP_1) | instskip(NEXT) | instid1(VALU_DEP_2)
	v_add_co_u32 v12, vcc_lo, s12, v12
	v_add_co_ci_u32_e32 v13, vcc_lo, s13, v13, vcc_lo
	global_load_b32 v1, v[12:13], off
.LBB12_25:                              ;   in Loop: Header=BB12_5 Depth=1
	s_or_b32 exec_lo, exec_lo, s16
	v_add_nc_u32_e32 v12, s18, v11
	s_delay_alu instid0(VALU_DEP_1) | instskip(NEXT) | instid1(VALU_DEP_1)
	v_cmp_gt_u32_e64 s2, s4, v12
	s_and_saveexec_b32 s3, s2
	s_cbranch_execz .LBB12_30
; %bb.26:                               ;   in Loop: Header=BB12_5 Depth=1
	v_dual_mov_b32 v2, 0 :: v_dual_mov_b32 v13, v12
	s_and_not1_b32 vcc_lo, exec_lo, s22
	s_cbranch_vccnz .LBB12_29
; %bb.27:                               ;   in Loop: Header=BB12_5 Depth=1
	v_dual_mov_b32 v2, 0 :: v_dual_mov_b32 v13, v12
	s_mov_b64 s[16:17], s[14:15]
	s_mov_b32 s23, s8
	s_set_inst_prefetch_distance 0x1
	.p2align	6
.LBB12_28:                              ;   Parent Loop BB12_5 Depth=1
                                        ; =>  This Inner Loop Header: Depth=2
	s_clause 0x1
	s_load_b32 s24, s[16:17], 0x0
	s_load_b32 s25, s[16:17], 0x64
	s_add_i32 s23, s23, -1
	v_mov_b32_e32 v45, v13
	s_waitcnt lgkmcnt(0)
	v_cvt_f32_u32_e32 v14, s24
	s_sub_i32 s26, 0, s24
	s_add_u32 s16, s16, -4
	s_addc_u32 s17, s17, -1
	s_cmp_gt_u32 s23, 2
	v_rcp_iflag_f32_e32 v14, v14
	s_waitcnt_depctr 0xfff
	v_mul_f32_e32 v14, 0x4f7ffffe, v14
	s_delay_alu instid0(VALU_DEP_1) | instskip(NEXT) | instid1(VALU_DEP_1)
	v_cvt_u32_f32_e32 v14, v14
	v_mul_lo_u32 v20, s26, v14
	s_delay_alu instid0(VALU_DEP_1) | instskip(NEXT) | instid1(VALU_DEP_1)
	v_mul_hi_u32 v20, v14, v20
	v_add_nc_u32_e32 v13, v14, v20
	s_delay_alu instid0(VALU_DEP_1) | instskip(NEXT) | instid1(VALU_DEP_1)
	v_mul_hi_u32 v13, v45, v13
	v_mul_lo_u32 v14, v13, s24
	v_add_nc_u32_e32 v20, 1, v13
	s_delay_alu instid0(VALU_DEP_2) | instskip(NEXT) | instid1(VALU_DEP_1)
	v_sub_nc_u32_e32 v14, v45, v14
	v_subrev_nc_u32_e32 v46, s24, v14
	v_cmp_le_u32_e32 vcc_lo, s24, v14
	s_delay_alu instid0(VALU_DEP_2) | instskip(NEXT) | instid1(VALU_DEP_1)
	v_dual_cndmask_b32 v13, v13, v20 :: v_dual_cndmask_b32 v14, v14, v46
	v_add_nc_u32_e32 v20, 1, v13
	s_delay_alu instid0(VALU_DEP_2) | instskip(NEXT) | instid1(VALU_DEP_2)
	v_cmp_le_u32_e32 vcc_lo, s24, v14
	v_cndmask_b32_e32 v13, v13, v20, vcc_lo
	s_delay_alu instid0(VALU_DEP_1) | instskip(NEXT) | instid1(VALU_DEP_1)
	v_mul_lo_u32 v14, v13, s24
	v_sub_nc_u32_e32 v14, v45, v14
	s_delay_alu instid0(VALU_DEP_1) | instskip(NEXT) | instid1(VALU_DEP_1)
	v_mad_u64_u32 v[45:46], null, s25, v14, v[2:3]
	v_mov_b32_e32 v2, v45
	s_cbranch_scc1 .LBB12_28
.LBB12_29:                              ;   in Loop: Header=BB12_5 Depth=1
	s_set_inst_prefetch_distance 0x2
	s_delay_alu instid0(VALU_DEP_1) | instskip(SKIP_1) | instid1(VALU_DEP_1)
	v_mad_u64_u32 v[45:46], null, s21, v13, v[2:3]
	v_mov_b32_e32 v46, v18
	v_lshlrev_b64 v[13:14], 2, v[45:46]
	s_delay_alu instid0(VALU_DEP_1) | instskip(NEXT) | instid1(VALU_DEP_2)
	v_add_co_u32 v13, vcc_lo, s12, v13
	v_add_co_ci_u32_e32 v14, vcc_lo, s13, v14, vcc_lo
	global_load_b32 v2, v[13:14], off
.LBB12_30:                              ;   in Loop: Header=BB12_5 Depth=1
	s_or_b32 exec_lo, exec_lo, s3
	v_add_nc_u32_e32 v13, s18, v12
	s_delay_alu instid0(VALU_DEP_1) | instskip(NEXT) | instid1(VALU_DEP_1)
	v_cmp_gt_u32_e64 s3, s4, v13
	s_and_saveexec_b32 s23, s3
	s_cbranch_execnz .LBB12_35
; %bb.31:                               ;   in Loop: Header=BB12_5 Depth=1
	s_or_b32 exec_lo, exec_lo, s23
	s_and_saveexec_b32 s16, s0
	s_cbranch_execnz .LBB12_39
.LBB12_32:                              ;   in Loop: Header=BB12_5 Depth=1
	s_or_b32 exec_lo, exec_lo, s16
	s_and_saveexec_b32 s16, s1
	s_cbranch_execnz .LBB12_40
.LBB12_33:                              ;   in Loop: Header=BB12_5 Depth=1
	s_or_b32 exec_lo, exec_lo, s16
	s_and_saveexec_b32 s1, s2
	s_cbranch_execnz .LBB12_41
.LBB12_34:                              ;   in Loop: Header=BB12_5 Depth=1
	s_or_b32 exec_lo, exec_lo, s1
	s_and_saveexec_b32 s1, s3
	s_cbranch_execz .LBB12_4
	s_branch .LBB12_42
.LBB12_35:                              ;   in Loop: Header=BB12_5 Depth=1
	v_dual_mov_b32 v3, 0 :: v_dual_mov_b32 v14, v13
	s_and_not1_b32 vcc_lo, exec_lo, s22
	s_cbranch_vccnz .LBB12_38
; %bb.36:                               ;   in Loop: Header=BB12_5 Depth=1
	v_dual_mov_b32 v3, 0 :: v_dual_mov_b32 v14, v13
	s_mov_b64 s[16:17], s[14:15]
	s_mov_b32 s24, s8
	s_set_inst_prefetch_distance 0x1
	.p2align	6
.LBB12_37:                              ;   Parent Loop BB12_5 Depth=1
                                        ; =>  This Inner Loop Header: Depth=2
	s_clause 0x1
	s_load_b32 s25, s[16:17], 0x0
	s_load_b32 s26, s[16:17], 0x64
	v_mov_b32_e32 v46, v14
	s_add_i32 s24, s24, -1
	s_waitcnt lgkmcnt(0)
	v_cvt_f32_u32_e32 v20, s25
	s_sub_i32 s27, 0, s25
	s_add_u32 s16, s16, -4
	s_addc_u32 s17, s17, -1
	s_cmp_gt_u32 s24, 2
	v_rcp_iflag_f32_e32 v20, v20
	s_waitcnt_depctr 0xfff
	v_mul_f32_e32 v20, 0x4f7ffffe, v20
	s_delay_alu instid0(VALU_DEP_1) | instskip(NEXT) | instid1(VALU_DEP_1)
	v_cvt_u32_f32_e32 v20, v20
	v_mul_lo_u32 v45, s27, v20
	s_delay_alu instid0(VALU_DEP_1) | instskip(NEXT) | instid1(VALU_DEP_1)
	v_mul_hi_u32 v45, v20, v45
	v_add_nc_u32_e32 v14, v20, v45
	s_delay_alu instid0(VALU_DEP_1) | instskip(NEXT) | instid1(VALU_DEP_1)
	v_mul_hi_u32 v14, v46, v14
	v_mul_lo_u32 v20, v14, s25
	v_add_nc_u32_e32 v45, 1, v14
	s_delay_alu instid0(VALU_DEP_2) | instskip(NEXT) | instid1(VALU_DEP_1)
	v_sub_nc_u32_e32 v20, v46, v20
	v_subrev_nc_u32_e32 v47, s25, v20
	v_cmp_le_u32_e32 vcc_lo, s25, v20
	s_delay_alu instid0(VALU_DEP_4) | instskip(NEXT) | instid1(VALU_DEP_1)
	v_cndmask_b32_e32 v14, v14, v45, vcc_lo
	v_dual_cndmask_b32 v20, v20, v47 :: v_dual_add_nc_u32 v45, 1, v14
	s_delay_alu instid0(VALU_DEP_1) | instskip(NEXT) | instid1(VALU_DEP_2)
	v_cmp_le_u32_e32 vcc_lo, s25, v20
	v_cndmask_b32_e32 v14, v14, v45, vcc_lo
	s_delay_alu instid0(VALU_DEP_1) | instskip(NEXT) | instid1(VALU_DEP_1)
	v_mul_lo_u32 v20, v14, s25
	v_sub_nc_u32_e32 v20, v46, v20
	s_delay_alu instid0(VALU_DEP_1) | instskip(NEXT) | instid1(VALU_DEP_1)
	v_mad_u64_u32 v[45:46], null, s26, v20, v[3:4]
	v_mov_b32_e32 v3, v45
	s_cbranch_scc1 .LBB12_37
.LBB12_38:                              ;   in Loop: Header=BB12_5 Depth=1
	s_set_inst_prefetch_distance 0x2
	s_delay_alu instid0(VALU_DEP_1) | instskip(SKIP_1) | instid1(VALU_DEP_1)
	v_mad_u64_u32 v[45:46], null, s21, v14, v[3:4]
	v_mov_b32_e32 v46, v18
	v_lshlrev_b64 v[45:46], 2, v[45:46]
	s_delay_alu instid0(VALU_DEP_1) | instskip(NEXT) | instid1(VALU_DEP_2)
	v_add_co_u32 v45, vcc_lo, s12, v45
	v_add_co_ci_u32_e32 v46, vcc_lo, s13, v46, vcc_lo
	global_load_b32 v3, v[45:46], off
	s_or_b32 exec_lo, exec_lo, s23
	s_and_saveexec_b32 s16, s0
	s_cbranch_execz .LBB12_32
.LBB12_39:                              ;   in Loop: Header=BB12_5 Depth=1
	v_cvt_f32_u32_e32 v4, v4
	v_mul_lo_u32 v17, v17, s20
	s_delay_alu instid0(VALU_DEP_2) | instskip(NEXT) | instid1(VALU_DEP_2)
	v_fmaak_f32 v4, 0x2f800000, v4, 0x2f800000
	v_lshlrev_b64 v[45:46], 2, v[17:18]
	s_delay_alu instid0(VALU_DEP_2) | instskip(NEXT) | instid1(VALU_DEP_2)
	v_cmp_gt_f32_e32 vcc_lo, s5, v4
	v_add_co_u32 v45, s0, s10, v45
	v_cndmask_b32_e64 v4, 0, 1.0, vcc_lo
	s_delay_alu instid0(VALU_DEP_4) | instskip(SKIP_2) | instid1(VALU_DEP_3)
	v_add_co_ci_u32_e64 v46, s0, s11, v46, s0
	v_cndmask_b32_e64 v14, 0, 1, vcc_lo
	s_waitcnt vmcnt(0)
	v_mul_f32_e32 v4, v0, v4
	s_delay_alu instid0(VALU_DEP_1)
	v_mul_f32_e32 v4, v43, v4
	global_store_b32 v[45:46], v4, off
	global_store_b8 v17, v14, s[6:7]
	s_or_b32 exec_lo, exec_lo, s16
	s_and_saveexec_b32 s16, s1
	s_cbranch_execz .LBB12_33
.LBB12_40:                              ;   in Loop: Header=BB12_5 Depth=1
	v_cvt_f32_u32_e32 v4, v5
	v_mul_lo_u32 v17, v11, s20
	s_delay_alu instid0(VALU_DEP_2) | instskip(NEXT) | instid1(VALU_DEP_1)
	v_fmaak_f32 v4, 0x2f800000, v4, 0x2f800000
	v_cmp_gt_f32_e32 vcc_lo, s5, v4
	s_delay_alu instid0(VALU_DEP_3) | instskip(SKIP_2) | instid1(VALU_DEP_3)
	v_lshlrev_b64 v[4:5], 2, v[17:18]
	v_cndmask_b32_e64 v11, 0, 1.0, vcc_lo
	v_cndmask_b32_e64 v14, 0, 1, vcc_lo
	v_add_co_u32 v4, s0, s10, v4
	s_delay_alu instid0(VALU_DEP_1) | instskip(SKIP_2) | instid1(VALU_DEP_1)
	v_add_co_ci_u32_e64 v5, s0, s11, v5, s0
	s_waitcnt vmcnt(0)
	v_mul_f32_e32 v11, v1, v11
	v_mul_f32_e32 v11, v43, v11
	global_store_b32 v[4:5], v11, off
	global_store_b8 v17, v14, s[6:7]
	s_or_b32 exec_lo, exec_lo, s16
	s_and_saveexec_b32 s1, s2
	s_cbranch_execz .LBB12_34
.LBB12_41:                              ;   in Loop: Header=BB12_5 Depth=1
	v_cvt_f32_u32_e32 v4, v6
	v_mul_lo_u32 v17, v12, s20
	s_delay_alu instid0(VALU_DEP_2) | instskip(NEXT) | instid1(VALU_DEP_1)
	v_fmaak_f32 v4, 0x2f800000, v4, 0x2f800000
	v_cmp_gt_f32_e32 vcc_lo, s5, v4
	s_delay_alu instid0(VALU_DEP_3) | instskip(SKIP_2) | instid1(VALU_DEP_3)
	v_lshlrev_b64 v[4:5], 2, v[17:18]
	v_cndmask_b32_e64 v6, 0, 1.0, vcc_lo
	v_cndmask_b32_e64 v11, 0, 1, vcc_lo
	v_add_co_u32 v4, s0, s10, v4
	s_delay_alu instid0(VALU_DEP_1) | instskip(SKIP_2) | instid1(VALU_DEP_1)
	v_add_co_ci_u32_e64 v5, s0, s11, v5, s0
	s_waitcnt vmcnt(0)
	v_mul_f32_e32 v6, v2, v6
	v_mul_f32_e32 v6, v43, v6
	global_store_b32 v[4:5], v6, off
	global_store_b8 v17, v11, s[6:7]
	s_or_b32 exec_lo, exec_lo, s1
	s_and_saveexec_b32 s1, s3
	s_cbranch_execz .LBB12_4
.LBB12_42:                              ;   in Loop: Header=BB12_5 Depth=1
	v_cvt_f32_u32_e32 v4, v7
	v_mul_lo_u32 v17, v13, s20
	s_delay_alu instid0(VALU_DEP_2) | instskip(NEXT) | instid1(VALU_DEP_1)
	v_fmaak_f32 v4, 0x2f800000, v4, 0x2f800000
	v_cmp_gt_f32_e32 vcc_lo, s5, v4
	s_delay_alu instid0(VALU_DEP_3) | instskip(SKIP_2) | instid1(VALU_DEP_3)
	v_lshlrev_b64 v[4:5], 2, v[17:18]
	v_cndmask_b32_e64 v6, 0, 1.0, vcc_lo
	v_cndmask_b32_e64 v7, 0, 1, vcc_lo
	v_add_co_u32 v4, s0, s10, v4
	s_delay_alu instid0(VALU_DEP_1) | instskip(SKIP_2) | instid1(VALU_DEP_1)
	v_add_co_ci_u32_e64 v5, s0, s11, v5, s0
	s_waitcnt vmcnt(0)
	v_mul_f32_e32 v6, v3, v6
	v_mul_f32_e32 v6, v43, v6
	global_store_b32 v[4:5], v6, off
	global_store_b8 v17, v7, s[6:7]
	s_branch .LBB12_4
.LBB12_43:
	s_endpgm
	.section	.rodata,"a",@progbits
	.p2align	6, 0x0
	.amdhsa_kernel _ZN2at6native12_GLOBAL__N_120fused_dropout_kernelIffjLin1ELi1EbEEvNS_4cuda6detail10TensorInfoIKT_T1_EENS5_IS6_S8_EENS5_IT4_S8_EES8_T0_NS_15PhiloxCudaStateE
		.amdhsa_group_segment_fixed_size 0
		.amdhsa_private_segment_fixed_size 0
		.amdhsa_kernarg_size 944
		.amdhsa_user_sgpr_count 15
		.amdhsa_user_sgpr_dispatch_ptr 0
		.amdhsa_user_sgpr_queue_ptr 0
		.amdhsa_user_sgpr_kernarg_segment_ptr 1
		.amdhsa_user_sgpr_dispatch_id 0
		.amdhsa_user_sgpr_private_segment_size 0
		.amdhsa_wavefront_size32 1
		.amdhsa_uses_dynamic_stack 0
		.amdhsa_enable_private_segment 0
		.amdhsa_system_sgpr_workgroup_id_x 1
		.amdhsa_system_sgpr_workgroup_id_y 0
		.amdhsa_system_sgpr_workgroup_id_z 0
		.amdhsa_system_sgpr_workgroup_info 0
		.amdhsa_system_vgpr_workitem_id 0
		.amdhsa_next_free_vgpr 48
		.amdhsa_next_free_sgpr 28
		.amdhsa_reserve_vcc 1
		.amdhsa_float_round_mode_32 0
		.amdhsa_float_round_mode_16_64 0
		.amdhsa_float_denorm_mode_32 3
		.amdhsa_float_denorm_mode_16_64 3
		.amdhsa_dx10_clamp 1
		.amdhsa_ieee_mode 1
		.amdhsa_fp16_overflow 0
		.amdhsa_workgroup_processor_mode 1
		.amdhsa_memory_ordered 1
		.amdhsa_forward_progress 0
		.amdhsa_shared_vgpr_count 0
		.amdhsa_exception_fp_ieee_invalid_op 0
		.amdhsa_exception_fp_denorm_src 0
		.amdhsa_exception_fp_ieee_div_zero 0
		.amdhsa_exception_fp_ieee_overflow 0
		.amdhsa_exception_fp_ieee_underflow 0
		.amdhsa_exception_fp_ieee_inexact 0
		.amdhsa_exception_int_div_zero 0
	.end_amdhsa_kernel
	.section	.text._ZN2at6native12_GLOBAL__N_120fused_dropout_kernelIffjLin1ELi1EbEEvNS_4cuda6detail10TensorInfoIKT_T1_EENS5_IS6_S8_EENS5_IT4_S8_EES8_T0_NS_15PhiloxCudaStateE,"axG",@progbits,_ZN2at6native12_GLOBAL__N_120fused_dropout_kernelIffjLin1ELi1EbEEvNS_4cuda6detail10TensorInfoIKT_T1_EENS5_IS6_S8_EENS5_IT4_S8_EES8_T0_NS_15PhiloxCudaStateE,comdat
.Lfunc_end12:
	.size	_ZN2at6native12_GLOBAL__N_120fused_dropout_kernelIffjLin1ELi1EbEEvNS_4cuda6detail10TensorInfoIKT_T1_EENS5_IS6_S8_EENS5_IT4_S8_EES8_T0_NS_15PhiloxCudaStateE, .Lfunc_end12-_ZN2at6native12_GLOBAL__N_120fused_dropout_kernelIffjLin1ELi1EbEEvNS_4cuda6detail10TensorInfoIKT_T1_EENS5_IS6_S8_EENS5_IT4_S8_EES8_T0_NS_15PhiloxCudaStateE
                                        ; -- End function
	.section	.AMDGPU.csdata,"",@progbits
; Kernel info:
; codeLenInByte = 3768
; NumSgprs: 30
; NumVgprs: 48
; ScratchSize: 0
; MemoryBound: 0
; FloatMode: 240
; IeeeMode: 1
; LDSByteSize: 0 bytes/workgroup (compile time only)
; SGPRBlocks: 3
; VGPRBlocks: 5
; NumSGPRsForWavesPerEU: 30
; NumVGPRsForWavesPerEU: 48
; Occupancy: 16
; WaveLimiterHint : 1
; COMPUTE_PGM_RSRC2:SCRATCH_EN: 0
; COMPUTE_PGM_RSRC2:USER_SGPR: 15
; COMPUTE_PGM_RSRC2:TRAP_HANDLER: 0
; COMPUTE_PGM_RSRC2:TGID_X_EN: 1
; COMPUTE_PGM_RSRC2:TGID_Y_EN: 0
; COMPUTE_PGM_RSRC2:TGID_Z_EN: 0
; COMPUTE_PGM_RSRC2:TIDIG_COMP_CNT: 0
	.section	.text._ZN2at6native12_GLOBAL__N_120fused_dropout_kernelIffjLin1ELin1EbEEvNS_4cuda6detail10TensorInfoIKT_T1_EENS5_IS6_S8_EENS5_IT4_S8_EES8_T0_NS_15PhiloxCudaStateE,"axG",@progbits,_ZN2at6native12_GLOBAL__N_120fused_dropout_kernelIffjLin1ELin1EbEEvNS_4cuda6detail10TensorInfoIKT_T1_EENS5_IS6_S8_EENS5_IT4_S8_EES8_T0_NS_15PhiloxCudaStateE,comdat
	.globl	_ZN2at6native12_GLOBAL__N_120fused_dropout_kernelIffjLin1ELin1EbEEvNS_4cuda6detail10TensorInfoIKT_T1_EENS5_IS6_S8_EENS5_IT4_S8_EES8_T0_NS_15PhiloxCudaStateE ; -- Begin function _ZN2at6native12_GLOBAL__N_120fused_dropout_kernelIffjLin1ELin1EbEEvNS_4cuda6detail10TensorInfoIKT_T1_EENS5_IS6_S8_EENS5_IT4_S8_EES8_T0_NS_15PhiloxCudaStateE
	.p2align	8
	.type	_ZN2at6native12_GLOBAL__N_120fused_dropout_kernelIffjLin1ELin1EbEEvNS_4cuda6detail10TensorInfoIKT_T1_EENS5_IS6_S8_EENS5_IT4_S8_EES8_T0_NS_15PhiloxCudaStateE,@function
_ZN2at6native12_GLOBAL__N_120fused_dropout_kernelIffjLin1ELin1EbEEvNS_4cuda6detail10TensorInfoIKT_T1_EENS5_IS6_S8_EENS5_IT4_S8_EES8_T0_NS_15PhiloxCudaStateE: ; @_ZN2at6native12_GLOBAL__N_120fused_dropout_kernelIffjLin1ELin1EbEEvNS_4cuda6detail10TensorInfoIKT_T1_EENS5_IS6_S8_EENS5_IT4_S8_EES8_T0_NS_15PhiloxCudaStateE
; %bb.0:
	s_clause 0x1
	s_load_b128 s[4:7], s[0:1], 0x290
	s_load_b32 s2, s[0:1], 0x2a8
	s_waitcnt lgkmcnt(0)
	v_dual_mov_b32 v1, s6 :: v_dual_mov_b32 v2, s7
	v_dual_mov_b32 v16, s5 :: v_dual_mov_b32 v15, s4
	s_bitcmp0_b32 s2, 0
	s_cbranch_scc1 .LBB13_2
; %bb.1:
	v_dual_mov_b32 v1, s6 :: v_dual_mov_b32 v2, s7
	v_dual_mov_b32 v3, s4 :: v_dual_mov_b32 v4, s5
	s_load_b64 s[2:3], s[0:1], 0x2a0
	flat_load_b64 v[1:2], v[1:2]
	flat_load_b64 v[15:16], v[3:4]
	s_waitcnt vmcnt(1) lgkmcnt(0)
	v_add_co_u32 v1, vcc_lo, v1, s2
	v_add_co_ci_u32_e32 v2, vcc_lo, s3, v2, vcc_lo
.LBB13_2:
	s_clause 0x2
	s_load_b32 s2, s[0:1], 0x2bc
	s_load_b32 s20, s[0:1], 0x2b0
	s_load_b64 s[4:5], s[0:1], 0x288
	s_waitcnt lgkmcnt(0)
	s_and_b32 s2, s2, 0xffff
	s_add_i32 s7, s4, -1
	s_mul_i32 s20, s20, s2
	v_mad_u64_u32 v[17:18], null, s15, s2, v[0:1]
	s_lshl_b32 s21, s20, 2
	s_delay_alu instid0(SALU_CYCLE_1) | instskip(SKIP_1) | instid1(VALU_DEP_1)
	v_cvt_f32_u32_e32 v3, s21
	s_sub_i32 s6, 0, s21
	v_rcp_iflag_f32_e32 v3, v3
	s_waitcnt_depctr 0xfff
	v_mul_f32_e32 v3, 0x4f7ffffe, v3
	s_delay_alu instid0(VALU_DEP_1) | instskip(NEXT) | instid1(VALU_DEP_1)
	v_cvt_u32_f32_e32 v3, v3
	v_readfirstlane_b32 s3, v3
	s_delay_alu instid0(VALU_DEP_1) | instskip(NEXT) | instid1(SALU_CYCLE_1)
	s_mul_i32 s6, s6, s3
	s_mul_hi_u32 s6, s3, s6
	s_delay_alu instid0(SALU_CYCLE_1) | instskip(NEXT) | instid1(SALU_CYCLE_1)
	s_add_i32 s3, s3, s6
	s_mul_hi_u32 s3, s7, s3
	s_delay_alu instid0(SALU_CYCLE_1) | instskip(NEXT) | instid1(SALU_CYCLE_1)
	s_mul_i32 s6, s3, s21
	s_sub_i32 s6, s7, s6
	s_add_i32 s7, s3, 1
	s_sub_i32 s8, s6, s21
	s_cmp_ge_u32 s6, s21
	s_cselect_b32 s2, s7, s3
	s_cselect_b32 s3, s8, s6
	s_add_i32 s6, s2, 1
	s_cmp_ge_u32 s3, s21
	s_cselect_b32 s2, s6, s2
	s_delay_alu instid0(SALU_CYCLE_1) | instskip(NEXT) | instid1(SALU_CYCLE_1)
	s_add_i32 s2, s2, 1
	s_mul_i32 s22, s21, s2
	s_mov_b32 s2, exec_lo
	v_cmpx_gt_u32_e64 s22, v17
	s_cbranch_execz .LBB13_55
; %bb.3:
	v_mad_u64_u32 v[3:4], null, 0xcd9e8d57, v17, 0
	v_alignbit_b32 v20, v2, v1, 2
	v_lshrrev_b32_e32 v21, 2, v2
	s_waitcnt vmcnt(0)
	v_dual_mov_b32 v11, v16 :: v_dual_and_b32 v28, 3, v1
	v_add_co_u32 v23, null, 0x9e3779b9, v15
	v_mad_u64_u32 v[5:6], null, 0xd2511f53, v20, 0
	v_xor3_b32 v0, v15, v4, v21
	s_delay_alu instid0(VALU_DEP_4) | instskip(SKIP_1) | instid1(VALU_DEP_3)
	v_add_co_u32 v22, null, 0xbb67ae85, v11
	v_add_co_u32 v24, null, 0x3c6ef372, v15
	v_mad_u64_u32 v[7:8], null, 0xd2511f53, v0, 0
	v_xor_b32_e32 v0, v6, v16
	v_add_co_u32 v25, null, 0x76cf5d0a, v11
	v_add_co_u32 v26, null, 0x32370b8f, v11
	s_delay_alu instid0(VALU_DEP_3) | instskip(SKIP_3) | instid1(VALU_DEP_3)
	v_mad_u64_u32 v[9:10], null, 0xcd9e8d57, v0, 0
	v_xor3_b32 v0, v22, v8, v5
	v_add_co_u32 v29, null, 0xdaa66d2b, v15
	v_add_co_u32 v32, null, 0x78dde6e4, v15
	v_mad_u64_u32 v[4:5], null, 0xcd9e8d57, v0, 0
	v_xor3_b32 v0, v10, v23, v3
	v_add_co_u32 v33, null, 0xed9eba14, v11
	v_add_co_u32 v35, null, 0xa9066899, v11
	s_delay_alu instid0(VALU_DEP_3) | instskip(SKIP_3) | instid1(VALU_DEP_3)
	v_mad_u64_u32 v[2:3], null, 0xd2511f53, v0, 0
	v_xor3_b32 v0, v24, v5, v9
	v_add_co_u32 v36, null, 0x1715609d, v15
	v_div_scale_f32 v9, null, s5, s5, 1.0
	v_mad_u64_u32 v[5:6], null, 0xd2511f53, v0, 0
	v_xor3_b32 v3, v3, v25, v7
	s_delay_alu instid0(VALU_DEP_3) | instskip(SKIP_2) | instid1(VALU_DEP_3)
	v_rcp_f32_e32 v12, v9
	v_add_co_u32 v34, null, 0xb54cda56, v15
	v_add_co_u32 v39, null, 0x646e171e, v11
	v_mad_u64_u32 v[0:1], null, 0xcd9e8d57, v3, 0
	v_xor3_b32 v6, v26, v6, v2
	v_add_co_u32 v37, null, 0x5384540f, v15
	v_add_co_u32 v40, null, 0x1fd5c5a3, v11
	s_delay_alu instid0(VALU_DEP_3)
	v_mad_u64_u32 v[2:3], null, 0xcd9e8d57, v6, 0
	v_xor3_b32 v1, v1, v29, v4
	s_clause 0x4
	s_load_b32 s14, s[0:1], 0xd0
	s_load_b32 s24, s[0:1], 0x6c
	s_load_b64 s[12:13], s[0:1], 0x0
	s_load_b64 s[8:9], s[0:1], 0x1b0
	s_load_b32 s17, s[0:1], 0x1a8
	v_mad_u64_u32 v[6:7], null, 0xd2511f53, v1, 0
	v_xor3_b32 v3, v32, v3, v0
	v_div_scale_f32 v10, vcc_lo, 1.0, s5, 1.0
	v_add_co_u32 v38, null, 0xf1bbcdc8, v15
	s_delay_alu instid0(VALU_DEP_3) | instskip(SKIP_4) | instid1(VALU_DEP_3)
	v_mad_u64_u32 v[0:1], null, 0xd2511f53, v3, 0
	v_xor3_b32 v5, v7, v33, v5
	v_fma_f32 v7, -v9, v12, 1.0
	v_add_co_u32 v41, null, 0xdb3d7428, v11
	s_add_u32 s16, s0, 0xd8
	v_mad_u64_u32 v[3:4], null, 0xcd9e8d57, v5, 0
	v_xor3_b32 v1, v35, v1, v6
	v_fmac_f32_e32 v12, v7, v12
	s_addc_u32 s18, s1, 0
	s_clause 0x1
	s_load_b32 s23, s[0:1], 0x144
	s_load_b64 s[10:11], s[0:1], 0xd8
	s_waitcnt lgkmcnt(0)
	s_cmp_gt_i32 s14, 1
	v_mad_u64_u32 v[5:6], null, 0xcd9e8d57, v1, 0
	v_xor3_b32 v4, v4, v36, v2
	v_mul_f32_e32 v13, v10, v12
	s_cselect_b32 s25, -1, 0
	s_cmp_gt_i32 s17, 1
	s_mov_b32 s7, 0
	v_mad_u64_u32 v[1:2], null, 0xd2511f53, v4, 0
	s_delay_alu instid0(VALU_DEP_4) | instskip(SKIP_3) | instid1(VALU_DEP_2)
	v_xor3_b32 v6, v34, v6, v3
	s_cselect_b32 s26, -1, 0
	s_add_i32 s6, s14, -1
	v_dual_mov_b32 v27, 0 :: v_dual_add_nc_u32 v30, 0x8ff34781, v15
	v_mad_u64_u32 v[3:4], null, 0xd2511f53, v6, 0
	s_delay_alu instid0(VALU_DEP_4) | instskip(SKIP_3) | instid1(VALU_DEP_2)
	v_xor3_b32 v0, v2, v39, v0
	v_dual_mov_b32 v44, 0 :: v_dual_add_nc_u32 v31, 0x96a522ad, v16
	s_lshl_b64 s[2:3], s[6:7], 2
	s_add_i32 s27, s14, 1
	v_mad_u64_u32 v[6:7], null, 0xcd9e8d57, v0, 0
	s_delay_alu instid0(VALU_DEP_4)
	v_xor3_b32 v2, v40, v4, v1
	s_add_u32 s0, s2, s0
	s_addc_u32 s1, s3, s1
	s_add_u32 s14, s0, 8
	s_addc_u32 s15, s1, 0
	v_mad_u64_u32 v[0:1], null, 0xcd9e8d57, v2, 0
	s_delay_alu instid0(VALU_DEP_3)
	v_xor3_b32 v4, v7, v37, v5
	v_fma_f32 v5, -v9, v13, v10
	s_add_i32 s6, s17, -1
	v_mov_b32_e32 v43, v17
	s_lshl_b64 s[0:1], s[6:7], 2
	v_mad_u64_u32 v[7:8], null, 0xd2511f53, v4, 0
	v_xor3_b32 v4, v38, v1, v6
	v_fmac_f32_e32 v13, v5, v12
	s_add_i32 s6, s17, 1
	s_add_u32 s0, s0, s16
	s_addc_u32 s1, s1, s18
	v_mad_u64_u32 v[1:2], null, 0xd2511f53, v4, 0
	s_delay_alu instid0(VALU_DEP_4) | instskip(SKIP_3) | instid1(VALU_DEP_2)
	v_xor3_b32 v3, v8, v41, v3
	v_fma_f32 v8, -v9, v13, v10
	s_add_u32 s16, s0, 8
	s_addc_u32 s17, s1, 0
	v_mad_u64_u32 v[5:6], null, 0xcd9e8d57, v3, 0
	s_delay_alu instid0(VALU_DEP_1) | instskip(SKIP_3) | instid1(VALU_DEP_1)
	v_xor3_b32 v4, v0, v6, v30
	v_xor3_b32 v6, v2, v7, v31
	v_mov_b32_e32 v7, v1
	v_div_fmas_f32 v3, v8, v12, v13
	v_div_fixup_f32 v42, v3, s5, 1.0
                                        ; implicit-def: $vgpr0_vgpr1_vgpr2_vgpr3
	s_branch .LBB13_6
.LBB13_4:                               ;   in Loop: Header=BB13_6 Depth=1
	s_set_inst_prefetch_distance 0x2
	v_cvt_f32_u32_e32 v7, v7
	v_mad_u64_u32 v[5:6], null, s23, v12, v[4:5]
	v_mov_b32_e32 v6, v27
	s_delay_alu instid0(VALU_DEP_3) | instskip(NEXT) | instid1(VALU_DEP_2)
	v_fmaak_f32 v4, 0x2f800000, v7, 0x2f800000
	v_lshlrev_b64 v[6:7], 2, v[5:6]
	s_delay_alu instid0(VALU_DEP_2) | instskip(NEXT) | instid1(VALU_DEP_2)
	v_cmp_gt_f32_e32 vcc_lo, s5, v4
	v_add_co_u32 v6, s0, s10, v6
	v_cndmask_b32_e64 v4, 0, 1.0, vcc_lo
	s_delay_alu instid0(VALU_DEP_4) | instskip(SKIP_2) | instid1(VALU_DEP_3)
	v_add_co_ci_u32_e64 v7, s0, s11, v7, s0
	v_cndmask_b32_e64 v11, 0, 1, vcc_lo
	s_waitcnt vmcnt(0)
	v_mul_f32_e32 v4, v3, v4
	s_delay_alu instid0(VALU_DEP_1)
	v_mul_f32_e32 v4, v42, v4
	global_store_b32 v[6:7], v4, off
	global_store_b8 v5, v11, s[8:9]
.LBB13_5:                               ;   in Loop: Header=BB13_6 Depth=1
	s_or_b32 exec_lo, exec_lo, s2
	v_mov_b32_e32 v11, v18
	v_dual_mov_b32 v4, v8 :: v_dual_add_nc_u32 v17, s21, v17
	v_dual_mov_b32 v5, v9 :: v_dual_mov_b32 v6, v10
	s_delay_alu instid0(VALU_DEP_3) | instskip(NEXT) | instid1(VALU_DEP_3)
	v_mov_b32_e32 v7, v11
	v_cmp_le_u32_e32 vcc_lo, s22, v17
	s_waitcnt vmcnt(0)
	s_waitcnt_vscnt null, 0x0
	s_barrier
	buffer_gl0_inv
	s_or_b32 s7, vcc_lo, s7
	s_delay_alu instid0(SALU_CYCLE_1)
	s_and_not1_b32 exec_lo, exec_lo, s7
	s_cbranch_execz .LBB13_55
.LBB13_6:                               ; =>This Loop Header: Depth=1
                                        ;     Child Loop BB13_19 Depth 2
                                        ;     Child Loop BB13_24 Depth 2
	;; [unrolled: 1-line block ×8, first 2 shown]
	v_add_co_u32 v20, vcc_lo, v20, 1
	s_delay_alu instid0(VALU_DEP_1) | instskip(SKIP_2) | instid1(VALU_DEP_1)
	v_cndmask_b32_e64 v8, 0, 1, vcc_lo
	v_add_co_ci_u32_e32 v21, vcc_lo, 0, v21, vcc_lo
	s_mov_b32 s0, exec_lo
	v_cmp_eq_u32_e32 vcc_lo, 0, v21
	s_delay_alu instid0(VALU_DEP_3) | instskip(NEXT) | instid1(VALU_DEP_1)
	v_cndmask_b32_e32 v8, 0, v8, vcc_lo
	v_add_nc_u32_e32 v43, v8, v43
	s_delay_alu instid0(VALU_DEP_1) | instskip(SKIP_2) | instid1(VALU_DEP_2)
	v_cmp_eq_u32_e32 vcc_lo, 0, v43
	v_cndmask_b32_e32 v8, 0, v8, vcc_lo
	v_mad_u64_u32 v[10:11], null, 0xcd9e8d57, v43, 0
	v_add_nc_u32_e32 v44, v8, v44
	v_mad_u64_u32 v[8:9], null, 0xd2511f53, v20, 0
	s_delay_alu instid0(VALU_DEP_3) | instskip(NEXT) | instid1(VALU_DEP_2)
	v_xor3_b32 v13, v11, v15, v21
	v_xor_b32_e32 v9, v9, v16
	s_delay_alu instid0(VALU_DEP_2) | instskip(NEXT) | instid1(VALU_DEP_2)
	v_mad_u64_u32 v[11:12], null, 0xd2511f53, v13, 0
	v_xor_b32_e32 v9, v44, v9
	s_delay_alu instid0(VALU_DEP_2) | instskip(NEXT) | instid1(VALU_DEP_2)
	v_xor3_b32 v12, v22, v12, v8
	v_mad_u64_u32 v[13:14], null, 0xcd9e8d57, v9, 0
	s_delay_alu instid0(VALU_DEP_2) | instskip(NEXT) | instid1(VALU_DEP_2)
	v_mad_u64_u32 v[8:9], null, 0xcd9e8d57, v12, 0
	v_xor3_b32 v10, v23, v14, v10
	s_delay_alu instid0(VALU_DEP_2) | instskip(NEXT) | instid1(VALU_DEP_2)
	v_xor3_b32 v12, v24, v9, v13
	v_mad_u64_u32 v[18:19], null, 0xd2511f53, v10, 0
	s_delay_alu instid0(VALU_DEP_2) | instskip(NEXT) | instid1(VALU_DEP_2)
	v_mad_u64_u32 v[9:10], null, 0xd2511f53, v12, 0
	v_xor3_b32 v13, v25, v19, v11
	s_delay_alu instid0(VALU_DEP_2) | instskip(NEXT) | instid1(VALU_DEP_2)
	v_xor3_b32 v10, v26, v10, v18
	v_mad_u64_u32 v[11:12], null, 0xcd9e8d57, v13, 0
	s_delay_alu instid0(VALU_DEP_1) | instskip(NEXT) | instid1(VALU_DEP_3)
	v_xor3_b32 v8, v29, v12, v8
	v_mad_u64_u32 v[12:13], null, 0xcd9e8d57, v10, 0
	s_delay_alu instid0(VALU_DEP_2) | instskip(NEXT) | instid1(VALU_DEP_2)
	v_mad_u64_u32 v[18:19], null, 0xd2511f53, v8, 0
	v_xor3_b32 v10, v32, v13, v11
	s_delay_alu instid0(VALU_DEP_2) | instskip(NEXT) | instid1(VALU_DEP_2)
	v_xor3_b32 v13, v33, v19, v9
	v_mad_u64_u32 v[8:9], null, 0xd2511f53, v10, 0
	s_delay_alu instid0(VALU_DEP_2) | instskip(NEXT) | instid1(VALU_DEP_2)
	v_mad_u64_u32 v[10:11], null, 0xcd9e8d57, v13, 0
	v_xor3_b32 v9, v35, v9, v18
	s_delay_alu instid0(VALU_DEP_2) | instskip(NEXT) | instid1(VALU_DEP_2)
	;; [unrolled: 6-line block ×6, first 2 shown]
	v_xor3_b32 v8, v10, v11, v30
	v_mov_b32_e32 v10, v14
	v_cmpx_lt_i32_e32 1, v28
	s_xor_b32 s0, exec_lo, s0
	s_cbranch_execnz .LBB13_9
; %bb.7:                                ;   in Loop: Header=BB13_6 Depth=1
	s_and_not1_saveexec_b32 s0, s0
	s_cbranch_execnz .LBB13_14
.LBB13_8:                               ;   in Loop: Header=BB13_6 Depth=1
	s_or_b32 exec_lo, exec_lo, s0
	v_cmp_gt_u32_e64 s3, s4, v17
	s_delay_alu instid0(VALU_DEP_1)
	s_and_saveexec_b32 s2, s3
	s_cbranch_execnz .LBB13_17
	s_branch .LBB13_21
.LBB13_9:                               ;   in Loop: Header=BB13_6 Depth=1
	s_mov_b32 s1, exec_lo
	v_cmpx_lt_i32_e32 2, v28
	s_xor_b32 s1, exec_lo, s1
; %bb.10:                               ;   in Loop: Header=BB13_6 Depth=1
	v_dual_mov_b32 v11, v7 :: v_dual_mov_b32 v12, v8
	v_mov_b32_e32 v13, v9
	s_delay_alu instid0(VALU_DEP_2) | instskip(NEXT) | instid1(VALU_DEP_2)
	v_dual_mov_b32 v4, v11 :: v_dual_mov_b32 v5, v12
	v_dual_mov_b32 v6, v13 :: v_dual_mov_b32 v7, v14
; %bb.11:                               ;   in Loop: Header=BB13_6 Depth=1
	s_and_not1_saveexec_b32 s1, s1
; %bb.12:                               ;   in Loop: Header=BB13_6 Depth=1
	s_delay_alu instid0(VALU_DEP_1)
	v_dual_mov_b32 v4, v6 :: v_dual_mov_b32 v5, v7
	v_dual_mov_b32 v6, v8 :: v_dual_mov_b32 v7, v9
; %bb.13:                               ;   in Loop: Header=BB13_6 Depth=1
	s_or_b32 exec_lo, exec_lo, s1
	s_and_not1_saveexec_b32 s0, s0
	s_cbranch_execz .LBB13_8
.LBB13_14:                              ;   in Loop: Header=BB13_6 Depth=1
	s_mov_b32 s1, exec_lo
	v_cmpx_eq_u32_e32 1, v28
; %bb.15:                               ;   in Loop: Header=BB13_6 Depth=1
	v_dual_mov_b32 v4, v5 :: v_dual_mov_b32 v5, v6
	v_dual_mov_b32 v6, v7 :: v_dual_mov_b32 v7, v8
; %bb.16:                               ;   in Loop: Header=BB13_6 Depth=1
	s_or_b32 exec_lo, exec_lo, s1
	s_delay_alu instid0(SALU_CYCLE_1) | instskip(SKIP_1) | instid1(VALU_DEP_1)
	s_or_b32 exec_lo, exec_lo, s0
	v_cmp_gt_u32_e64 s3, s4, v17
	s_and_saveexec_b32 s2, s3
	s_cbranch_execz .LBB13_21
.LBB13_17:                              ;   in Loop: Header=BB13_6 Depth=1
	v_dual_mov_b32 v0, 0 :: v_dual_mov_b32 v11, v17
	s_and_not1_b32 vcc_lo, exec_lo, s25
	s_cbranch_vccnz .LBB13_20
; %bb.18:                               ;   in Loop: Header=BB13_6 Depth=1
	v_dual_mov_b32 v0, 0 :: v_dual_mov_b32 v11, v17
	s_mov_b64 s[0:1], s[14:15]
	s_mov_b32 s18, s27
	s_set_inst_prefetch_distance 0x1
	.p2align	6
.LBB13_19:                              ;   Parent Loop BB13_6 Depth=1
                                        ; =>  This Inner Loop Header: Depth=2
	s_clause 0x1
	s_load_b32 s19, s[0:1], 0x0
	s_load_b32 s28, s[0:1], 0x64
	s_add_i32 s18, s18, -1
	s_waitcnt lgkmcnt(0)
	v_cvt_f32_u32_e32 v12, s19
	s_sub_i32 s29, 0, s19
	s_add_u32 s0, s0, -4
	s_addc_u32 s1, s1, -1
	s_cmp_gt_u32 s18, 2
	v_rcp_iflag_f32_e32 v12, v12
	s_waitcnt_depctr 0xfff
	v_mul_f32_e32 v12, 0x4f7ffffe, v12
	s_delay_alu instid0(VALU_DEP_1) | instskip(NEXT) | instid1(VALU_DEP_1)
	v_cvt_u32_f32_e32 v12, v12
	v_mul_lo_u32 v13, s29, v12
	s_delay_alu instid0(VALU_DEP_1) | instskip(NEXT) | instid1(VALU_DEP_1)
	v_mul_hi_u32 v13, v12, v13
	v_dual_mov_b32 v14, v11 :: v_dual_add_nc_u32 v11, v12, v13
	s_delay_alu instid0(VALU_DEP_1) | instskip(NEXT) | instid1(VALU_DEP_1)
	v_mul_hi_u32 v11, v14, v11
	v_mul_lo_u32 v12, v11, s19
	v_add_nc_u32_e32 v13, 1, v11
	s_delay_alu instid0(VALU_DEP_2) | instskip(NEXT) | instid1(VALU_DEP_1)
	v_sub_nc_u32_e32 v12, v14, v12
	v_subrev_nc_u32_e32 v19, s19, v12
	v_cmp_le_u32_e32 vcc_lo, s19, v12
	s_delay_alu instid0(VALU_DEP_2) | instskip(NEXT) | instid1(VALU_DEP_1)
	v_dual_cndmask_b32 v11, v11, v13 :: v_dual_cndmask_b32 v12, v12, v19
	v_add_nc_u32_e32 v13, 1, v11
	s_delay_alu instid0(VALU_DEP_2) | instskip(NEXT) | instid1(VALU_DEP_2)
	v_cmp_le_u32_e32 vcc_lo, s19, v12
	v_cndmask_b32_e32 v11, v11, v13, vcc_lo
	s_delay_alu instid0(VALU_DEP_1) | instskip(NEXT) | instid1(VALU_DEP_1)
	v_mul_lo_u32 v12, v11, s19
	v_sub_nc_u32_e32 v14, v14, v12
	s_delay_alu instid0(VALU_DEP_1) | instskip(NEXT) | instid1(VALU_DEP_1)
	v_mad_u64_u32 v[12:13], null, s28, v14, v[0:1]
	v_mov_b32_e32 v0, v12
	s_cbranch_scc1 .LBB13_19
.LBB13_20:                              ;   in Loop: Header=BB13_6 Depth=1
	s_set_inst_prefetch_distance 0x2
	s_delay_alu instid0(VALU_DEP_1) | instskip(SKIP_1) | instid1(VALU_DEP_1)
	v_mad_u64_u32 v[12:13], null, s24, v11, v[0:1]
	v_mov_b32_e32 v13, v27
	v_lshlrev_b64 v[11:12], 2, v[12:13]
	s_delay_alu instid0(VALU_DEP_1) | instskip(NEXT) | instid1(VALU_DEP_2)
	v_add_co_u32 v11, vcc_lo, s12, v11
	v_add_co_ci_u32_e32 v12, vcc_lo, s13, v12, vcc_lo
	global_load_b32 v0, v[11:12], off
.LBB13_21:                              ;   in Loop: Header=BB13_6 Depth=1
	s_or_b32 exec_lo, exec_lo, s2
	v_add_nc_u32_e32 v14, s20, v17
	s_delay_alu instid0(VALU_DEP_1) | instskip(NEXT) | instid1(VALU_DEP_1)
	v_cmp_gt_u32_e64 s2, s4, v14
	s_and_saveexec_b32 s18, s2
	s_cbranch_execz .LBB13_26
; %bb.22:                               ;   in Loop: Header=BB13_6 Depth=1
	v_mov_b32_e32 v1, 0
	v_mov_b32_e32 v11, v14
	s_and_not1_b32 vcc_lo, exec_lo, s25
	s_cbranch_vccnz .LBB13_25
; %bb.23:                               ;   in Loop: Header=BB13_6 Depth=1
	v_mov_b32_e32 v1, 0
	v_mov_b32_e32 v11, v14
	s_mov_b64 s[0:1], s[14:15]
	s_mov_b32 s19, s27
	s_set_inst_prefetch_distance 0x1
	.p2align	6
.LBB13_24:                              ;   Parent Loop BB13_6 Depth=1
                                        ; =>  This Inner Loop Header: Depth=2
	s_clause 0x1
	s_load_b32 s28, s[0:1], 0x0
	s_load_b32 s29, s[0:1], 0x64
	s_add_i32 s19, s19, -1
	v_mov_b32_e32 v19, v11
	s_waitcnt lgkmcnt(0)
	v_cvt_f32_u32_e32 v12, s28
	s_sub_i32 s30, 0, s28
	s_add_u32 s0, s0, -4
	s_addc_u32 s1, s1, -1
	s_cmp_gt_u32 s19, 2
	v_rcp_iflag_f32_e32 v12, v12
	s_waitcnt_depctr 0xfff
	v_mul_f32_e32 v12, 0x4f7ffffe, v12
	s_delay_alu instid0(VALU_DEP_1) | instskip(NEXT) | instid1(VALU_DEP_1)
	v_cvt_u32_f32_e32 v12, v12
	v_mul_lo_u32 v13, s30, v12
	s_delay_alu instid0(VALU_DEP_1) | instskip(NEXT) | instid1(VALU_DEP_1)
	v_mul_hi_u32 v13, v12, v13
	v_add_nc_u32_e32 v11, v12, v13
	s_delay_alu instid0(VALU_DEP_1) | instskip(NEXT) | instid1(VALU_DEP_1)
	v_mul_hi_u32 v11, v19, v11
	v_mul_lo_u32 v12, v11, s28
	s_delay_alu instid0(VALU_DEP_1) | instskip(NEXT) | instid1(VALU_DEP_1)
	v_sub_nc_u32_e32 v12, v19, v12
	v_subrev_nc_u32_e32 v45, s28, v12
	v_cmp_le_u32_e32 vcc_lo, s28, v12
	s_delay_alu instid0(VALU_DEP_2) | instskip(NEXT) | instid1(VALU_DEP_1)
	v_dual_cndmask_b32 v12, v12, v45 :: v_dual_add_nc_u32 v13, 1, v11
	v_cndmask_b32_e32 v11, v11, v13, vcc_lo
	s_delay_alu instid0(VALU_DEP_2) | instskip(NEXT) | instid1(VALU_DEP_2)
	v_cmp_le_u32_e32 vcc_lo, s28, v12
	v_add_nc_u32_e32 v13, 1, v11
	s_delay_alu instid0(VALU_DEP_1) | instskip(NEXT) | instid1(VALU_DEP_1)
	v_cndmask_b32_e32 v11, v11, v13, vcc_lo
	v_mul_lo_u32 v12, v11, s28
	s_delay_alu instid0(VALU_DEP_1) | instskip(NEXT) | instid1(VALU_DEP_1)
	v_sub_nc_u32_e32 v19, v19, v12
	v_mad_u64_u32 v[12:13], null, s29, v19, v[1:2]
	s_delay_alu instid0(VALU_DEP_1)
	v_mov_b32_e32 v1, v12
	s_cbranch_scc1 .LBB13_24
.LBB13_25:                              ;   in Loop: Header=BB13_6 Depth=1
	s_set_inst_prefetch_distance 0x2
	s_delay_alu instid0(VALU_DEP_1) | instskip(SKIP_1) | instid1(VALU_DEP_1)
	v_mad_u64_u32 v[12:13], null, s24, v11, v[1:2]
	v_mov_b32_e32 v13, v27
	v_lshlrev_b64 v[11:12], 2, v[12:13]
	s_delay_alu instid0(VALU_DEP_1) | instskip(NEXT) | instid1(VALU_DEP_2)
	v_add_co_u32 v11, vcc_lo, s12, v11
	v_add_co_ci_u32_e32 v12, vcc_lo, s13, v12, vcc_lo
	global_load_b32 v1, v[11:12], off
.LBB13_26:                              ;   in Loop: Header=BB13_6 Depth=1
	s_or_b32 exec_lo, exec_lo, s18
	v_add_nc_u32_e32 v13, s20, v14
	s_delay_alu instid0(VALU_DEP_1) | instskip(NEXT) | instid1(VALU_DEP_1)
	v_cmp_gt_u32_e64 s1, s4, v13
	s_and_saveexec_b32 s0, s1
	s_cbranch_execz .LBB13_31
; %bb.27:                               ;   in Loop: Header=BB13_6 Depth=1
	v_dual_mov_b32 v2, 0 :: v_dual_mov_b32 v11, v13
	s_and_not1_b32 vcc_lo, exec_lo, s25
	s_cbranch_vccnz .LBB13_30
; %bb.28:                               ;   in Loop: Header=BB13_6 Depth=1
	v_dual_mov_b32 v2, 0 :: v_dual_mov_b32 v11, v13
	s_mov_b64 s[18:19], s[14:15]
	s_mov_b32 s28, s27
	s_set_inst_prefetch_distance 0x1
	.p2align	6
.LBB13_29:                              ;   Parent Loop BB13_6 Depth=1
                                        ; =>  This Inner Loop Header: Depth=2
	s_clause 0x1
	s_load_b32 s29, s[18:19], 0x0
	s_load_b32 s30, s[18:19], 0x64
	s_add_i32 s28, s28, -1
	v_mov_b32_e32 v45, v11
	s_waitcnt lgkmcnt(0)
	v_cvt_f32_u32_e32 v12, s29
	s_sub_i32 s31, 0, s29
	s_add_u32 s18, s18, -4
	s_addc_u32 s19, s19, -1
	s_cmp_gt_u32 s28, 2
	v_rcp_iflag_f32_e32 v12, v12
	s_waitcnt_depctr 0xfff
	v_mul_f32_e32 v12, 0x4f7ffffe, v12
	s_delay_alu instid0(VALU_DEP_1) | instskip(NEXT) | instid1(VALU_DEP_1)
	v_cvt_u32_f32_e32 v12, v12
	v_mul_lo_u32 v19, s31, v12
	s_delay_alu instid0(VALU_DEP_1) | instskip(NEXT) | instid1(VALU_DEP_1)
	v_mul_hi_u32 v19, v12, v19
	v_add_nc_u32_e32 v11, v12, v19
	s_delay_alu instid0(VALU_DEP_1) | instskip(NEXT) | instid1(VALU_DEP_1)
	v_mul_hi_u32 v11, v45, v11
	v_mul_lo_u32 v12, v11, s29
	s_delay_alu instid0(VALU_DEP_1) | instskip(NEXT) | instid1(VALU_DEP_1)
	v_sub_nc_u32_e32 v12, v45, v12
	v_subrev_nc_u32_e32 v46, s29, v12
	v_cmp_le_u32_e32 vcc_lo, s29, v12
	s_delay_alu instid0(VALU_DEP_2) | instskip(NEXT) | instid1(VALU_DEP_1)
	v_dual_cndmask_b32 v12, v12, v46 :: v_dual_add_nc_u32 v19, 1, v11
	v_cndmask_b32_e32 v11, v11, v19, vcc_lo
	s_delay_alu instid0(VALU_DEP_2) | instskip(NEXT) | instid1(VALU_DEP_2)
	v_cmp_le_u32_e32 vcc_lo, s29, v12
	v_add_nc_u32_e32 v19, 1, v11
	s_delay_alu instid0(VALU_DEP_1) | instskip(NEXT) | instid1(VALU_DEP_1)
	v_cndmask_b32_e32 v11, v11, v19, vcc_lo
	v_mul_lo_u32 v12, v11, s29
	s_delay_alu instid0(VALU_DEP_1) | instskip(NEXT) | instid1(VALU_DEP_1)
	v_sub_nc_u32_e32 v12, v45, v12
	v_mad_u64_u32 v[45:46], null, s30, v12, v[2:3]
	s_delay_alu instid0(VALU_DEP_1)
	v_mov_b32_e32 v2, v45
	s_cbranch_scc1 .LBB13_29
.LBB13_30:                              ;   in Loop: Header=BB13_6 Depth=1
	s_set_inst_prefetch_distance 0x2
	s_delay_alu instid0(VALU_DEP_1) | instskip(SKIP_1) | instid1(VALU_DEP_1)
	v_mad_u64_u32 v[45:46], null, s24, v11, v[2:3]
	v_mov_b32_e32 v46, v27
	v_lshlrev_b64 v[11:12], 2, v[45:46]
	s_delay_alu instid0(VALU_DEP_1) | instskip(NEXT) | instid1(VALU_DEP_2)
	v_add_co_u32 v11, vcc_lo, s12, v11
	v_add_co_ci_u32_e32 v12, vcc_lo, s13, v12, vcc_lo
	global_load_b32 v2, v[11:12], off
.LBB13_31:                              ;   in Loop: Header=BB13_6 Depth=1
	s_or_b32 exec_lo, exec_lo, s0
	v_add_nc_u32_e32 v12, s20, v13
	s_delay_alu instid0(VALU_DEP_1) | instskip(NEXT) | instid1(VALU_DEP_1)
	v_cmp_gt_u32_e64 s0, s4, v12
	s_and_saveexec_b32 s28, s0
	s_cbranch_execnz .LBB13_36
; %bb.32:                               ;   in Loop: Header=BB13_6 Depth=1
	s_or_b32 exec_lo, exec_lo, s28
	s_and_saveexec_b32 s28, s3
	s_cbranch_execnz .LBB13_40
.LBB13_33:                              ;   in Loop: Header=BB13_6 Depth=1
	s_or_b32 exec_lo, exec_lo, s28
	s_and_saveexec_b32 s18, s2
	s_cbranch_execnz .LBB13_44
.LBB13_34:                              ;   in Loop: Header=BB13_6 Depth=1
	s_or_b32 exec_lo, exec_lo, s18
	s_and_saveexec_b32 s18, s1
	s_cbranch_execnz .LBB13_48
.LBB13_35:                              ;   in Loop: Header=BB13_6 Depth=1
	s_or_b32 exec_lo, exec_lo, s18
	s_and_saveexec_b32 s2, s0
	s_cbranch_execz .LBB13_5
	s_branch .LBB13_52
.LBB13_36:                              ;   in Loop: Header=BB13_6 Depth=1
	v_mov_b32_e32 v3, 0
	v_mov_b32_e32 v11, v12
	s_and_not1_b32 vcc_lo, exec_lo, s25
	s_cbranch_vccnz .LBB13_39
; %bb.37:                               ;   in Loop: Header=BB13_6 Depth=1
	v_mov_b32_e32 v3, 0
	v_mov_b32_e32 v11, v12
	s_mov_b64 s[18:19], s[14:15]
	s_mov_b32 s29, s27
	s_set_inst_prefetch_distance 0x1
	.p2align	6
.LBB13_38:                              ;   Parent Loop BB13_6 Depth=1
                                        ; =>  This Inner Loop Header: Depth=2
	s_clause 0x1
	s_load_b32 s30, s[18:19], 0x0
	s_load_b32 s31, s[18:19], 0x64
	s_add_i32 s29, s29, -1
	v_mov_b32_e32 v46, v11
	s_waitcnt lgkmcnt(0)
	v_cvt_f32_u32_e32 v19, s30
	s_sub_i32 s33, 0, s30
	s_add_u32 s18, s18, -4
	s_addc_u32 s19, s19, -1
	s_cmp_gt_u32 s29, 2
	v_rcp_iflag_f32_e32 v19, v19
	s_waitcnt_depctr 0xfff
	v_mul_f32_e32 v19, 0x4f7ffffe, v19
	s_delay_alu instid0(VALU_DEP_1) | instskip(NEXT) | instid1(VALU_DEP_1)
	v_cvt_u32_f32_e32 v19, v19
	v_mul_lo_u32 v45, s33, v19
	s_delay_alu instid0(VALU_DEP_1) | instskip(NEXT) | instid1(VALU_DEP_1)
	v_mul_hi_u32 v45, v19, v45
	v_add_nc_u32_e32 v11, v19, v45
	s_delay_alu instid0(VALU_DEP_1) | instskip(NEXT) | instid1(VALU_DEP_1)
	v_mul_hi_u32 v11, v46, v11
	v_mul_lo_u32 v19, v11, s30
	v_add_nc_u32_e32 v45, 1, v11
	s_delay_alu instid0(VALU_DEP_2) | instskip(NEXT) | instid1(VALU_DEP_1)
	v_sub_nc_u32_e32 v19, v46, v19
	v_subrev_nc_u32_e32 v47, s30, v19
	v_cmp_le_u32_e32 vcc_lo, s30, v19
	s_delay_alu instid0(VALU_DEP_4) | instskip(NEXT) | instid1(VALU_DEP_3)
	v_cndmask_b32_e32 v11, v11, v45, vcc_lo
	v_cndmask_b32_e32 v19, v19, v47, vcc_lo
	s_delay_alu instid0(VALU_DEP_2) | instskip(NEXT) | instid1(VALU_DEP_2)
	v_add_nc_u32_e32 v45, 1, v11
	v_cmp_le_u32_e32 vcc_lo, s30, v19
	s_delay_alu instid0(VALU_DEP_2) | instskip(NEXT) | instid1(VALU_DEP_1)
	v_cndmask_b32_e32 v11, v11, v45, vcc_lo
	v_mul_lo_u32 v19, v11, s30
	s_delay_alu instid0(VALU_DEP_1) | instskip(NEXT) | instid1(VALU_DEP_1)
	v_sub_nc_u32_e32 v19, v46, v19
	v_mad_u64_u32 v[45:46], null, s31, v19, v[3:4]
	s_delay_alu instid0(VALU_DEP_1)
	v_mov_b32_e32 v3, v45
	s_cbranch_scc1 .LBB13_38
.LBB13_39:                              ;   in Loop: Header=BB13_6 Depth=1
	s_set_inst_prefetch_distance 0x2
	s_delay_alu instid0(VALU_DEP_1) | instskip(SKIP_1) | instid1(VALU_DEP_1)
	v_mad_u64_u32 v[45:46], null, s24, v11, v[3:4]
	v_mov_b32_e32 v46, v27
	v_lshlrev_b64 v[45:46], 2, v[45:46]
	s_delay_alu instid0(VALU_DEP_1) | instskip(NEXT) | instid1(VALU_DEP_2)
	v_add_co_u32 v45, vcc_lo, s12, v45
	v_add_co_ci_u32_e32 v46, vcc_lo, s13, v46, vcc_lo
	global_load_b32 v3, v[45:46], off
	s_or_b32 exec_lo, exec_lo, s28
	s_and_saveexec_b32 s28, s3
	s_cbranch_execz .LBB13_33
.LBB13_40:                              ;   in Loop: Header=BB13_6 Depth=1
	v_mov_b32_e32 v11, 0
	v_mov_b32_e32 v19, v17
	s_and_not1_b32 vcc_lo, exec_lo, s26
	s_cbranch_vccnz .LBB13_43
; %bb.41:                               ;   in Loop: Header=BB13_6 Depth=1
	v_mov_b32_e32 v11, 0
	v_mov_b32_e32 v19, v17
	s_mov_b64 s[18:19], s[16:17]
	s_mov_b32 s3, s6
	s_set_inst_prefetch_distance 0x1
	.p2align	6
.LBB13_42:                              ;   Parent Loop BB13_6 Depth=1
                                        ; =>  This Inner Loop Header: Depth=2
	s_clause 0x1
	s_load_b32 s29, s[18:19], 0x0
	s_load_b32 s30, s[18:19], 0x64
	v_mov_b32_e32 v47, v19
	s_add_i32 s3, s3, -1
	s_waitcnt lgkmcnt(0)
	v_cvt_f32_u32_e32 v45, s29
	s_sub_i32 s31, 0, s29
	s_add_u32 s18, s18, -4
	s_addc_u32 s19, s19, -1
	s_cmp_gt_u32 s3, 2
	v_rcp_iflag_f32_e32 v45, v45
	s_waitcnt_depctr 0xfff
	v_mul_f32_e32 v45, 0x4f7ffffe, v45
	s_delay_alu instid0(VALU_DEP_1) | instskip(NEXT) | instid1(VALU_DEP_1)
	v_cvt_u32_f32_e32 v45, v45
	v_mul_lo_u32 v46, s31, v45
	s_delay_alu instid0(VALU_DEP_1) | instskip(NEXT) | instid1(VALU_DEP_1)
	v_mul_hi_u32 v46, v45, v46
	v_add_nc_u32_e32 v19, v45, v46
	s_delay_alu instid0(VALU_DEP_1) | instskip(NEXT) | instid1(VALU_DEP_1)
	v_mul_hi_u32 v19, v47, v19
	v_add_nc_u32_e32 v46, 1, v19
	v_mul_lo_u32 v45, v19, s29
	s_delay_alu instid0(VALU_DEP_1) | instskip(NEXT) | instid1(VALU_DEP_1)
	v_sub_nc_u32_e32 v45, v47, v45
	v_subrev_nc_u32_e32 v48, s29, v45
	v_cmp_le_u32_e32 vcc_lo, s29, v45
	v_cndmask_b32_e32 v19, v19, v46, vcc_lo
	s_delay_alu instid0(VALU_DEP_1) | instskip(NEXT) | instid1(VALU_DEP_1)
	v_dual_cndmask_b32 v45, v45, v48 :: v_dual_add_nc_u32 v46, 1, v19
	v_cmp_le_u32_e32 vcc_lo, s29, v45
	s_delay_alu instid0(VALU_DEP_2) | instskip(NEXT) | instid1(VALU_DEP_1)
	v_cndmask_b32_e32 v19, v19, v46, vcc_lo
	v_mul_lo_u32 v45, v19, s29
	s_delay_alu instid0(VALU_DEP_1) | instskip(NEXT) | instid1(VALU_DEP_1)
	v_sub_nc_u32_e32 v47, v47, v45
	v_mad_u64_u32 v[45:46], null, s30, v47, v[11:12]
	s_delay_alu instid0(VALU_DEP_1)
	v_mov_b32_e32 v11, v45
	s_cbranch_scc1 .LBB13_42
.LBB13_43:                              ;   in Loop: Header=BB13_6 Depth=1
	s_set_inst_prefetch_distance 0x2
	v_cvt_f32_u32_e32 v4, v4
	s_delay_alu instid0(VALU_DEP_2) | instskip(SKIP_1) | instid1(VALU_DEP_3)
	v_mad_u64_u32 v[45:46], null, s23, v19, v[11:12]
	v_mov_b32_e32 v46, v27
	v_fmaak_f32 v4, 0x2f800000, v4, 0x2f800000
	s_delay_alu instid0(VALU_DEP_2) | instskip(NEXT) | instid1(VALU_DEP_2)
	v_lshlrev_b64 v[46:47], 2, v[45:46]
	v_cmp_gt_f32_e32 vcc_lo, s5, v4
	s_delay_alu instid0(VALU_DEP_2) | instskip(SKIP_1) | instid1(VALU_DEP_4)
	v_add_co_u32 v46, s3, s10, v46
	v_cndmask_b32_e64 v4, 0, 1.0, vcc_lo
	v_add_co_ci_u32_e64 v47, s3, s11, v47, s3
	v_cndmask_b32_e64 v11, 0, 1, vcc_lo
	s_waitcnt vmcnt(0)
	s_delay_alu instid0(VALU_DEP_3) | instskip(NEXT) | instid1(VALU_DEP_1)
	v_mul_f32_e32 v4, v0, v4
	v_mul_f32_e32 v4, v42, v4
	global_store_b32 v[46:47], v4, off
	global_store_b8 v45, v11, s[8:9]
	s_or_b32 exec_lo, exec_lo, s28
	s_and_saveexec_b32 s18, s2
	s_cbranch_execz .LBB13_34
.LBB13_44:                              ;   in Loop: Header=BB13_6 Depth=1
	v_mov_b32_e32 v4, 0
	s_and_not1_b32 vcc_lo, exec_lo, s26
	s_cbranch_vccnz .LBB13_47
; %bb.45:                               ;   in Loop: Header=BB13_6 Depth=1
	v_mov_b32_e32 v4, 0
	s_mov_b64 s[2:3], s[16:17]
	s_mov_b32 s19, s6
	s_set_inst_prefetch_distance 0x1
	.p2align	6
.LBB13_46:                              ;   Parent Loop BB13_6 Depth=1
                                        ; =>  This Inner Loop Header: Depth=2
	s_clause 0x1
	s_load_b32 s28, s[2:3], 0x0
	s_load_b32 s29, s[2:3], 0x64
	v_mov_b32_e32 v45, v14
	s_add_i32 s19, s19, -1
	s_waitcnt lgkmcnt(0)
	v_cvt_f32_u32_e32 v11, s28
	s_sub_i32 s30, 0, s28
	s_add_u32 s2, s2, -4
	s_addc_u32 s3, s3, -1
	s_cmp_gt_u32 s19, 2
	v_rcp_iflag_f32_e32 v11, v11
	s_waitcnt_depctr 0xfff
	v_mul_f32_e32 v11, 0x4f7ffffe, v11
	s_delay_alu instid0(VALU_DEP_1) | instskip(NEXT) | instid1(VALU_DEP_1)
	v_cvt_u32_f32_e32 v11, v11
	v_mul_lo_u32 v19, s30, v11
	s_delay_alu instid0(VALU_DEP_1) | instskip(NEXT) | instid1(VALU_DEP_1)
	v_mul_hi_u32 v19, v11, v19
	v_add_nc_u32_e32 v11, v11, v19
	s_delay_alu instid0(VALU_DEP_1) | instskip(NEXT) | instid1(VALU_DEP_1)
	v_mul_hi_u32 v11, v45, v11
	v_mul_lo_u32 v14, v11, s28
	v_add_nc_u32_e32 v19, 1, v11
	s_delay_alu instid0(VALU_DEP_2) | instskip(NEXT) | instid1(VALU_DEP_1)
	v_sub_nc_u32_e32 v14, v45, v14
	v_subrev_nc_u32_e32 v46, s28, v14
	v_cmp_le_u32_e32 vcc_lo, s28, v14
	s_delay_alu instid0(VALU_DEP_2) | instskip(NEXT) | instid1(VALU_DEP_1)
	v_dual_cndmask_b32 v11, v11, v19 :: v_dual_cndmask_b32 v14, v14, v46
	v_add_nc_u32_e32 v19, 1, v11
	s_delay_alu instid0(VALU_DEP_2) | instskip(NEXT) | instid1(VALU_DEP_2)
	v_cmp_le_u32_e32 vcc_lo, s28, v14
	v_cndmask_b32_e32 v14, v11, v19, vcc_lo
	s_delay_alu instid0(VALU_DEP_1) | instskip(NEXT) | instid1(VALU_DEP_1)
	v_mul_lo_u32 v11, v14, s28
	v_sub_nc_u32_e32 v11, v45, v11
	s_delay_alu instid0(VALU_DEP_1) | instskip(NEXT) | instid1(VALU_DEP_1)
	v_mad_u64_u32 v[45:46], null, s29, v11, v[4:5]
	v_mov_b32_e32 v4, v45
	s_cbranch_scc1 .LBB13_46
.LBB13_47:                              ;   in Loop: Header=BB13_6 Depth=1
	s_set_inst_prefetch_distance 0x2
	v_cvt_f32_u32_e32 v5, v5
	s_delay_alu instid0(VALU_DEP_1) | instskip(SKIP_1) | instid1(VALU_DEP_1)
	v_mad_u64_u32 v[45:46], null, s23, v14, v[4:5]
	v_fmaak_f32 v4, 0x2f800000, v5, 0x2f800000
	v_cmp_gt_f32_e32 vcc_lo, s5, v4
	v_cndmask_b32_e64 v11, 0, 1.0, vcc_lo
	v_cndmask_b32_e64 v14, 0, 1, vcc_lo
	s_waitcnt vmcnt(0)
	s_delay_alu instid0(VALU_DEP_2) | instskip(NEXT) | instid1(VALU_DEP_1)
	v_dual_mul_f32 v11, v1, v11 :: v_dual_mov_b32 v46, v27
	v_mul_f32_e32 v11, v42, v11
	s_delay_alu instid0(VALU_DEP_2) | instskip(NEXT) | instid1(VALU_DEP_1)
	v_lshlrev_b64 v[4:5], 2, v[45:46]
	v_add_co_u32 v4, s2, s10, v4
	s_delay_alu instid0(VALU_DEP_1)
	v_add_co_ci_u32_e64 v5, s2, s11, v5, s2
	global_store_b32 v[4:5], v11, off
	global_store_b8 v45, v14, s[8:9]
	s_or_b32 exec_lo, exec_lo, s18
	s_and_saveexec_b32 s18, s1
	s_cbranch_execz .LBB13_35
.LBB13_48:                              ;   in Loop: Header=BB13_6 Depth=1
	v_mov_b32_e32 v4, 0
	s_and_not1_b32 vcc_lo, exec_lo, s26
	s_cbranch_vccnz .LBB13_51
; %bb.49:                               ;   in Loop: Header=BB13_6 Depth=1
	v_mov_b32_e32 v4, 0
	s_mov_b64 s[2:3], s[16:17]
	s_mov_b32 s1, s6
	s_set_inst_prefetch_distance 0x1
	.p2align	6
.LBB13_50:                              ;   Parent Loop BB13_6 Depth=1
                                        ; =>  This Inner Loop Header: Depth=2
	s_clause 0x1
	s_load_b32 s19, s[2:3], 0x0
	s_load_b32 s28, s[2:3], 0x64
	s_add_i32 s1, s1, -1
	v_mov_b32_e32 v14, v13
	s_waitcnt lgkmcnt(0)
	v_cvt_f32_u32_e32 v5, s19
	s_sub_i32 s29, 0, s19
	s_add_u32 s2, s2, -4
	s_addc_u32 s3, s3, -1
	s_cmp_gt_u32 s1, 2
	v_rcp_iflag_f32_e32 v5, v5
	s_waitcnt_depctr 0xfff
	v_mul_f32_e32 v5, 0x4f7ffffe, v5
	s_delay_alu instid0(VALU_DEP_1) | instskip(NEXT) | instid1(VALU_DEP_1)
	v_cvt_u32_f32_e32 v5, v5
	v_mul_lo_u32 v11, s29, v5
	s_delay_alu instid0(VALU_DEP_1) | instskip(NEXT) | instid1(VALU_DEP_1)
	v_mul_hi_u32 v11, v5, v11
	v_add_nc_u32_e32 v5, v5, v11
	s_delay_alu instid0(VALU_DEP_1) | instskip(NEXT) | instid1(VALU_DEP_1)
	v_mul_hi_u32 v5, v14, v5
	v_mul_lo_u32 v11, v5, s19
	v_add_nc_u32_e32 v13, 1, v5
	s_delay_alu instid0(VALU_DEP_2) | instskip(NEXT) | instid1(VALU_DEP_1)
	v_sub_nc_u32_e32 v11, v14, v11
	v_subrev_nc_u32_e32 v19, s19, v11
	v_cmp_le_u32_e32 vcc_lo, s19, v11
	s_delay_alu instid0(VALU_DEP_4) | instskip(NEXT) | instid1(VALU_DEP_3)
	v_cndmask_b32_e32 v5, v5, v13, vcc_lo
	v_cndmask_b32_e32 v11, v11, v19, vcc_lo
	s_delay_alu instid0(VALU_DEP_2) | instskip(NEXT) | instid1(VALU_DEP_2)
	v_add_nc_u32_e32 v13, 1, v5
	v_cmp_le_u32_e32 vcc_lo, s19, v11
	s_delay_alu instid0(VALU_DEP_2) | instskip(NEXT) | instid1(VALU_DEP_1)
	v_cndmask_b32_e32 v13, v5, v13, vcc_lo
	v_mul_lo_u32 v5, v13, s19
	s_delay_alu instid0(VALU_DEP_1) | instskip(NEXT) | instid1(VALU_DEP_1)
	v_sub_nc_u32_e32 v5, v14, v5
	v_mad_u64_u32 v[45:46], null, s28, v5, v[4:5]
	s_delay_alu instid0(VALU_DEP_1)
	v_mov_b32_e32 v4, v45
	s_cbranch_scc1 .LBB13_50
.LBB13_51:                              ;   in Loop: Header=BB13_6 Depth=1
	s_set_inst_prefetch_distance 0x2
	v_cvt_f32_u32_e32 v11, v6
	s_delay_alu instid0(VALU_DEP_2) | instskip(SKIP_1) | instid1(VALU_DEP_3)
	v_mad_u64_u32 v[5:6], null, s23, v13, v[4:5]
	v_mov_b32_e32 v6, v27
	v_fmaak_f32 v4, 0x2f800000, v11, 0x2f800000
	s_delay_alu instid0(VALU_DEP_2) | instskip(NEXT) | instid1(VALU_DEP_2)
	v_lshlrev_b64 v[13:14], 2, v[5:6]
	v_cmp_gt_f32_e32 vcc_lo, s5, v4
	s_delay_alu instid0(VALU_DEP_2) | instskip(SKIP_1) | instid1(VALU_DEP_4)
	v_add_co_u32 v13, s1, s10, v13
	v_cndmask_b32_e64 v4, 0, 1.0, vcc_lo
	v_add_co_ci_u32_e64 v14, s1, s11, v14, s1
	v_cndmask_b32_e64 v6, 0, 1, vcc_lo
	s_waitcnt vmcnt(0)
	s_delay_alu instid0(VALU_DEP_3) | instskip(NEXT) | instid1(VALU_DEP_1)
	v_mul_f32_e32 v4, v2, v4
	v_mul_f32_e32 v4, v42, v4
	global_store_b32 v[13:14], v4, off
	global_store_b8 v5, v6, s[8:9]
	s_or_b32 exec_lo, exec_lo, s18
	s_and_saveexec_b32 s2, s0
	s_cbranch_execz .LBB13_5
.LBB13_52:                              ;   in Loop: Header=BB13_6 Depth=1
	v_mov_b32_e32 v4, 0
	s_and_not1_b32 vcc_lo, exec_lo, s26
	s_cbranch_vccnz .LBB13_4
; %bb.53:                               ;   in Loop: Header=BB13_6 Depth=1
	v_mov_b32_e32 v4, 0
	s_mov_b64 s[0:1], s[16:17]
	s_mov_b32 s3, s6
	s_set_inst_prefetch_distance 0x1
	.p2align	6
.LBB13_54:                              ;   Parent Loop BB13_6 Depth=1
                                        ; =>  This Inner Loop Header: Depth=2
	s_clause 0x1
	s_load_b32 s18, s[0:1], 0x0
	s_load_b32 s19, s[0:1], 0x64
	v_mov_b32_e32 v11, v12
	s_add_i32 s3, s3, -1
	s_waitcnt lgkmcnt(0)
	v_cvt_f32_u32_e32 v5, s18
	s_sub_i32 s28, 0, s18
	s_add_u32 s0, s0, -4
	s_addc_u32 s1, s1, -1
	s_cmp_gt_u32 s3, 2
	v_rcp_iflag_f32_e32 v5, v5
	s_waitcnt_depctr 0xfff
	v_mul_f32_e32 v5, 0x4f7ffffe, v5
	s_delay_alu instid0(VALU_DEP_1) | instskip(NEXT) | instid1(VALU_DEP_1)
	v_cvt_u32_f32_e32 v5, v5
	v_mul_lo_u32 v6, s28, v5
	s_delay_alu instid0(VALU_DEP_1) | instskip(NEXT) | instid1(VALU_DEP_1)
	v_mul_hi_u32 v6, v5, v6
	v_add_nc_u32_e32 v5, v5, v6
	s_delay_alu instid0(VALU_DEP_1) | instskip(NEXT) | instid1(VALU_DEP_1)
	v_mul_hi_u32 v5, v11, v5
	v_mul_lo_u32 v6, v5, s18
	v_add_nc_u32_e32 v12, 1, v5
	s_delay_alu instid0(VALU_DEP_2) | instskip(NEXT) | instid1(VALU_DEP_1)
	v_sub_nc_u32_e32 v6, v11, v6
	v_subrev_nc_u32_e32 v13, s18, v6
	v_cmp_le_u32_e32 vcc_lo, s18, v6
	s_delay_alu instid0(VALU_DEP_2) | instskip(NEXT) | instid1(VALU_DEP_1)
	v_dual_cndmask_b32 v6, v6, v13 :: v_dual_cndmask_b32 v5, v5, v12
	v_cmp_le_u32_e32 vcc_lo, s18, v6
	s_delay_alu instid0(VALU_DEP_2) | instskip(NEXT) | instid1(VALU_DEP_1)
	v_add_nc_u32_e32 v12, 1, v5
	v_cndmask_b32_e32 v12, v5, v12, vcc_lo
	s_delay_alu instid0(VALU_DEP_1) | instskip(NEXT) | instid1(VALU_DEP_1)
	v_mul_lo_u32 v5, v12, s18
	v_sub_nc_u32_e32 v11, v11, v5
	s_delay_alu instid0(VALU_DEP_1) | instskip(NEXT) | instid1(VALU_DEP_1)
	v_mad_u64_u32 v[5:6], null, s19, v11, v[4:5]
	v_mov_b32_e32 v4, v5
	s_cbranch_scc1 .LBB13_54
	s_branch .LBB13_4
.LBB13_55:
	s_endpgm
	.section	.rodata,"a",@progbits
	.p2align	6, 0x0
	.amdhsa_kernel _ZN2at6native12_GLOBAL__N_120fused_dropout_kernelIffjLin1ELin1EbEEvNS_4cuda6detail10TensorInfoIKT_T1_EENS5_IS6_S8_EENS5_IT4_S8_EES8_T0_NS_15PhiloxCudaStateE
		.amdhsa_group_segment_fixed_size 0
		.amdhsa_private_segment_fixed_size 0
		.amdhsa_kernarg_size 944
		.amdhsa_user_sgpr_count 15
		.amdhsa_user_sgpr_dispatch_ptr 0
		.amdhsa_user_sgpr_queue_ptr 0
		.amdhsa_user_sgpr_kernarg_segment_ptr 1
		.amdhsa_user_sgpr_dispatch_id 0
		.amdhsa_user_sgpr_private_segment_size 0
		.amdhsa_wavefront_size32 1
		.amdhsa_uses_dynamic_stack 0
		.amdhsa_enable_private_segment 0
		.amdhsa_system_sgpr_workgroup_id_x 1
		.amdhsa_system_sgpr_workgroup_id_y 0
		.amdhsa_system_sgpr_workgroup_id_z 0
		.amdhsa_system_sgpr_workgroup_info 0
		.amdhsa_system_vgpr_workitem_id 0
		.amdhsa_next_free_vgpr 49
		.amdhsa_next_free_sgpr 34
		.amdhsa_reserve_vcc 1
		.amdhsa_float_round_mode_32 0
		.amdhsa_float_round_mode_16_64 0
		.amdhsa_float_denorm_mode_32 3
		.amdhsa_float_denorm_mode_16_64 3
		.amdhsa_dx10_clamp 1
		.amdhsa_ieee_mode 1
		.amdhsa_fp16_overflow 0
		.amdhsa_workgroup_processor_mode 1
		.amdhsa_memory_ordered 1
		.amdhsa_forward_progress 0
		.amdhsa_shared_vgpr_count 0
		.amdhsa_exception_fp_ieee_invalid_op 0
		.amdhsa_exception_fp_denorm_src 0
		.amdhsa_exception_fp_ieee_div_zero 0
		.amdhsa_exception_fp_ieee_overflow 0
		.amdhsa_exception_fp_ieee_underflow 0
		.amdhsa_exception_fp_ieee_inexact 0
		.amdhsa_exception_int_div_zero 0
	.end_amdhsa_kernel
	.section	.text._ZN2at6native12_GLOBAL__N_120fused_dropout_kernelIffjLin1ELin1EbEEvNS_4cuda6detail10TensorInfoIKT_T1_EENS5_IS6_S8_EENS5_IT4_S8_EES8_T0_NS_15PhiloxCudaStateE,"axG",@progbits,_ZN2at6native12_GLOBAL__N_120fused_dropout_kernelIffjLin1ELin1EbEEvNS_4cuda6detail10TensorInfoIKT_T1_EENS5_IS6_S8_EENS5_IT4_S8_EES8_T0_NS_15PhiloxCudaStateE,comdat
.Lfunc_end13:
	.size	_ZN2at6native12_GLOBAL__N_120fused_dropout_kernelIffjLin1ELin1EbEEvNS_4cuda6detail10TensorInfoIKT_T1_EENS5_IS6_S8_EENS5_IT4_S8_EES8_T0_NS_15PhiloxCudaStateE, .Lfunc_end13-_ZN2at6native12_GLOBAL__N_120fused_dropout_kernelIffjLin1ELin1EbEEvNS_4cuda6detail10TensorInfoIKT_T1_EENS5_IS6_S8_EENS5_IT4_S8_EES8_T0_NS_15PhiloxCudaStateE
                                        ; -- End function
	.section	.AMDGPU.csdata,"",@progbits
; Kernel info:
; codeLenInByte = 4796
; NumSgprs: 36
; NumVgprs: 49
; ScratchSize: 0
; MemoryBound: 0
; FloatMode: 240
; IeeeMode: 1
; LDSByteSize: 0 bytes/workgroup (compile time only)
; SGPRBlocks: 4
; VGPRBlocks: 6
; NumSGPRsForWavesPerEU: 36
; NumVGPRsForWavesPerEU: 49
; Occupancy: 16
; WaveLimiterHint : 1
; COMPUTE_PGM_RSRC2:SCRATCH_EN: 0
; COMPUTE_PGM_RSRC2:USER_SGPR: 15
; COMPUTE_PGM_RSRC2:TRAP_HANDLER: 0
; COMPUTE_PGM_RSRC2:TGID_X_EN: 1
; COMPUTE_PGM_RSRC2:TGID_Y_EN: 0
; COMPUTE_PGM_RSRC2:TGID_Z_EN: 0
; COMPUTE_PGM_RSRC2:TIDIG_COMP_CNT: 0
	.section	.text._ZN2at6native12_GLOBAL__N_124fused_dropout_kernel_vecIN3c104HalfEfjLi1ELi16EbEEvNS_4cuda6detail10TensorInfoIKT_T1_EENS7_IS8_SA_EENS7_IT4_SA_EESA_T0_NS_15PhiloxCudaStateE,"axG",@progbits,_ZN2at6native12_GLOBAL__N_124fused_dropout_kernel_vecIN3c104HalfEfjLi1ELi16EbEEvNS_4cuda6detail10TensorInfoIKT_T1_EENS7_IS8_SA_EENS7_IT4_SA_EESA_T0_NS_15PhiloxCudaStateE,comdat
	.globl	_ZN2at6native12_GLOBAL__N_124fused_dropout_kernel_vecIN3c104HalfEfjLi1ELi16EbEEvNS_4cuda6detail10TensorInfoIKT_T1_EENS7_IS8_SA_EENS7_IT4_SA_EESA_T0_NS_15PhiloxCudaStateE ; -- Begin function _ZN2at6native12_GLOBAL__N_124fused_dropout_kernel_vecIN3c104HalfEfjLi1ELi16EbEEvNS_4cuda6detail10TensorInfoIKT_T1_EENS7_IS8_SA_EENS7_IT4_SA_EESA_T0_NS_15PhiloxCudaStateE
	.p2align	8
	.type	_ZN2at6native12_GLOBAL__N_124fused_dropout_kernel_vecIN3c104HalfEfjLi1ELi16EbEEvNS_4cuda6detail10TensorInfoIKT_T1_EENS7_IS8_SA_EENS7_IT4_SA_EESA_T0_NS_15PhiloxCudaStateE,@function
_ZN2at6native12_GLOBAL__N_124fused_dropout_kernel_vecIN3c104HalfEfjLi1ELi16EbEEvNS_4cuda6detail10TensorInfoIKT_T1_EENS7_IS8_SA_EENS7_IT4_SA_EESA_T0_NS_15PhiloxCudaStateE: ; @_ZN2at6native12_GLOBAL__N_124fused_dropout_kernel_vecIN3c104HalfEfjLi1ELi16EbEEvNS_4cuda6detail10TensorInfoIKT_T1_EENS7_IS8_SA_EENS7_IT4_SA_EESA_T0_NS_15PhiloxCudaStateE
; %bb.0:
	s_clause 0x1
	s_load_b128 s[4:7], s[0:1], 0x290
	s_load_b32 s2, s[0:1], 0x2a8
	s_waitcnt lgkmcnt(0)
	v_dual_mov_b32 v1, s6 :: v_dual_mov_b32 v2, s7
	v_dual_mov_b32 v11, s5 :: v_dual_mov_b32 v10, s4
	s_bitcmp0_b32 s2, 0
	s_cbranch_scc1 .LBB14_2
; %bb.1:
	v_dual_mov_b32 v1, s6 :: v_dual_mov_b32 v2, s7
	v_dual_mov_b32 v3, s4 :: v_dual_mov_b32 v4, s5
	s_load_b64 s[2:3], s[0:1], 0x2a0
	flat_load_b64 v[1:2], v[1:2]
	flat_load_b64 v[10:11], v[3:4]
	s_waitcnt vmcnt(1) lgkmcnt(0)
	v_add_co_u32 v1, vcc_lo, v1, s2
	v_add_co_ci_u32_e32 v2, vcc_lo, s3, v2, vcc_lo
.LBB14_2:
	s_clause 0x1
	s_load_b32 s4, s[0:1], 0x2bc
	s_load_b64 s[16:17], s[0:1], 0x288
	s_add_u32 s2, s0, 0x2b0
	s_addc_u32 s3, s1, 0
	s_mov_b32 s5, exec_lo
	s_waitcnt lgkmcnt(0)
	s_and_b32 s4, s4, 0xffff
	s_delay_alu instid0(SALU_CYCLE_1) | instskip(NEXT) | instid1(VALU_DEP_1)
	v_mad_u64_u32 v[8:9], null, s15, s4, v[0:1]
	v_lshlrev_b32_e32 v12, 4, v8
	s_delay_alu instid0(VALU_DEP_1)
	v_cmpx_gt_u32_e64 s16, v12
	s_cbranch_execz .LBB14_45
; %bb.3:
	v_mad_u64_u32 v[3:4], null, 0xcd9e8d57, v8, 0
	v_alignbit_b32 v20, v2, v1, 2
	v_lshrrev_b32_e32 v9, 2, v2
	s_waitcnt vmcnt(0)
	v_mov_b32_e32 v16, v11
	v_add_co_u32 v22, null, 0x9e3779b9, v10
	v_mad_u64_u32 v[5:6], null, 0xd2511f53, v20, 0
	v_xor3_b32 v0, v10, v4, v9
	s_delay_alu instid0(VALU_DEP_4) | instskip(SKIP_1) | instid1(VALU_DEP_3)
	v_add_co_u32 v21, null, 0xbb67ae85, v16
	v_add_co_u32 v23, null, 0x3c6ef372, v10
	v_mad_u64_u32 v[13:14], null, 0xd2511f53, v0, 0
	v_xor_b32_e32 v0, v6, v11
	v_add_co_u32 v24, null, 0x76cf5d0a, v16
	v_add_co_u32 v25, null, 0x32370b8f, v16
	s_delay_alu instid0(VALU_DEP_3) | instskip(SKIP_3) | instid1(VALU_DEP_3)
	v_mad_u64_u32 v[6:7], null, 0xcd9e8d57, v0, 0
	v_xor3_b32 v0, v21, v14, v5
	v_add_co_u32 v26, null, 0xdaa66d2b, v10
	v_add_co_u32 v27, null, 0x78dde6e4, v10
	v_mad_u64_u32 v[4:5], null, 0xcd9e8d57, v0, 0
	v_xor3_b32 v0, v7, v22, v3
	v_add_co_u32 v28, null, 0xed9eba14, v16
	v_add_co_u32 v29, null, 0xa9066899, v16
	s_delay_alu instid0(VALU_DEP_3) | instskip(SKIP_3) | instid1(VALU_DEP_3)
	v_mad_u64_u32 v[2:3], null, 0xd2511f53, v0, 0
	v_xor3_b32 v0, v23, v5, v6
	v_div_scale_f32 v17, null, s17, s17, 1.0
	v_add_co_u32 v30, null, 0x1715609d, v10
	v_mad_u64_u32 v[5:6], null, 0xd2511f53, v0, 0
	v_xor3_b32 v0, v3, v24, v13
	s_delay_alu instid0(VALU_DEP_4) | instskip(SKIP_2) | instid1(VALU_DEP_3)
	v_rcp_f32_e32 v18, v17
	v_add_co_u32 v31, null, 0xb54cda56, v10
	v_add_co_u32 v32, null, 0x646e171e, v16
	v_mad_u64_u32 v[13:14], null, 0xcd9e8d57, v0, 0
	v_xor3_b32 v0, v25, v6, v2
	v_add_co_u32 v34, null, 0x5384540f, v10
	v_add_co_u32 v35, null, 0xf1bbcdc8, v10
	s_delay_alu instid0(VALU_DEP_3)
	v_mad_u64_u32 v[2:3], null, 0xcd9e8d57, v0, 0
	v_xor3_b32 v0, v14, v26, v4
	s_load_b32 s2, s[2:3], 0x0
	s_clause 0x2
	s_load_b64 s[18:19], s[0:1], 0x0
	s_load_b64 s[20:21], s[0:1], 0xd8
	;; [unrolled: 1-line block ×3, first 2 shown]
	v_add_nc_u32_e32 v37, 0x8ff34781, v10
	v_and_b32_e32 v39, 3, v1
	v_mad_u64_u32 v[6:7], null, 0xd2511f53, v0, 0
	v_xor3_b32 v0, v27, v3, v13
	s_mov_b32 s15, 0
	v_add_nc_u32_e32 v38, 0x96a522ad, v11
	s_delay_alu instid0(VALU_DEP_2) | instskip(NEXT) | instid1(VALU_DEP_4)
	v_mad_u64_u32 v[3:4], null, 0xd2511f53, v0, 0
	v_xor3_b32 v0, v7, v28, v5
	s_delay_alu instid0(VALU_DEP_1) | instskip(NEXT) | instid1(VALU_DEP_3)
	v_mad_u64_u32 v[13:14], null, 0xcd9e8d57, v0, 0
	v_xor3_b32 v0, v29, v4, v6
	s_waitcnt lgkmcnt(0)
	s_mul_i32 s2, s2, s4
	s_delay_alu instid0(SALU_CYCLE_1) | instskip(NEXT) | instid1(VALU_DEP_1)
	s_lshl_b32 s24, s2, 4
	v_mad_u64_u32 v[4:5], null, 0xcd9e8d57, v0, 0
	s_delay_alu instid0(VALU_DEP_3) | instskip(SKIP_1) | instid1(VALU_DEP_2)
	v_xor3_b32 v0, v14, v30, v2
	v_fma_f32 v2, -v17, v18, 1.0
	v_mad_u64_u32 v[6:7], null, 0xd2511f53, v0, 0
	s_delay_alu instid0(VALU_DEP_4) | instskip(SKIP_1) | instid1(VALU_DEP_4)
	v_xor3_b32 v0, v31, v5, v13
	v_div_scale_f32 v5, vcc_lo, 1.0, s17, 1.0
	v_fmac_f32_e32 v18, v2, v18
	s_delay_alu instid0(VALU_DEP_3) | instskip(SKIP_1) | instid1(VALU_DEP_3)
	v_mad_u64_u32 v[13:14], null, 0xd2511f53, v0, 0
	v_xor3_b32 v0, v7, v32, v3
	v_mul_f32_e32 v7, v5, v18
	v_add_co_u32 v33, null, 0x1fd5c5a3, v16
	v_add_co_u32 v36, null, 0xdb3d7428, v16
	s_delay_alu instid0(VALU_DEP_4) | instskip(NEXT) | instid1(VALU_DEP_3)
	v_mad_u64_u32 v[2:3], null, 0xcd9e8d57, v0, 0
	v_xor3_b32 v0, v33, v14, v6
	v_fma_f32 v6, -v17, v7, v5
	s_delay_alu instid0(VALU_DEP_2) | instskip(NEXT) | instid1(VALU_DEP_4)
	v_mad_u64_u32 v[14:15], null, 0xcd9e8d57, v0, 0
	v_xor3_b32 v0, v3, v34, v4
	s_delay_alu instid0(VALU_DEP_1) | instskip(NEXT) | instid1(VALU_DEP_3)
	v_mad_u64_u32 v[3:4], null, 0xd2511f53, v0, 0
	v_xor3_b32 v0, v35, v15, v2
	s_delay_alu instid0(VALU_DEP_1) | instskip(NEXT) | instid1(VALU_DEP_3)
	v_mad_u64_u32 v[15:16], null, 0xd2511f53, v0, 0
	v_xor3_b32 v2, v4, v36, v13
	v_mov_b32_e32 v13, 0
	v_fmac_f32_e32 v7, v6, v18
	s_delay_alu instid0(VALU_DEP_2) | instskip(NEXT) | instid1(VALU_DEP_2)
	v_mov_b32_e32 v19, v13
	v_fma_f32 v4, -v17, v7, v5
	v_mad_u64_u32 v[5:6], null, 0xcd9e8d57, v2, 0
	s_delay_alu instid0(VALU_DEP_2) | instskip(SKIP_1) | instid1(VALU_DEP_3)
	v_div_fmas_f32 v0, v4, v18, v7
	v_mov_b32_e32 v7, v15
	v_xor3_b32 v4, v14, v6, v37
	s_delay_alu instid0(VALU_DEP_3)
	v_div_fixup_f32 v40, v0, s17, 1.0
	v_xor3_b32 v6, v16, v3, v38
	s_branch .LBB14_6
.LBB14_4:                               ;   in Loop: Header=BB14_6 Depth=1
	s_or_b32 exec_lo, exec_lo, s1
	s_delay_alu instid0(VALU_DEP_1)
	v_mov_b32_e32 v7, v48
.LBB14_5:                               ;   in Loop: Header=BB14_6 Depth=1
	s_or_b32 exec_lo, exec_lo, s0
	v_lshlrev_b64 v[47:48], 1, v[12:13]
	v_cvt_f32_u32_e32 v18, v46
	v_cvt_f32_u32_e32 v44, v44
	;; [unrolled: 1-line block ×5, first 2 shown]
	v_add_co_u32 v55, vcc_lo, s18, v47
	v_add_co_ci_u32_e32 v56, vcc_lo, s19, v48, vcc_lo
	v_cvt_f32_u32_e32 v45, v45
	v_cvt_f32_u32_e32 v43, v43
	;; [unrolled: 1-line block ×3, first 2 shown]
	s_clause 0x1
	global_load_b128 v[51:54], v[55:56], off
	global_load_b128 v[55:58], v[55:56], off offset:16
	v_cvt_f32_u32_e32 v41, v41
	v_cvt_f32_u32_e32 v1, v1
	;; [unrolled: 1-line block ×6, first 2 shown]
	v_dual_fmaak_f32 v18, 0x2f800000, v18, 0x2f800000 :: v_dual_fmaak_f32 v43, 0x2f800000, v43, 0x2f800000
	v_dual_fmaak_f32 v44, 0x2f800000, v44, 0x2f800000 :: v_dual_fmaak_f32 v59, 0x2f800000, v14, 0x2f800000
	;; [unrolled: 1-line block ×3, first 2 shown]
	v_add_co_u32 v14, vcc_lo, s20, v47
	v_dual_fmaak_f32 v50, 0x2f800000, v15, 0x2f800000 :: v_dual_fmaak_f32 v45, 0x2f800000, v45, 0x2f800000
	v_add_co_ci_u32_e32 v15, vcc_lo, s21, v48, vcc_lo
	v_cvt_f32_u32_e32 v49, v49
	v_dual_fmaak_f32 v42, 0x2f800000, v42, 0x2f800000 :: v_dual_fmaak_f32 v41, 0x2f800000, v41, 0x2f800000
	v_dual_fmaak_f32 v2, 0x2f800000, v2, 0x2f800000 :: v_dual_fmaak_f32 v3, 0x2f800000, v3, 0x2f800000
	;; [unrolled: 1-line block ×3, first 2 shown]
	v_cmp_gt_f32_e32 vcc_lo, s17, v0
	v_cmp_gt_f32_e64 s8, s17, v18
	v_cmp_gt_f32_e64 s10, s17, v44
	;; [unrolled: 1-line block ×4, first 2 shown]
	v_cndmask_b32_e64 v0, 0, 1.0, vcc_lo
	v_fmaak_f32 v49, 0x2f800000, v49, 0x2f800000
	v_cmp_gt_f32_e64 s4, s17, v43
	v_cmp_gt_f32_e64 s6, s17, v41
	;; [unrolled: 1-line block ×5, first 2 shown]
	v_cndmask_b32_e64 v67, 0, 1, s8
	v_cndmask_b32_e64 v71, 0, 1, s10
	v_cmp_gt_f32_e64 s1, s17, v2
	v_cmp_gt_f32_e64 s3, s17, v59
	;; [unrolled: 1-line block ×5, first 2 shown]
	v_cndmask_b32_e64 v2, 0, 1, s0
	v_cndmask_b32_e64 v45, 0, 1, s2
	;; [unrolled: 1-line block ×7, first 2 shown]
	v_lshlrev_b16 v67, 8, v67
	v_lshlrev_b16 v71, 8, v71
	v_cndmask_b32_e64 v1, 0, 1, vcc_lo
	v_cndmask_b32_e64 v3, 0, 1, s1
	v_cndmask_b32_e64 v46, 0, 1, s3
	;; [unrolled: 1-line block ×4, first 2 shown]
	v_lshlrev_b16 v69, 8, v69
	v_lshlrev_b16 v49, 8, v49
	;; [unrolled: 1-line block ×5, first 2 shown]
	v_or_b32_e32 v66, v66, v67
	v_or_b32_e32 v67, v68, v71
	v_cndmask_b32_e64 v59, 0, 1.0, s3
	v_cndmask_b32_e64 v43, 0, 1.0, s9
	v_or_b32_e32 v69, v72, v69
	v_or_b32_e32 v46, v46, v49
	v_or_b32_e32 v49, v64, v65
	v_or_b32_e32 v1, v1, v2
	v_or_b32_e32 v2, v3, v45
	v_and_b32_e32 v64, 0xffff, v66
	v_cvt_f32_u32_e32 v17, v17
	v_cndmask_b32_e64 v47, 0, 1.0, s0
	v_cndmask_b32_e64 v42, 0, 1.0, s5
	;; [unrolled: 1-line block ×4, first 2 shown]
	v_lshlrev_b32_e32 v49, 16, v49
	v_cndmask_b32_e64 v48, 0, 1.0, s1
	v_and_b32_e32 v66, 0xffff, v1
	v_cndmask_b32_e64 v73, 0, 1, s13
	v_cndmask_b32_e64 v41, 0, 1.0, s7
	v_cndmask_b32_e64 v60, 0, 1.0, s2
	;; [unrolled: 1-line block ×7, first 2 shown]
	s_waitcnt vmcnt(0)
	v_lshrrev_b32_e32 v68, 16, v56
	v_cvt_f32_f16_e32 v56, v56
	v_lshlrev_b32_e32 v65, 16, v67
	s_delay_alu instid0(VALU_DEP_2) | instskip(NEXT) | instid1(VALU_DEP_2)
	v_dual_mul_f32 v56, v43, v56 :: v_dual_lshlrev_b32 v67, 16, v2
	v_or_b32_e32 v2, v64, v65
	v_lshrrev_b32_e32 v64, 16, v54
	v_cvt_f32_f16_e32 v54, v54
	v_and_b32_e32 v3, 0xffff, v69
	v_lshrrev_b32_e32 v69, 16, v57
	v_cvt_f32_f16_e32 v57, v57
	v_and_b32_e32 v46, 0xffff, v46
	v_lshrrev_b32_e32 v65, 16, v55
	v_cvt_f32_f16_e32 v55, v55
	s_delay_alu instid0(VALU_DEP_4) | instskip(NEXT) | instid1(VALU_DEP_4)
	v_mul_f32_e32 v7, v7, v57
	v_or_b32_e32 v1, v46, v49
	v_lshrrev_b32_e32 v46, 16, v52
	v_cvt_f32_f16_e32 v52, v52
	v_fmaak_f32 v17, 0x2f800000, v17, 0x2f800000
	v_lshrrev_b32_e32 v49, 16, v53
	v_cvt_f32_f16_e32 v53, v53
	v_cvt_f32_f16_e32 v46, v46
	v_mul_f32_e32 v48, v48, v52
	v_cmp_gt_f32_e64 s14, s17, v17
	v_mul_f32_e32 v52, v42, v54
	v_cvt_f32_f16_e32 v49, v49
	v_cvt_f32_f16_e32 v57, v69
	v_fma_mixlo_f16 v42, v40, v48, 0
	v_cndmask_b32_e64 v70, 0, 1, s14
	v_cndmask_b32_e64 v17, 0, 1.0, s14
	v_dual_mul_f32 v60, v60, v46 :: v_dual_mul_f32 v49, v61, v49
	v_mul_f32_e32 v54, v41, v55
	s_delay_alu instid0(VALU_DEP_4) | instskip(SKIP_3) | instid1(VALU_DEP_4)
	v_lshlrev_b16 v70, 8, v70
	v_cvt_f32_f16_e32 v55, v65
	v_fma_mixlo_f16 v46, v40, v56, 0
	v_fma_mixhi_f16 v42, v40, v60, 0
	v_or_b32_e32 v70, v73, v70
	s_delay_alu instid0(VALU_DEP_1) | instskip(SKIP_2) | instid1(VALU_DEP_3)
	v_dual_mul_f32 v18, v18, v55 :: v_dual_lshlrev_b32 v45, 16, v70
	v_lshrrev_b32_e32 v70, 16, v58
	v_cvt_f32_f16_e32 v58, v58
	v_or_b32_e32 v3, v3, v45
	v_lshrrev_b32_e32 v45, 16, v51
	v_cvt_f32_f16_e32 v51, v51
	s_delay_alu instid0(VALU_DEP_4) | instskip(SKIP_1) | instid1(VALU_DEP_4)
	v_mul_f32_e32 v58, v44, v58
	v_fma_mixlo_f16 v44, v40, v52, 0
	v_cvt_f32_f16_e32 v45, v45
	s_delay_alu instid0(VALU_DEP_4) | instskip(SKIP_3) | instid1(VALU_DEP_4)
	v_dual_mul_f32 v0, v0, v51 :: v_dual_mul_f32 v51, v59, v53
	v_cvt_f32_f16_e32 v53, v64
	v_cvt_f32_f16_e32 v59, v68
	;; [unrolled: 1-line block ×3, first 2 shown]
	v_fma_mixlo_f16 v41, v40, v0, 0
	v_mul_f32_e32 v0, v47, v45
	v_fma_mixlo_f16 v43, v40, v51, 0
	v_mul_f32_e32 v51, v62, v53
	;; [unrolled: 2-line block ×5, first 2 shown]
	v_fma_mixhi_f16 v44, v40, v51, 0
	v_fma_mixhi_f16 v43, v40, v49, 0
	;; [unrolled: 1-line block ×4, first 2 shown]
	v_mov_b32_e32 v7, v16
	v_fma_mixhi_f16 v48, v40, v17, 0
	v_fma_mixhi_f16 v46, v40, v50, 0
	;; [unrolled: 1-line block ×3, first 2 shown]
	v_or_b32_e32 v0, v66, v67
	s_clause 0x1
	global_store_b128 v[14:15], v[41:44], off
	global_store_b128 v[14:15], v[45:48], off offset:16
	global_store_b128 v12, v[0:3], s[22:23]
	v_add_nc_u32_e32 v12, s24, v12
	s_waitcnt_vscnt null, 0x0
	s_barrier
	buffer_gl0_inv
	v_cmp_le_u32_e32 vcc_lo, s16, v12
	s_or_b32 s15, vcc_lo, s15
	s_delay_alu instid0(SALU_CYCLE_1)
	s_and_not1_b32 exec_lo, exec_lo, s15
	s_cbranch_execz .LBB14_45
.LBB14_6:                               ; =>This Inner Loop Header: Depth=1
	v_add_co_u32 v2, vcc_lo, v20, 1
	s_delay_alu instid0(VALU_DEP_1) | instskip(SKIP_2) | instid1(VALU_DEP_1)
	v_cndmask_b32_e64 v0, 0, 1, vcc_lo
	v_add_co_ci_u32_e32 v16, vcc_lo, 0, v9, vcc_lo
	s_mov_b32 s0, exec_lo
	v_cmp_eq_u32_e32 vcc_lo, 0, v16
	s_delay_alu instid0(VALU_DEP_3) | instskip(SKIP_1) | instid1(VALU_DEP_2)
	v_cndmask_b32_e32 v3, 0, v0, vcc_lo
	v_mad_u64_u32 v[0:1], null, 0xd2511f53, v2, 0
	v_add_nc_u32_e32 v18, v3, v8
	s_delay_alu instid0(VALU_DEP_2) | instskip(NEXT) | instid1(VALU_DEP_2)
	v_xor_b32_e32 v8, v1, v11
	v_cmp_eq_u32_e32 vcc_lo, 0, v18
	v_cndmask_b32_e32 v3, 0, v3, vcc_lo
	v_mad_u64_u32 v[1:2], null, 0xcd9e8d57, v18, 0
	s_delay_alu instid0(VALU_DEP_2) | instskip(NEXT) | instid1(VALU_DEP_2)
	v_add_nc_u32_e32 v19, v3, v19
	v_xor3_b32 v14, v2, v10, v16
	s_delay_alu instid0(VALU_DEP_2) | instskip(NEXT) | instid1(VALU_DEP_1)
	v_xor_b32_e32 v8, v19, v8
	v_mad_u64_u32 v[2:3], null, 0xcd9e8d57, v8, 0
	s_delay_alu instid0(VALU_DEP_3) | instskip(NEXT) | instid1(VALU_DEP_2)
	v_mad_u64_u32 v[8:9], null, 0xd2511f53, v14, 0
	v_xor3_b32 v3, v22, v3, v1
	s_delay_alu instid0(VALU_DEP_2) | instskip(NEXT) | instid1(VALU_DEP_2)
	v_xor3_b32 v9, v21, v9, v0
	v_mad_u64_u32 v[0:1], null, 0xd2511f53, v3, 0
	s_delay_alu instid0(VALU_DEP_2) | instskip(NEXT) | instid1(VALU_DEP_2)
	v_mad_u64_u32 v[14:15], null, 0xcd9e8d57, v9, 0
	v_xor3_b32 v3, v24, v1, v8
	s_delay_alu instid0(VALU_DEP_2) | instskip(NEXT) | instid1(VALU_DEP_2)
	v_xor3_b32 v15, v23, v15, v2
	v_mad_u64_u32 v[1:2], null, 0xcd9e8d57, v3, 0
	s_delay_alu instid0(VALU_DEP_2) | instskip(NEXT) | instid1(VALU_DEP_2)
	;; [unrolled: 6-line block ×8, first 2 shown]
	v_mad_u64_u32 v[14:15], null, 0xd2511f53, v2, 0
	v_xor3_b32 v17, v9, v41, v37
	s_delay_alu instid0(VALU_DEP_2)
	v_xor3_b32 v9, v15, v0, v38
                                        ; implicit-def: $vgpr0_vgpr1_vgpr2_vgpr3
	v_cmpx_lt_i32_e32 1, v39
	s_xor_b32 s0, exec_lo, s0
	s_cbranch_execz .LBB14_12
; %bb.7:                                ;   in Loop: Header=BB14_6 Depth=1
	s_mov_b32 s1, exec_lo
                                        ; implicit-def: $vgpr0_vgpr1_vgpr2_vgpr3
	v_cmpx_lt_i32_e32 2, v39
	s_xor_b32 s1, exec_lo, s1
; %bb.8:                                ;   in Loop: Header=BB14_6 Depth=1
	v_dual_mov_b32 v6, v7 :: v_dual_mov_b32 v7, v17
	s_delay_alu instid0(VALU_DEP_1)
	v_dual_mov_b32 v0, v6 :: v_dual_mov_b32 v1, v7
	v_dual_mov_b32 v2, v8 :: v_dual_mov_b32 v3, v9
                                        ; implicit-def: $vgpr4_vgpr5_vgpr6_vgpr7
; %bb.9:                                ;   in Loop: Header=BB14_6 Depth=1
	s_and_not1_saveexec_b32 s1, s1
; %bb.10:                               ;   in Loop: Header=BB14_6 Depth=1
	v_dual_mov_b32 v0, v6 :: v_dual_mov_b32 v1, v7
	v_dual_mov_b32 v2, v17 :: v_dual_mov_b32 v3, v8
; %bb.11:                               ;   in Loop: Header=BB14_6 Depth=1
	s_or_b32 exec_lo, exec_lo, s1
                                        ; implicit-def: $vgpr4_vgpr5_vgpr6_vgpr7
.LBB14_12:                              ;   in Loop: Header=BB14_6 Depth=1
	s_and_not1_saveexec_b32 s0, s0
	s_cbranch_execz .LBB14_16
; %bb.13:                               ;   in Loop: Header=BB14_6 Depth=1
	s_mov_b32 s1, exec_lo
	v_cmpx_eq_u32_e32 1, v39
; %bb.14:                               ;   in Loop: Header=BB14_6 Depth=1
	v_dual_mov_b32 v4, v5 :: v_dual_mov_b32 v5, v6
	v_dual_mov_b32 v6, v7 :: v_dual_mov_b32 v7, v17
; %bb.15:                               ;   in Loop: Header=BB14_6 Depth=1
	s_or_b32 exec_lo, exec_lo, s1
	s_delay_alu instid0(VALU_DEP_2) | instskip(NEXT) | instid1(VALU_DEP_2)
	v_dual_mov_b32 v0, v4 :: v_dual_mov_b32 v1, v5
	v_dual_mov_b32 v2, v6 :: v_dual_mov_b32 v3, v7
.LBB14_16:                              ;   in Loop: Header=BB14_6 Depth=1
	s_or_b32 exec_lo, exec_lo, s0
	v_add_nc_u32_e32 v6, 2, v20
	s_mov_b32 s0, exec_lo
	s_delay_alu instid0(VALU_DEP_1) | instskip(SKIP_2) | instid1(VALU_DEP_1)
	v_cmp_eq_u32_e32 vcc_lo, 0, v6
	v_cndmask_b32_e64 v4, 0, 1, vcc_lo
	v_add_co_ci_u32_e32 v7, vcc_lo, 0, v16, vcc_lo
	v_cmp_eq_u32_e32 vcc_lo, 0, v7
	s_delay_alu instid0(VALU_DEP_3) | instskip(SKIP_1) | instid1(VALU_DEP_2)
	v_cndmask_b32_e32 v15, 0, v4, vcc_lo
	v_mad_u64_u32 v[4:5], null, 0xd2511f53, v6, 0
	v_add_nc_u32_e32 v18, v15, v18
	s_delay_alu instid0(VALU_DEP_2) | instskip(NEXT) | instid1(VALU_DEP_2)
	v_xor_b32_e32 v5, v5, v11
	v_cmp_eq_u32_e32 vcc_lo, 0, v18
	v_cndmask_b32_e32 v6, 0, v15, vcc_lo
	v_mad_u64_u32 v[15:16], null, 0xcd9e8d57, v18, 0
	s_delay_alu instid0(VALU_DEP_2) | instskip(NEXT) | instid1(VALU_DEP_2)
	v_add_nc_u32_e32 v19, v6, v19
	v_xor3_b32 v16, v16, v10, v7
	s_delay_alu instid0(VALU_DEP_2) | instskip(NEXT) | instid1(VALU_DEP_2)
	v_xor_b32_e32 v43, v19, v5
	v_mad_u64_u32 v[5:6], null, 0xd2511f53, v16, 0
	s_delay_alu instid0(VALU_DEP_2) | instskip(NEXT) | instid1(VALU_DEP_2)
	v_mad_u64_u32 v[41:42], null, 0xcd9e8d57, v43, 0
	v_xor3_b32 v4, v21, v6, v4
	s_delay_alu instid0(VALU_DEP_2) | instskip(NEXT) | instid1(VALU_DEP_2)
	v_xor3_b32 v6, v22, v42, v15
	v_mad_u64_u32 v[15:16], null, 0xcd9e8d57, v4, 0
	s_delay_alu instid0(VALU_DEP_2) | instskip(NEXT) | instid1(VALU_DEP_2)
	v_mad_u64_u32 v[42:43], null, 0xd2511f53, v6, 0
	v_xor3_b32 v6, v23, v16, v41
	s_delay_alu instid0(VALU_DEP_2) | instskip(NEXT) | instid1(VALU_DEP_2)
	v_xor3_b32 v16, v24, v43, v5
	;; [unrolled: 6-line block ×7, first 2 shown]
	v_mad_u64_u32 v[42:43], null, 0xcd9e8d57, v6, 0
	s_delay_alu instid0(VALU_DEP_2) | instskip(NEXT) | instid1(VALU_DEP_2)
	v_mad_u64_u32 v[44:45], null, 0xd2511f53, v4, 0
	v_xor3_b32 v4, v35, v43, v41
                                        ; implicit-def: $vgpr41
                                        ; implicit-def: $vgpr43
	s_delay_alu instid0(VALU_DEP_2) | instskip(NEXT) | instid1(VALU_DEP_2)
	v_xor3_b32 v6, v36, v45, v5
	v_mad_u64_u32 v[15:16], null, 0xd2511f53, v4, 0
	s_delay_alu instid0(VALU_DEP_2) | instskip(NEXT) | instid1(VALU_DEP_2)
	v_mad_u64_u32 v[4:5], null, 0xcd9e8d57, v6, 0
	v_xor3_b32 v6, v16, v44, v38
	s_delay_alu instid0(VALU_DEP_2)
	v_xor3_b32 v5, v5, v42, v37
                                        ; implicit-def: $vgpr42
	v_cmpx_lt_i32_e32 1, v39
	s_xor_b32 s0, exec_lo, s0
	s_cbranch_execz .LBB14_22
; %bb.17:                               ;   in Loop: Header=BB14_6 Depth=1
	s_mov_b32 s1, exec_lo
	v_cmpx_lt_i32_e32 2, v39
	s_xor_b32 s1, exec_lo, s1
; %bb.18:                               ;   in Loop: Header=BB14_6 Depth=1
                                        ; implicit-def: $vgpr9
; %bb.19:                               ;   in Loop: Header=BB14_6 Depth=1
	s_delay_alu instid0(SALU_CYCLE_1)
	s_or_saveexec_b32 s1, s1
	v_dual_mov_b32 v41, v6 :: v_dual_mov_b32 v42, v4
	v_mov_b32_e32 v43, v5
	s_xor_b32 exec_lo, exec_lo, s1
; %bb.20:                               ;   in Loop: Header=BB14_6 Depth=1
	v_dual_mov_b32 v41, v4 :: v_dual_mov_b32 v42, v5
	v_dual_mov_b32 v43, v14 :: v_dual_mov_b32 v14, v9
; %bb.21:                               ;   in Loop: Header=BB14_6 Depth=1
	s_or_b32 exec_lo, exec_lo, s1
                                        ; implicit-def: $vgpr9
                                        ; implicit-def: $vgpr17
.LBB14_22:                              ;   in Loop: Header=BB14_6 Depth=1
	s_and_not1_saveexec_b32 s0, s0
	s_cbranch_execz .LBB14_26
; %bb.23:                               ;   in Loop: Header=BB14_6 Depth=1
	s_delay_alu instid0(VALU_DEP_1)
	v_dual_mov_b32 v41, v14 :: v_dual_mov_b32 v42, v9
	v_mov_b32_e32 v43, v8
	s_mov_b32 s1, exec_lo
	v_cmpx_eq_u32_e32 1, v39
; %bb.24:                               ;   in Loop: Header=BB14_6 Depth=1
	v_dual_mov_b32 v41, v5 :: v_dual_mov_b32 v42, v14
	v_mov_b32_e32 v43, v9
	v_mov_b32_e32 v17, v8
; %bb.25:                               ;   in Loop: Header=BB14_6 Depth=1
	s_or_b32 exec_lo, exec_lo, s1
	s_delay_alu instid0(VALU_DEP_1)
	v_mov_b32_e32 v14, v17
.LBB14_26:                              ;   in Loop: Header=BB14_6 Depth=1
	s_or_b32 exec_lo, exec_lo, s0
	v_add_nc_u32_e32 v17, 3, v20
	s_mov_b32 s0, exec_lo
	s_delay_alu instid0(VALU_DEP_1) | instskip(SKIP_2) | instid1(VALU_DEP_1)
	v_cmp_eq_u32_e32 vcc_lo, 0, v17
	v_cndmask_b32_e64 v8, 0, 1, vcc_lo
	v_add_co_ci_u32_e32 v9, vcc_lo, 0, v7, vcc_lo
	v_cmp_eq_u32_e32 vcc_lo, 0, v9
	s_delay_alu instid0(VALU_DEP_3) | instskip(SKIP_1) | instid1(VALU_DEP_2)
	v_cndmask_b32_e32 v44, 0, v8, vcc_lo
	v_mad_u64_u32 v[7:8], null, 0xd2511f53, v17, 0
	v_add_nc_u32_e32 v16, v44, v18
	s_delay_alu instid0(VALU_DEP_2) | instskip(NEXT) | instid1(VALU_DEP_2)
	v_xor_b32_e32 v8, v8, v11
	v_cmp_eq_u32_e32 vcc_lo, 0, v16
	v_cndmask_b32_e32 v17, 0, v44, vcc_lo
	v_mad_u64_u32 v[44:45], null, 0xcd9e8d57, v16, 0
	s_delay_alu instid0(VALU_DEP_2) | instskip(NEXT) | instid1(VALU_DEP_2)
	v_add_nc_u32_e32 v17, v17, v19
	v_xor3_b32 v45, v45, v10, v9
	s_delay_alu instid0(VALU_DEP_2) | instskip(NEXT) | instid1(VALU_DEP_2)
	v_xor_b32_e32 v8, v17, v8
	v_mad_u64_u32 v[18:19], null, 0xd2511f53, v45, 0
	s_delay_alu instid0(VALU_DEP_2) | instskip(NEXT) | instid1(VALU_DEP_2)
	v_mad_u64_u32 v[45:46], null, 0xcd9e8d57, v8, 0
	v_xor3_b32 v19, v21, v19, v7
	s_delay_alu instid0(VALU_DEP_2) | instskip(NEXT) | instid1(VALU_DEP_2)
	v_xor3_b32 v44, v22, v46, v44
	v_mad_u64_u32 v[7:8], null, 0xcd9e8d57, v19, 0
	s_delay_alu instid0(VALU_DEP_2) | instskip(NEXT) | instid1(VALU_DEP_2)
	v_mad_u64_u32 v[46:47], null, 0xd2511f53, v44, 0
	v_xor3_b32 v8, v23, v8, v45
	s_delay_alu instid0(VALU_DEP_2) | instskip(NEXT) | instid1(VALU_DEP_2)
	v_xor3_b32 v47, v24, v47, v18
	;; [unrolled: 6-line block ×7, first 2 shown]
	v_mad_u64_u32 v[46:47], null, 0xcd9e8d57, v8, 0
	s_delay_alu instid0(VALU_DEP_2) | instskip(NEXT) | instid1(VALU_DEP_2)
	v_mad_u64_u32 v[48:49], null, 0xd2511f53, v7, 0
	v_xor3_b32 v19, v35, v47, v45
                                        ; implicit-def: $vgpr45
	s_delay_alu instid0(VALU_DEP_2) | instskip(NEXT) | instid1(VALU_DEP_2)
	v_xor3_b32 v44, v36, v49, v18
	v_mad_u64_u32 v[7:8], null, 0xd2511f53, v19, 0
	s_delay_alu instid0(VALU_DEP_2) | instskip(NEXT) | instid1(VALU_DEP_2)
	v_mad_u64_u32 v[18:19], null, 0xcd9e8d57, v44, 0
                                        ; implicit-def: $vgpr44
	v_xor3_b32 v47, v8, v48, v38
	s_delay_alu instid0(VALU_DEP_2)
	v_xor3_b32 v48, v19, v46, v37
                                        ; implicit-def: $vgpr46
	v_cmpx_lt_i32_e32 1, v39
	s_xor_b32 s0, exec_lo, s0
	s_cbranch_execz .LBB14_32
; %bb.27:                               ;   in Loop: Header=BB14_6 Depth=1
	s_mov_b32 s1, exec_lo
	v_cmpx_lt_i32_e32 2, v39
	s_xor_b32 s1, exec_lo, s1
; %bb.28:                               ;   in Loop: Header=BB14_6 Depth=1
                                        ; implicit-def: $vgpr6
; %bb.29:                               ;   in Loop: Header=BB14_6 Depth=1
	s_delay_alu instid0(SALU_CYCLE_1)
	s_or_saveexec_b32 s1, s1
	v_dual_mov_b32 v44, v47 :: v_dual_mov_b32 v45, v18
	v_mov_b32_e32 v46, v48
	s_xor_b32 exec_lo, exec_lo, s1
; %bb.30:                               ;   in Loop: Header=BB14_6 Depth=1
	v_dual_mov_b32 v44, v18 :: v_dual_mov_b32 v45, v48
	v_dual_mov_b32 v46, v15 :: v_dual_mov_b32 v15, v6
; %bb.31:                               ;   in Loop: Header=BB14_6 Depth=1
	s_or_b32 exec_lo, exec_lo, s1
                                        ; implicit-def: $vgpr6
                                        ; implicit-def: $vgpr4
                                        ; implicit-def: $vgpr5
.LBB14_32:                              ;   in Loop: Header=BB14_6 Depth=1
	s_and_not1_saveexec_b32 s0, s0
	s_cbranch_execz .LBB14_36
; %bb.33:                               ;   in Loop: Header=BB14_6 Depth=1
	s_delay_alu instid0(VALU_DEP_1)
	v_dual_mov_b32 v44, v15 :: v_dual_mov_b32 v45, v6
	v_mov_b32_e32 v46, v4
	s_mov_b32 s1, exec_lo
	v_cmpx_eq_u32_e32 1, v39
; %bb.34:                               ;   in Loop: Header=BB14_6 Depth=1
	v_dual_mov_b32 v44, v48 :: v_dual_mov_b32 v45, v15
	v_dual_mov_b32 v46, v6 :: v_dual_mov_b32 v5, v4
; %bb.35:                               ;   in Loop: Header=BB14_6 Depth=1
	s_or_b32 exec_lo, exec_lo, s1
	s_delay_alu instid0(VALU_DEP_1)
	v_mov_b32_e32 v15, v5
.LBB14_36:                              ;   in Loop: Header=BB14_6 Depth=1
	s_or_b32 exec_lo, exec_lo, s0
	v_add_nc_u32_e32 v20, 4, v20
	s_mov_b32 s0, exec_lo
	s_delay_alu instid0(VALU_DEP_1) | instskip(SKIP_2) | instid1(VALU_DEP_1)
	v_cmp_eq_u32_e32 vcc_lo, 0, v20
	v_cndmask_b32_e64 v4, 0, 1, vcc_lo
	v_add_co_ci_u32_e32 v9, vcc_lo, 0, v9, vcc_lo
	v_cmp_eq_u32_e32 vcc_lo, 0, v9
	s_delay_alu instid0(VALU_DEP_3) | instskip(NEXT) | instid1(VALU_DEP_1)
	v_cndmask_b32_e32 v4, 0, v4, vcc_lo
	v_add_nc_u32_e32 v8, v4, v16
	s_delay_alu instid0(VALU_DEP_1) | instskip(SKIP_1) | instid1(VALU_DEP_1)
	v_cmp_eq_u32_e32 vcc_lo, 0, v8
	v_cndmask_b32_e32 v4, 0, v4, vcc_lo
	v_add_nc_u32_e32 v19, v4, v17
	v_mad_u64_u32 v[4:5], null, 0xd2511f53, v20, 0
	v_mad_u64_u32 v[16:17], null, 0xcd9e8d57, v8, 0
	s_delay_alu instid0(VALU_DEP_2) | instskip(NEXT) | instid1(VALU_DEP_2)
	v_xor_b32_e32 v5, v5, v11
	v_xor3_b32 v17, v17, v10, v9
	s_delay_alu instid0(VALU_DEP_2) | instskip(NEXT) | instid1(VALU_DEP_1)
	v_xor_b32_e32 v49, v19, v5
	v_mad_u64_u32 v[5:6], null, 0xcd9e8d57, v49, 0
	s_delay_alu instid0(VALU_DEP_3) | instskip(NEXT) | instid1(VALU_DEP_2)
	v_mad_u64_u32 v[49:50], null, 0xd2511f53, v17, 0
	v_xor3_b32 v6, v22, v6, v16
	s_delay_alu instid0(VALU_DEP_2) | instskip(NEXT) | instid1(VALU_DEP_2)
	v_xor3_b32 v4, v21, v50, v4
	v_mad_u64_u32 v[16:17], null, 0xd2511f53, v6, 0
	s_delay_alu instid0(VALU_DEP_2) | instskip(NEXT) | instid1(VALU_DEP_2)
	v_mad_u64_u32 v[50:51], null, 0xcd9e8d57, v4, 0
	v_xor3_b32 v6, v24, v17, v49
	s_delay_alu instid0(VALU_DEP_2) | instskip(NEXT) | instid1(VALU_DEP_2)
	v_xor3_b32 v17, v23, v51, v5
	v_mad_u64_u32 v[4:5], null, 0xcd9e8d57, v6, 0
	s_delay_alu instid0(VALU_DEP_2) | instskip(NEXT) | instid1(VALU_DEP_2)
	;; [unrolled: 6-line block ×8, first 2 shown]
	v_mad_u64_u32 v[16:17], null, 0xd2511f53, v49, 0
                                        ; implicit-def: $vgpr49
	v_xor3_b32 v4, v6, v52, v37
	s_delay_alu instid0(VALU_DEP_2)
	v_xor3_b32 v6, v17, v50, v38
                                        ; implicit-def: $vgpr17
                                        ; implicit-def: $vgpr50
	v_cmpx_lt_i32_e32 1, v39
	s_xor_b32 s0, exec_lo, s0
	s_cbranch_execz .LBB14_42
; %bb.37:                               ;   in Loop: Header=BB14_6 Depth=1
	s_mov_b32 s1, exec_lo
	v_cmpx_lt_i32_e32 2, v39
	s_xor_b32 s1, exec_lo, s1
; %bb.38:                               ;   in Loop: Header=BB14_6 Depth=1
                                        ; implicit-def: $vgpr47
; %bb.39:                               ;   in Loop: Header=BB14_6 Depth=1
	s_delay_alu instid0(SALU_CYCLE_1)
	s_or_saveexec_b32 s1, s1
	v_dual_mov_b32 v17, v6 :: v_dual_mov_b32 v50, v4
	v_mov_b32_e32 v49, v5
	s_xor_b32 exec_lo, exec_lo, s1
; %bb.40:                               ;   in Loop: Header=BB14_6 Depth=1
	v_dual_mov_b32 v17, v5 :: v_dual_mov_b32 v50, v7
	v_mov_b32_e32 v49, v4
	v_mov_b32_e32 v7, v47
; %bb.41:                               ;   in Loop: Header=BB14_6 Depth=1
	s_or_b32 exec_lo, exec_lo, s1
                                        ; implicit-def: $vgpr47
                                        ; implicit-def: $vgpr18
                                        ; implicit-def: $vgpr48
.LBB14_42:                              ;   in Loop: Header=BB14_6 Depth=1
	s_and_not1_saveexec_b32 s0, s0
	s_cbranch_execz .LBB14_5
; %bb.43:                               ;   in Loop: Header=BB14_6 Depth=1
	s_delay_alu instid0(VALU_DEP_1)
	v_dual_mov_b32 v17, v7 :: v_dual_mov_b32 v50, v18
	v_mov_b32_e32 v49, v47
	s_mov_b32 s1, exec_lo
	v_cmpx_eq_u32_e32 1, v39
	s_cbranch_execz .LBB14_4
; %bb.44:                               ;   in Loop: Header=BB14_6 Depth=1
	v_dual_mov_b32 v17, v4 :: v_dual_mov_b32 v50, v47
	v_dual_mov_b32 v49, v7 :: v_dual_mov_b32 v48, v18
	s_branch .LBB14_4
.LBB14_45:
	s_endpgm
	.section	.rodata,"a",@progbits
	.p2align	6, 0x0
	.amdhsa_kernel _ZN2at6native12_GLOBAL__N_124fused_dropout_kernel_vecIN3c104HalfEfjLi1ELi16EbEEvNS_4cuda6detail10TensorInfoIKT_T1_EENS7_IS8_SA_EENS7_IT4_SA_EESA_T0_NS_15PhiloxCudaStateE
		.amdhsa_group_segment_fixed_size 0
		.amdhsa_private_segment_fixed_size 0
		.amdhsa_kernarg_size 944
		.amdhsa_user_sgpr_count 15
		.amdhsa_user_sgpr_dispatch_ptr 0
		.amdhsa_user_sgpr_queue_ptr 0
		.amdhsa_user_sgpr_kernarg_segment_ptr 1
		.amdhsa_user_sgpr_dispatch_id 0
		.amdhsa_user_sgpr_private_segment_size 0
		.amdhsa_wavefront_size32 1
		.amdhsa_uses_dynamic_stack 0
		.amdhsa_enable_private_segment 0
		.amdhsa_system_sgpr_workgroup_id_x 1
		.amdhsa_system_sgpr_workgroup_id_y 0
		.amdhsa_system_sgpr_workgroup_id_z 0
		.amdhsa_system_sgpr_workgroup_info 0
		.amdhsa_system_vgpr_workitem_id 0
		.amdhsa_next_free_vgpr 74
		.amdhsa_next_free_sgpr 25
		.amdhsa_reserve_vcc 1
		.amdhsa_float_round_mode_32 0
		.amdhsa_float_round_mode_16_64 0
		.amdhsa_float_denorm_mode_32 3
		.amdhsa_float_denorm_mode_16_64 3
		.amdhsa_dx10_clamp 1
		.amdhsa_ieee_mode 1
		.amdhsa_fp16_overflow 0
		.amdhsa_workgroup_processor_mode 1
		.amdhsa_memory_ordered 1
		.amdhsa_forward_progress 0
		.amdhsa_shared_vgpr_count 0
		.amdhsa_exception_fp_ieee_invalid_op 0
		.amdhsa_exception_fp_denorm_src 0
		.amdhsa_exception_fp_ieee_div_zero 0
		.amdhsa_exception_fp_ieee_overflow 0
		.amdhsa_exception_fp_ieee_underflow 0
		.amdhsa_exception_fp_ieee_inexact 0
		.amdhsa_exception_int_div_zero 0
	.end_amdhsa_kernel
	.section	.text._ZN2at6native12_GLOBAL__N_124fused_dropout_kernel_vecIN3c104HalfEfjLi1ELi16EbEEvNS_4cuda6detail10TensorInfoIKT_T1_EENS7_IS8_SA_EENS7_IT4_SA_EESA_T0_NS_15PhiloxCudaStateE,"axG",@progbits,_ZN2at6native12_GLOBAL__N_124fused_dropout_kernel_vecIN3c104HalfEfjLi1ELi16EbEEvNS_4cuda6detail10TensorInfoIKT_T1_EENS7_IS8_SA_EENS7_IT4_SA_EESA_T0_NS_15PhiloxCudaStateE,comdat
.Lfunc_end14:
	.size	_ZN2at6native12_GLOBAL__N_124fused_dropout_kernel_vecIN3c104HalfEfjLi1ELi16EbEEvNS_4cuda6detail10TensorInfoIKT_T1_EENS7_IS8_SA_EENS7_IT4_SA_EESA_T0_NS_15PhiloxCudaStateE, .Lfunc_end14-_ZN2at6native12_GLOBAL__N_124fused_dropout_kernel_vecIN3c104HalfEfjLi1ELi16EbEEvNS_4cuda6detail10TensorInfoIKT_T1_EENS7_IS8_SA_EENS7_IT4_SA_EESA_T0_NS_15PhiloxCudaStateE
                                        ; -- End function
	.section	.AMDGPU.csdata,"",@progbits
; Kernel info:
; codeLenInByte = 4872
; NumSgprs: 27
; NumVgprs: 74
; ScratchSize: 0
; MemoryBound: 0
; FloatMode: 240
; IeeeMode: 1
; LDSByteSize: 0 bytes/workgroup (compile time only)
; SGPRBlocks: 3
; VGPRBlocks: 9
; NumSGPRsForWavesPerEU: 27
; NumVGPRsForWavesPerEU: 74
; Occupancy: 16
; WaveLimiterHint : 1
; COMPUTE_PGM_RSRC2:SCRATCH_EN: 0
; COMPUTE_PGM_RSRC2:USER_SGPR: 15
; COMPUTE_PGM_RSRC2:TRAP_HANDLER: 0
; COMPUTE_PGM_RSRC2:TGID_X_EN: 1
; COMPUTE_PGM_RSRC2:TGID_Y_EN: 0
; COMPUTE_PGM_RSRC2:TGID_Z_EN: 0
; COMPUTE_PGM_RSRC2:TIDIG_COMP_CNT: 0
	.section	.text._ZN2at6native12_GLOBAL__N_124fused_dropout_kernel_vecIN3c104HalfEfjLi1ELi8EbEEvNS_4cuda6detail10TensorInfoIKT_T1_EENS7_IS8_SA_EENS7_IT4_SA_EESA_T0_NS_15PhiloxCudaStateE,"axG",@progbits,_ZN2at6native12_GLOBAL__N_124fused_dropout_kernel_vecIN3c104HalfEfjLi1ELi8EbEEvNS_4cuda6detail10TensorInfoIKT_T1_EENS7_IS8_SA_EENS7_IT4_SA_EESA_T0_NS_15PhiloxCudaStateE,comdat
	.globl	_ZN2at6native12_GLOBAL__N_124fused_dropout_kernel_vecIN3c104HalfEfjLi1ELi8EbEEvNS_4cuda6detail10TensorInfoIKT_T1_EENS7_IS8_SA_EENS7_IT4_SA_EESA_T0_NS_15PhiloxCudaStateE ; -- Begin function _ZN2at6native12_GLOBAL__N_124fused_dropout_kernel_vecIN3c104HalfEfjLi1ELi8EbEEvNS_4cuda6detail10TensorInfoIKT_T1_EENS7_IS8_SA_EENS7_IT4_SA_EESA_T0_NS_15PhiloxCudaStateE
	.p2align	8
	.type	_ZN2at6native12_GLOBAL__N_124fused_dropout_kernel_vecIN3c104HalfEfjLi1ELi8EbEEvNS_4cuda6detail10TensorInfoIKT_T1_EENS7_IS8_SA_EENS7_IT4_SA_EESA_T0_NS_15PhiloxCudaStateE,@function
_ZN2at6native12_GLOBAL__N_124fused_dropout_kernel_vecIN3c104HalfEfjLi1ELi8EbEEvNS_4cuda6detail10TensorInfoIKT_T1_EENS7_IS8_SA_EENS7_IT4_SA_EESA_T0_NS_15PhiloxCudaStateE: ; @_ZN2at6native12_GLOBAL__N_124fused_dropout_kernel_vecIN3c104HalfEfjLi1ELi8EbEEvNS_4cuda6detail10TensorInfoIKT_T1_EENS7_IS8_SA_EENS7_IT4_SA_EESA_T0_NS_15PhiloxCudaStateE
; %bb.0:
	s_clause 0x1
	s_load_b128 s[4:7], s[0:1], 0x290
	s_load_b32 s2, s[0:1], 0x2a8
	s_waitcnt lgkmcnt(0)
	v_dual_mov_b32 v3, s6 :: v_dual_mov_b32 v4, s7
	v_dual_mov_b32 v11, s5 :: v_dual_mov_b32 v10, s4
	s_bitcmp0_b32 s2, 0
	s_cbranch_scc1 .LBB15_2
; %bb.1:
	v_dual_mov_b32 v1, s6 :: v_dual_mov_b32 v2, s7
	v_dual_mov_b32 v3, s4 :: v_dual_mov_b32 v4, s5
	s_load_b64 s[2:3], s[0:1], 0x2a0
	flat_load_b64 v[1:2], v[1:2]
	flat_load_b64 v[10:11], v[3:4]
	s_waitcnt vmcnt(1) lgkmcnt(0)
	v_add_co_u32 v3, vcc_lo, v1, s2
	v_add_co_ci_u32_e32 v4, vcc_lo, s3, v2, vcc_lo
.LBB15_2:
	s_clause 0x1
	s_load_b32 s4, s[0:1], 0x2bc
	s_load_b64 s[8:9], s[0:1], 0x288
	s_add_u32 s2, s0, 0x2b0
	s_addc_u32 s3, s1, 0
	s_mov_b32 s5, exec_lo
	s_waitcnt lgkmcnt(0)
	s_and_b32 s4, s4, 0xffff
	s_delay_alu instid0(SALU_CYCLE_1) | instskip(NEXT) | instid1(VALU_DEP_1)
	v_mad_u64_u32 v[14:15], null, s15, s4, v[0:1]
	v_lshlrev_b32_e32 v12, 3, v14
	s_delay_alu instid0(VALU_DEP_1)
	v_cmpx_gt_u32_e64 s8, v12
	s_cbranch_execz .LBB15_25
; %bb.3:
	v_mad_u64_u32 v[0:1], null, 0xcd9e8d57, v14, 0
	v_alignbit_b32 v18, v4, v3, 2
	v_lshrrev_b32_e32 v39, 2, v4
	s_waitcnt vmcnt(0)
	v_mov_b32_e32 v13, v11
	v_add_co_u32 v20, null, 0x9e3779b9, v10
	v_mad_u64_u32 v[4:5], null, 0xd2511f53, v18, 0
	v_xor3_b32 v6, v10, v1, v39
	s_delay_alu instid0(VALU_DEP_4) | instskip(SKIP_1) | instid1(VALU_DEP_3)
	v_add_co_u32 v19, null, 0xbb67ae85, v13
	v_add_co_u32 v21, null, 0x3c6ef372, v10
	v_mad_u64_u32 v[1:2], null, 0xd2511f53, v6, 0
	v_xor_b32_e32 v7, v5, v11
	v_add_co_u32 v22, null, 0x76cf5d0a, v13
	v_add_co_u32 v23, null, 0x32370b8f, v13
	s_delay_alu instid0(VALU_DEP_3) | instskip(SKIP_3) | instid1(VALU_DEP_3)
	v_mad_u64_u32 v[5:6], null, 0xcd9e8d57, v7, 0
	v_xor3_b32 v2, v19, v2, v4
	v_add_co_u32 v24, null, 0xdaa66d2b, v10
	v_add_co_u32 v25, null, 0x78dde6e4, v10
	v_mad_u64_u32 v[7:8], null, 0xcd9e8d57, v2, 0
	v_xor3_b32 v0, v6, v20, v0
	v_add_co_u32 v26, null, 0xed9eba14, v13
	v_add_co_u32 v27, null, 0xa9066899, v13
	s_delay_alu instid0(VALU_DEP_3) | instskip(SKIP_3) | instid1(VALU_DEP_3)
	v_mad_u64_u32 v[15:16], null, 0xd2511f53, v0, 0
	v_xor3_b32 v0, v21, v8, v5
	v_div_scale_f32 v17, null, s9, s9, 1.0
	v_add_co_u32 v29, null, 0xb54cda56, v10
	v_mad_u64_u32 v[4:5], null, 0xd2511f53, v0, 0
	v_xor3_b32 v2, v16, v22, v1
	s_delay_alu instid0(VALU_DEP_4) | instskip(SKIP_2) | instid1(VALU_DEP_3)
	v_rcp_f32_e32 v35, v17
	v_add_co_u32 v28, null, 0x1715609d, v10
	v_add_co_u32 v32, null, 0x5384540f, v10
	v_mad_u64_u32 v[0:1], null, 0xcd9e8d57, v2, 0
	v_xor3_b32 v2, v23, v5, v15
	s_load_b32 s2, s[2:3], 0x0
	v_add_co_u32 v33, null, 0xf1bbcdc8, v10
	s_clause 0x2
	s_load_b64 s[10:11], s[0:1], 0x0
	s_load_b64 s[12:13], s[0:1], 0xd8
	;; [unrolled: 1-line block ×3, first 2 shown]
	v_mad_u64_u32 v[5:6], null, 0xcd9e8d57, v2, 0
	v_xor3_b32 v7, v1, v24, v7
	v_and_b32_e32 v37, 3, v3
	s_mov_b32 s7, 0
	s_delay_alu instid0(VALU_DEP_2) | instskip(NEXT) | instid1(VALU_DEP_4)
	v_mad_u64_u32 v[1:2], null, 0xd2511f53, v7, 0
	v_xor3_b32 v0, v25, v6, v0
	s_delay_alu instid0(VALU_DEP_1) | instskip(NEXT) | instid1(VALU_DEP_3)
	v_mad_u64_u32 v[6:7], null, 0xd2511f53, v0, 0
	v_xor3_b32 v0, v2, v26, v4
	s_waitcnt lgkmcnt(0)
	s_mul_i32 s2, s2, s4
	s_delay_alu instid0(SALU_CYCLE_1) | instskip(NEXT) | instid1(VALU_DEP_1)
	s_lshl_b32 s16, s2, 3
	v_mad_u64_u32 v[8:9], null, 0xcd9e8d57, v0, 0
	s_delay_alu instid0(VALU_DEP_3) | instskip(NEXT) | instid1(VALU_DEP_1)
	v_xor3_b32 v2, v27, v7, v1
	v_mad_u64_u32 v[0:1], null, 0xcd9e8d57, v2, 0
	s_delay_alu instid0(VALU_DEP_3) | instskip(SKIP_1) | instid1(VALU_DEP_2)
	v_xor3_b32 v2, v9, v28, v5
	v_div_scale_f32 v9, vcc_lo, 1.0, s9, 1.0
	v_mad_u64_u32 v[4:5], null, 0xd2511f53, v2, 0
	s_delay_alu instid0(VALU_DEP_4) | instskip(SKIP_1) | instid1(VALU_DEP_2)
	v_xor3_b32 v7, v29, v1, v8
	v_fma_f32 v8, -v17, v35, 1.0
	v_mad_u64_u32 v[1:2], null, 0xd2511f53, v7, 0
	s_delay_alu instid0(VALU_DEP_2) | instskip(NEXT) | instid1(VALU_DEP_1)
	v_fmac_f32_e32 v35, v8, v35
	v_mul_f32_e32 v36, v9, v35
	v_add_co_u32 v30, null, 0x646e171e, v13
	v_add_co_u32 v31, null, 0x1fd5c5a3, v13
	;; [unrolled: 1-line block ×3, first 2 shown]
	s_delay_alu instid0(VALU_DEP_3) | instskip(NEXT) | instid1(VALU_DEP_3)
	v_xor3_b32 v7, v5, v30, v6
	v_xor3_b32 v2, v31, v2, v4
	v_mov_b32_e32 v13, 0
	s_delay_alu instid0(VALU_DEP_3) | instskip(NEXT) | instid1(VALU_DEP_3)
	v_mad_u64_u32 v[5:6], null, 0xcd9e8d57, v7, 0
	v_mad_u64_u32 v[7:8], null, 0xcd9e8d57, v2, 0
	v_fma_f32 v2, -v17, v36, v9
	s_delay_alu instid0(VALU_DEP_4) | instskip(NEXT) | instid1(VALU_DEP_4)
	v_mov_b32_e32 v40, v13
	v_xor3_b32 v0, v6, v32, v0
	s_delay_alu instid0(VALU_DEP_3) | instskip(NEXT) | instid1(VALU_DEP_2)
	v_fmac_f32_e32 v36, v2, v35
	v_mad_u64_u32 v[15:16], null, 0xd2511f53, v0, 0
	v_xor3_b32 v0, v33, v8, v5
	s_delay_alu instid0(VALU_DEP_3) | instskip(NEXT) | instid1(VALU_DEP_2)
	v_fma_f32 v8, -v17, v36, v9
	v_mad_u64_u32 v[4:5], null, 0xd2511f53, v0, 0
	s_delay_alu instid0(VALU_DEP_4) | instskip(NEXT) | instid1(VALU_DEP_3)
	v_xor3_b32 v6, v16, v34, v1
	v_div_fmas_f32 v0, v8, v35, v36
	v_add_nc_u32_e32 v35, 0x8ff34781, v10
	v_add_nc_u32_e32 v36, 0x96a522ad, v11
	s_delay_alu instid0(VALU_DEP_4) | instskip(NEXT) | instid1(VALU_DEP_4)
	v_mad_u64_u32 v[1:2], null, 0xcd9e8d57, v6, 0
	v_div_fixup_f32 v38, v0, s9, 1.0
	v_mov_b32_e32 v3, v4
	s_delay_alu instid0(VALU_DEP_3)
	v_xor3_b32 v0, v7, v2, v35
	v_xor3_b32 v2, v5, v15, v36
	s_branch .LBB15_6
.LBB15_4:                               ;   in Loop: Header=BB15_6 Depth=1
	s_or_b32 exec_lo, exec_lo, s1
	s_delay_alu instid0(VALU_DEP_1)
	v_mov_b32_e32 v15, v41
.LBB15_5:                               ;   in Loop: Header=BB15_6 Depth=1
	s_or_b32 exec_lo, exec_lo, s0
	v_lshlrev_b64 v[8:9], 1, v[12:13]
	v_cvt_f32_u32_e32 v6, v6
	v_cvt_f32_u32_e32 v7, v7
	;; [unrolled: 1-line block ×5, first 2 shown]
	v_add_co_u32 v43, vcc_lo, s10, v8
	v_add_co_ci_u32_e32 v44, vcc_lo, s11, v9, vcc_lo
	v_dual_fmaak_f32 v6, 0x2f800000, v6, 0x2f800000 :: v_dual_fmaak_f32 v7, 0x2f800000, v7, 0x2f800000
	v_dual_fmaak_f32 v4, 0x2f800000, v4, 0x2f800000 :: v_dual_fmaak_f32 v5, 0x2f800000, v5, 0x2f800000
	global_load_b128 v[43:46], v[43:44], off
	v_cmp_gt_f32_e64 s1, s9, v6
	v_cmp_gt_f32_e64 s2, s9, v7
	v_cmp_gt_f32_e32 vcc_lo, s9, v4
	v_cvt_f32_u32_e32 v15, v15
	v_cvt_f32_u32_e32 v3, v3
	v_cndmask_b32_e64 v48, 0, 1, s1
	v_cndmask_b32_e64 v51, 0, 1, s2
	v_cndmask_b32_e64 v4, 0, 1.0, vcc_lo
	v_fmaak_f32 v41, 0x2f800000, v41, 0x2f800000
	v_cvt_f32_u32_e32 v17, v17
	v_cmp_gt_f32_e64 s0, s9, v5
	v_lshlrev_b16 v51, 8, v51
	v_cndmask_b32_e64 v5, 0, 1.0, s1
	v_cmp_gt_f32_e64 s4, s9, v41
	v_fmaak_f32 v17, 0x2f800000, v17, 0x2f800000
	v_cndmask_b32_e64 v7, 0, 1, s0
	v_or_b32_e32 v48, v48, v51
	v_fmaak_f32 v15, 0x2f800000, v15, 0x2f800000
	v_cndmask_b32_e64 v49, 0, 1, s4
	v_cmp_gt_f32_e64 s5, s9, v17
	v_lshlrev_b16 v7, 8, v7
	v_lshlrev_b32_e32 v48, 16, v48
	v_cmp_gt_f32_e64 s3, s9, v15
	v_lshlrev_b16 v49, 8, v49
	v_cndmask_b32_e64 v53, 0, 1, s5
	v_cndmask_b32_e64 v17, 0, 1.0, s5
	v_cndmask_b32_e64 v42, 0, 1.0, s0
	v_cndmask_b32_e64 v52, 0, 1, s3
	v_cndmask_b32_e64 v6, 0, 1.0, s3
	v_cndmask_b32_e64 v47, 0, 1.0, s2
	;; [unrolled: 1-line block ×3, first 2 shown]
	s_delay_alu instid0(VALU_DEP_4)
	v_or_b32_e32 v49, v52, v49
	s_waitcnt vmcnt(0)
	v_lshrrev_b32_e32 v52, 16, v45
	v_cvt_f32_f16_e32 v45, v45
	v_fmaak_f32 v3, 0x2f800000, v3, 0x2f800000
	v_lshrrev_b32_e32 v51, 16, v44
	v_cvt_f32_f16_e32 v44, v44
	s_delay_alu instid0(VALU_DEP_4) | instskip(NEXT) | instid1(VALU_DEP_4)
	v_mul_f32_e32 v6, v6, v45
	v_cmp_gt_f32_e64 s6, s9, v3
	v_cndmask_b32_e64 v3, 0, 1, vcc_lo
	v_cvt_f32_f16_e32 v45, v52
	v_mul_f32_e32 v5, v5, v44
	v_cvt_f32_f16_e32 v44, v51
	v_cndmask_b32_e64 v50, 0, 1, s6
	v_or_b32_e32 v3, v3, v7
	v_add_co_u32 v7, vcc_lo, s12, v8
	v_add_co_ci_u32_e32 v8, vcc_lo, s13, v9, vcc_lo
	s_delay_alu instid0(VALU_DEP_4) | instskip(SKIP_3) | instid1(VALU_DEP_4)
	v_lshlrev_b16 v50, 8, v50
	v_and_b32_e32 v9, 0xffff, v49
	v_cndmask_b32_e64 v41, 0, 1.0, s6
	v_mul_f32_e32 v15, v15, v45
	v_or_b32_e32 v50, v53, v50
	v_lshrrev_b32_e32 v53, 16, v46
	v_cvt_f32_f16_e32 v46, v46
	s_delay_alu instid0(VALU_DEP_3)
	v_lshlrev_b32_e32 v49, 16, v50
	v_and_b32_e32 v50, 0xffff, v3
	v_lshrrev_b32_e32 v3, 16, v43
	v_cvt_f32_f16_e32 v43, v43
	v_mul_f32_e32 v17, v17, v46
	v_cvt_f32_f16_e32 v46, v53
	s_delay_alu instid0(VALU_DEP_3) | instskip(SKIP_1) | instid1(VALU_DEP_2)
	v_mul_f32_e32 v4, v4, v43
	v_cvt_f32_f16_e32 v43, v3
	v_fma_mixlo_f16 v3, v38, v4, 0
	v_fma_mixlo_f16 v4, v38, v5, 0
	;; [unrolled: 1-line block ×4, first 2 shown]
	v_mul_f32_e32 v17, v41, v46
	v_mul_f32_e32 v41, v47, v44
	;; [unrolled: 1-line block ×3, first 2 shown]
	v_fma_mixhi_f16 v5, v38, v15, 0
	v_or_b32_e32 v42, v9, v49
	v_fma_mixhi_f16 v6, v38, v17, 0
	v_fma_mixhi_f16 v4, v38, v41, 0
	;; [unrolled: 1-line block ×3, first 2 shown]
	v_or_b32_e32 v41, v50, v48
	global_store_b128 v[7:8], v[3:6], off
	global_store_b64 v12, v[41:42], s[14:15]
	v_dual_mov_b32 v3, v16 :: v_dual_add_nc_u32 v12, s16, v12
	s_waitcnt_vscnt null, 0x0
	s_barrier
	buffer_gl0_inv
	v_cmp_le_u32_e32 vcc_lo, s8, v12
	s_or_b32 s7, vcc_lo, s7
	s_delay_alu instid0(SALU_CYCLE_1)
	s_and_not1_b32 exec_lo, exec_lo, s7
	s_cbranch_execz .LBB15_25
.LBB15_6:                               ; =>This Inner Loop Header: Depth=1
	v_add_co_u32 v6, vcc_lo, v18, 1
	s_delay_alu instid0(VALU_DEP_1) | instskip(SKIP_2) | instid1(VALU_DEP_1)
	v_cndmask_b32_e64 v4, 0, 1, vcc_lo
	v_add_co_ci_u32_e32 v17, vcc_lo, 0, v39, vcc_lo
	s_mov_b32 s0, exec_lo
	v_cmp_eq_u32_e32 vcc_lo, 0, v17
	s_delay_alu instid0(VALU_DEP_3) | instskip(SKIP_1) | instid1(VALU_DEP_2)
	v_cndmask_b32_e32 v7, 0, v4, vcc_lo
	v_mad_u64_u32 v[4:5], null, 0xd2511f53, v6, 0
	v_add_nc_u32_e32 v14, v7, v14
	s_delay_alu instid0(VALU_DEP_2) | instskip(NEXT) | instid1(VALU_DEP_2)
	v_xor_b32_e32 v8, v5, v11
	v_cmp_eq_u32_e32 vcc_lo, 0, v14
	v_cndmask_b32_e32 v7, 0, v7, vcc_lo
	v_mad_u64_u32 v[5:6], null, 0xcd9e8d57, v14, 0
	s_delay_alu instid0(VALU_DEP_2) | instskip(NEXT) | instid1(VALU_DEP_2)
	v_add_nc_u32_e32 v40, v7, v40
	v_xor3_b32 v15, v6, v10, v17
	s_delay_alu instid0(VALU_DEP_2) | instskip(NEXT) | instid1(VALU_DEP_1)
	v_xor_b32_e32 v8, v40, v8
	v_mad_u64_u32 v[6:7], null, 0xcd9e8d57, v8, 0
	s_delay_alu instid0(VALU_DEP_3) | instskip(NEXT) | instid1(VALU_DEP_2)
	v_mad_u64_u32 v[8:9], null, 0xd2511f53, v15, 0
	v_xor3_b32 v7, v20, v7, v5
	s_delay_alu instid0(VALU_DEP_2) | instskip(NEXT) | instid1(VALU_DEP_2)
	v_xor3_b32 v9, v19, v9, v4
	v_mad_u64_u32 v[4:5], null, 0xd2511f53, v7, 0
	s_delay_alu instid0(VALU_DEP_2) | instskip(NEXT) | instid1(VALU_DEP_2)
	v_mad_u64_u32 v[15:16], null, 0xcd9e8d57, v9, 0
	v_xor3_b32 v7, v22, v5, v8
	s_delay_alu instid0(VALU_DEP_2) | instskip(NEXT) | instid1(VALU_DEP_2)
	v_xor3_b32 v9, v21, v16, v6
	v_mad_u64_u32 v[5:6], null, 0xcd9e8d57, v7, 0
	s_delay_alu instid0(VALU_DEP_2) | instskip(NEXT) | instid1(VALU_DEP_2)
	;; [unrolled: 6-line block ×8, first 2 shown]
	v_mad_u64_u32 v[15:16], null, 0xd2511f53, v4, 0
	v_xor3_b32 v41, v9, v41, v35
	s_delay_alu instid0(VALU_DEP_2)
	v_xor3_b32 v9, v16, v5, v36
                                        ; implicit-def: $vgpr4_vgpr5_vgpr6_vgpr7
	v_cmpx_lt_i32_e32 1, v37
	s_xor_b32 s0, exec_lo, s0
	s_cbranch_execz .LBB15_12
; %bb.7:                                ;   in Loop: Header=BB15_6 Depth=1
	s_mov_b32 s1, exec_lo
                                        ; implicit-def: $vgpr4_vgpr5_vgpr6_vgpr7
	v_cmpx_lt_i32_e32 2, v37
	s_xor_b32 s1, exec_lo, s1
; %bb.8:                                ;   in Loop: Header=BB15_6 Depth=1
	v_dual_mov_b32 v6, v3 :: v_dual_mov_b32 v7, v41
                                        ; implicit-def: $vgpr0_vgpr1_vgpr2_vgpr3
	s_delay_alu instid0(VALU_DEP_1) | instskip(NEXT) | instid1(VALU_DEP_2)
	v_mov_b32_e32 v4, v6
	v_dual_mov_b32 v5, v7 :: v_dual_mov_b32 v6, v8
	v_mov_b32_e32 v7, v9
; %bb.9:                                ;   in Loop: Header=BB15_6 Depth=1
	s_and_not1_saveexec_b32 s1, s1
; %bb.10:                               ;   in Loop: Header=BB15_6 Depth=1
	v_dual_mov_b32 v4, v2 :: v_dual_mov_b32 v5, v3
	v_dual_mov_b32 v6, v41 :: v_dual_mov_b32 v7, v8
; %bb.11:                               ;   in Loop: Header=BB15_6 Depth=1
	s_or_b32 exec_lo, exec_lo, s1
                                        ; implicit-def: $vgpr0_vgpr1_vgpr2_vgpr3
.LBB15_12:                              ;   in Loop: Header=BB15_6 Depth=1
	s_and_not1_saveexec_b32 s0, s0
	s_cbranch_execz .LBB15_16
; %bb.13:                               ;   in Loop: Header=BB15_6 Depth=1
	s_mov_b32 s1, exec_lo
	v_cmpx_eq_u32_e32 1, v37
; %bb.14:                               ;   in Loop: Header=BB15_6 Depth=1
	v_dual_mov_b32 v0, v1 :: v_dual_mov_b32 v1, v2
	v_dual_mov_b32 v2, v3 :: v_dual_mov_b32 v3, v41
; %bb.15:                               ;   in Loop: Header=BB15_6 Depth=1
	s_or_b32 exec_lo, exec_lo, s1
	s_delay_alu instid0(VALU_DEP_1) | instskip(NEXT) | instid1(VALU_DEP_3)
	v_dual_mov_b32 v7, v3 :: v_dual_mov_b32 v6, v2
	v_dual_mov_b32 v5, v1 :: v_dual_mov_b32 v4, v0
.LBB15_16:                              ;   in Loop: Header=BB15_6 Depth=1
	s_or_b32 exec_lo, exec_lo, s0
	v_add_nc_u32_e32 v18, 2, v18
	s_mov_b32 s0, exec_lo
	s_delay_alu instid0(VALU_DEP_1) | instskip(SKIP_2) | instid1(VALU_DEP_1)
	v_cmp_eq_u32_e32 vcc_lo, 0, v18
	v_cndmask_b32_e64 v0, 0, 1, vcc_lo
	v_add_co_ci_u32_e32 v39, vcc_lo, 0, v17, vcc_lo
	v_cmp_eq_u32_e32 vcc_lo, 0, v39
	s_delay_alu instid0(VALU_DEP_3) | instskip(NEXT) | instid1(VALU_DEP_1)
	v_cndmask_b32_e32 v0, 0, v0, vcc_lo
	v_add_nc_u32_e32 v14, v0, v14
	s_delay_alu instid0(VALU_DEP_1) | instskip(SKIP_2) | instid1(VALU_DEP_2)
	v_cmp_eq_u32_e32 vcc_lo, 0, v14
	v_mad_u64_u32 v[2:3], null, 0xcd9e8d57, v14, 0
	v_cndmask_b32_e32 v0, 0, v0, vcc_lo
	v_xor3_b32 v3, v3, v10, v39
	s_delay_alu instid0(VALU_DEP_2) | instskip(SKIP_1) | instid1(VALU_DEP_3)
	v_add_nc_u32_e32 v40, v0, v40
	v_mad_u64_u32 v[0:1], null, 0xd2511f53, v18, 0
	v_mad_u64_u32 v[42:43], null, 0xd2511f53, v3, 0
	s_delay_alu instid0(VALU_DEP_2) | instskip(NEXT) | instid1(VALU_DEP_1)
	v_xor_b32_e32 v1, v1, v11
	v_xor_b32_e32 v1, v40, v1
	s_delay_alu instid0(VALU_DEP_1) | instskip(NEXT) | instid1(VALU_DEP_1)
	v_mad_u64_u32 v[16:17], null, 0xcd9e8d57, v1, 0
	v_xor3_b32 v2, v20, v17, v2
	v_xor3_b32 v17, v19, v43, v0
	s_delay_alu instid0(VALU_DEP_2) | instskip(NEXT) | instid1(VALU_DEP_2)
	v_mad_u64_u32 v[0:1], null, 0xd2511f53, v2, 0
	v_mad_u64_u32 v[2:3], null, 0xcd9e8d57, v17, 0
	s_delay_alu instid0(VALU_DEP_2) | instskip(NEXT) | instid1(VALU_DEP_2)
	v_xor3_b32 v1, v22, v1, v42
	v_xor3_b32 v3, v21, v3, v16
	s_delay_alu instid0(VALU_DEP_2) | instskip(NEXT) | instid1(VALU_DEP_2)
	v_mad_u64_u32 v[16:17], null, 0xcd9e8d57, v1, 0
	v_mad_u64_u32 v[42:43], null, 0xd2511f53, v3, 0
	s_delay_alu instid0(VALU_DEP_2) | instskip(NEXT) | instid1(VALU_DEP_2)
	;; [unrolled: 6-line block ×7, first 2 shown]
	v_xor3_b32 v3, v34, v44, v42
	v_xor3_b32 v42, v33, v1, v16
	s_delay_alu instid0(VALU_DEP_2) | instskip(NEXT) | instid1(VALU_DEP_2)
	v_mad_u64_u32 v[1:2], null, 0xcd9e8d57, v3, 0
	v_mad_u64_u32 v[16:17], null, 0xd2511f53, v42, 0
                                        ; implicit-def: $vgpr3
                                        ; implicit-def: $vgpr42
	s_delay_alu instid0(VALU_DEP_2) | instskip(NEXT) | instid1(VALU_DEP_2)
	v_xor3_b32 v0, v2, v0, v35
	v_xor3_b32 v2, v17, v43, v36
                                        ; implicit-def: $vgpr17
	v_cmpx_lt_i32_e32 1, v37
	s_xor_b32 s0, exec_lo, s0
	s_cbranch_execz .LBB15_22
; %bb.17:                               ;   in Loop: Header=BB15_6 Depth=1
	s_mov_b32 s1, exec_lo
	v_cmpx_lt_i32_e32 2, v37
	s_xor_b32 s1, exec_lo, s1
; %bb.18:                               ;   in Loop: Header=BB15_6 Depth=1
                                        ; implicit-def: $vgpr9
; %bb.19:                               ;   in Loop: Header=BB15_6 Depth=1
	s_delay_alu instid0(SALU_CYCLE_1)
	s_or_saveexec_b32 s1, s1
	v_dual_mov_b32 v3, v2 :: v_dual_mov_b32 v42, v0
	v_mov_b32_e32 v17, v1
	s_xor_b32 exec_lo, exec_lo, s1
; %bb.20:                               ;   in Loop: Header=BB15_6 Depth=1
	v_dual_mov_b32 v3, v1 :: v_dual_mov_b32 v42, v15
	v_mov_b32_e32 v17, v0
	v_mov_b32_e32 v15, v9
; %bb.21:                               ;   in Loop: Header=BB15_6 Depth=1
	s_or_b32 exec_lo, exec_lo, s1
                                        ; implicit-def: $vgpr9
                                        ; implicit-def: $vgpr41
.LBB15_22:                              ;   in Loop: Header=BB15_6 Depth=1
	s_and_not1_saveexec_b32 s0, s0
	s_cbranch_execz .LBB15_5
; %bb.23:                               ;   in Loop: Header=BB15_6 Depth=1
	s_delay_alu instid0(VALU_DEP_1)
	v_dual_mov_b32 v3, v15 :: v_dual_mov_b32 v42, v8
	v_mov_b32_e32 v17, v9
	s_mov_b32 s1, exec_lo
	v_cmpx_eq_u32_e32 1, v37
	s_cbranch_execz .LBB15_4
; %bb.24:                               ;   in Loop: Header=BB15_6 Depth=1
	v_dual_mov_b32 v3, v0 :: v_dual_mov_b32 v42, v9
	v_mov_b32_e32 v17, v15
	v_mov_b32_e32 v41, v8
	s_branch .LBB15_4
.LBB15_25:
	s_endpgm
	.section	.rodata,"a",@progbits
	.p2align	6, 0x0
	.amdhsa_kernel _ZN2at6native12_GLOBAL__N_124fused_dropout_kernel_vecIN3c104HalfEfjLi1ELi8EbEEvNS_4cuda6detail10TensorInfoIKT_T1_EENS7_IS8_SA_EENS7_IT4_SA_EESA_T0_NS_15PhiloxCudaStateE
		.amdhsa_group_segment_fixed_size 0
		.amdhsa_private_segment_fixed_size 0
		.amdhsa_kernarg_size 944
		.amdhsa_user_sgpr_count 15
		.amdhsa_user_sgpr_dispatch_ptr 0
		.amdhsa_user_sgpr_queue_ptr 0
		.amdhsa_user_sgpr_kernarg_segment_ptr 1
		.amdhsa_user_sgpr_dispatch_id 0
		.amdhsa_user_sgpr_private_segment_size 0
		.amdhsa_wavefront_size32 1
		.amdhsa_uses_dynamic_stack 0
		.amdhsa_enable_private_segment 0
		.amdhsa_system_sgpr_workgroup_id_x 1
		.amdhsa_system_sgpr_workgroup_id_y 0
		.amdhsa_system_sgpr_workgroup_id_z 0
		.amdhsa_system_sgpr_workgroup_info 0
		.amdhsa_system_vgpr_workitem_id 0
		.amdhsa_next_free_vgpr 54
		.amdhsa_next_free_sgpr 17
		.amdhsa_reserve_vcc 1
		.amdhsa_float_round_mode_32 0
		.amdhsa_float_round_mode_16_64 0
		.amdhsa_float_denorm_mode_32 3
		.amdhsa_float_denorm_mode_16_64 3
		.amdhsa_dx10_clamp 1
		.amdhsa_ieee_mode 1
		.amdhsa_fp16_overflow 0
		.amdhsa_workgroup_processor_mode 1
		.amdhsa_memory_ordered 1
		.amdhsa_forward_progress 0
		.amdhsa_shared_vgpr_count 0
		.amdhsa_exception_fp_ieee_invalid_op 0
		.amdhsa_exception_fp_denorm_src 0
		.amdhsa_exception_fp_ieee_div_zero 0
		.amdhsa_exception_fp_ieee_overflow 0
		.amdhsa_exception_fp_ieee_underflow 0
		.amdhsa_exception_fp_ieee_inexact 0
		.amdhsa_exception_int_div_zero 0
	.end_amdhsa_kernel
	.section	.text._ZN2at6native12_GLOBAL__N_124fused_dropout_kernel_vecIN3c104HalfEfjLi1ELi8EbEEvNS_4cuda6detail10TensorInfoIKT_T1_EENS7_IS8_SA_EENS7_IT4_SA_EESA_T0_NS_15PhiloxCudaStateE,"axG",@progbits,_ZN2at6native12_GLOBAL__N_124fused_dropout_kernel_vecIN3c104HalfEfjLi1ELi8EbEEvNS_4cuda6detail10TensorInfoIKT_T1_EENS7_IS8_SA_EENS7_IT4_SA_EESA_T0_NS_15PhiloxCudaStateE,comdat
.Lfunc_end15:
	.size	_ZN2at6native12_GLOBAL__N_124fused_dropout_kernel_vecIN3c104HalfEfjLi1ELi8EbEEvNS_4cuda6detail10TensorInfoIKT_T1_EENS7_IS8_SA_EENS7_IT4_SA_EESA_T0_NS_15PhiloxCudaStateE, .Lfunc_end15-_ZN2at6native12_GLOBAL__N_124fused_dropout_kernel_vecIN3c104HalfEfjLi1ELi8EbEEvNS_4cuda6detail10TensorInfoIKT_T1_EENS7_IS8_SA_EENS7_IT4_SA_EESA_T0_NS_15PhiloxCudaStateE
                                        ; -- End function
	.section	.AMDGPU.csdata,"",@progbits
; Kernel info:
; codeLenInByte = 3008
; NumSgprs: 19
; NumVgprs: 54
; ScratchSize: 0
; MemoryBound: 0
; FloatMode: 240
; IeeeMode: 1
; LDSByteSize: 0 bytes/workgroup (compile time only)
; SGPRBlocks: 2
; VGPRBlocks: 6
; NumSGPRsForWavesPerEU: 19
; NumVGPRsForWavesPerEU: 54
; Occupancy: 16
; WaveLimiterHint : 1
; COMPUTE_PGM_RSRC2:SCRATCH_EN: 0
; COMPUTE_PGM_RSRC2:USER_SGPR: 15
; COMPUTE_PGM_RSRC2:TRAP_HANDLER: 0
; COMPUTE_PGM_RSRC2:TGID_X_EN: 1
; COMPUTE_PGM_RSRC2:TGID_Y_EN: 0
; COMPUTE_PGM_RSRC2:TGID_Z_EN: 0
; COMPUTE_PGM_RSRC2:TIDIG_COMP_CNT: 0
	.section	.text._ZN2at6native12_GLOBAL__N_124fused_dropout_kernel_vecIN3c104HalfEfjLi1ELi4EbEEvNS_4cuda6detail10TensorInfoIKT_T1_EENS7_IS8_SA_EENS7_IT4_SA_EESA_T0_NS_15PhiloxCudaStateE,"axG",@progbits,_ZN2at6native12_GLOBAL__N_124fused_dropout_kernel_vecIN3c104HalfEfjLi1ELi4EbEEvNS_4cuda6detail10TensorInfoIKT_T1_EENS7_IS8_SA_EENS7_IT4_SA_EESA_T0_NS_15PhiloxCudaStateE,comdat
	.globl	_ZN2at6native12_GLOBAL__N_124fused_dropout_kernel_vecIN3c104HalfEfjLi1ELi4EbEEvNS_4cuda6detail10TensorInfoIKT_T1_EENS7_IS8_SA_EENS7_IT4_SA_EESA_T0_NS_15PhiloxCudaStateE ; -- Begin function _ZN2at6native12_GLOBAL__N_124fused_dropout_kernel_vecIN3c104HalfEfjLi1ELi4EbEEvNS_4cuda6detail10TensorInfoIKT_T1_EENS7_IS8_SA_EENS7_IT4_SA_EESA_T0_NS_15PhiloxCudaStateE
	.p2align	8
	.type	_ZN2at6native12_GLOBAL__N_124fused_dropout_kernel_vecIN3c104HalfEfjLi1ELi4EbEEvNS_4cuda6detail10TensorInfoIKT_T1_EENS7_IS8_SA_EENS7_IT4_SA_EESA_T0_NS_15PhiloxCudaStateE,@function
_ZN2at6native12_GLOBAL__N_124fused_dropout_kernel_vecIN3c104HalfEfjLi1ELi4EbEEvNS_4cuda6detail10TensorInfoIKT_T1_EENS7_IS8_SA_EENS7_IT4_SA_EESA_T0_NS_15PhiloxCudaStateE: ; @_ZN2at6native12_GLOBAL__N_124fused_dropout_kernel_vecIN3c104HalfEfjLi1ELi4EbEEvNS_4cuda6detail10TensorInfoIKT_T1_EENS7_IS8_SA_EENS7_IT4_SA_EESA_T0_NS_15PhiloxCudaStateE
; %bb.0:
	s_clause 0x1
	s_load_b128 s[4:7], s[0:1], 0x290
	s_load_b32 s2, s[0:1], 0x2a8
	s_waitcnt lgkmcnt(0)
	v_dual_mov_b32 v3, s6 :: v_dual_mov_b32 v4, s7
	v_dual_mov_b32 v12, s5 :: v_dual_mov_b32 v11, s4
	s_bitcmp0_b32 s2, 0
	s_cbranch_scc1 .LBB16_2
; %bb.1:
	v_dual_mov_b32 v1, s6 :: v_dual_mov_b32 v2, s7
	v_dual_mov_b32 v3, s4 :: v_dual_mov_b32 v4, s5
	s_load_b64 s[2:3], s[0:1], 0x2a0
	flat_load_b64 v[1:2], v[1:2]
	flat_load_b64 v[11:12], v[3:4]
	s_waitcnt vmcnt(1) lgkmcnt(0)
	v_add_co_u32 v3, vcc_lo, v1, s2
	v_add_co_ci_u32_e32 v4, vcc_lo, s3, v2, vcc_lo
.LBB16_2:
	s_clause 0x1
	s_load_b32 s6, s[0:1], 0x2bc
	s_load_b64 s[4:5], s[0:1], 0x288
	s_add_u32 s2, s0, 0x2b0
	s_addc_u32 s3, s1, 0
	s_waitcnt lgkmcnt(0)
	s_and_b32 s12, s6, 0xffff
	s_mov_b32 s6, exec_lo
	v_mad_u64_u32 v[13:14], null, s15, s12, v[0:1]
	s_delay_alu instid0(VALU_DEP_1) | instskip(NEXT) | instid1(VALU_DEP_1)
	v_lshlrev_b32_e32 v14, 2, v13
	v_cmpx_gt_u32_e64 s4, v14
	s_cbranch_execz .LBB16_15
; %bb.3:
	v_mad_u64_u32 v[0:1], null, 0xcd9e8d57, v13, 0
	v_alignbit_b32 v18, v4, v3, 2
	v_lshrrev_b32_e32 v19, 2, v4
	s_waitcnt vmcnt(0)
	v_mov_b32_e32 v15, v12
	v_add_co_u32 v21, null, 0x9e3779b9, v11
	v_mad_u64_u32 v[4:5], null, 0xd2511f53, v18, 0
	v_xor3_b32 v6, v11, v1, v19
	s_delay_alu instid0(VALU_DEP_4) | instskip(SKIP_1) | instid1(VALU_DEP_3)
	v_add_co_u32 v20, null, 0xbb67ae85, v15
	v_add_co_u32 v22, null, 0x3c6ef372, v11
	v_mad_u64_u32 v[1:2], null, 0xd2511f53, v6, 0
	v_xor_b32_e32 v7, v5, v12
	v_add_co_u32 v23, null, 0x76cf5d0a, v15
	v_add_co_u32 v24, null, 0x32370b8f, v15
	s_delay_alu instid0(VALU_DEP_3) | instskip(SKIP_3) | instid1(VALU_DEP_3)
	v_mad_u64_u32 v[5:6], null, 0xcd9e8d57, v7, 0
	v_xor3_b32 v2, v20, v2, v4
	v_add_co_u32 v25, null, 0xdaa66d2b, v11
	v_add_co_u32 v26, null, 0x78dde6e4, v11
	v_mad_u64_u32 v[7:8], null, 0xcd9e8d57, v2, 0
	v_xor3_b32 v0, v6, v21, v0
	v_add_co_u32 v27, null, 0xed9eba14, v15
	v_add_co_u32 v28, null, 0xa9066899, v15
	s_delay_alu instid0(VALU_DEP_3) | instskip(SKIP_3) | instid1(VALU_DEP_3)
	v_mad_u64_u32 v[9:10], null, 0xd2511f53, v0, 0
	v_xor3_b32 v0, v22, v8, v5
	v_div_scale_f32 v16, null, s5, s5, 1.0
	v_add_co_u32 v29, null, 0x1715609d, v11
	v_mad_u64_u32 v[4:5], null, 0xd2511f53, v0, 0
	v_xor3_b32 v2, v10, v23, v1
	s_delay_alu instid0(VALU_DEP_4) | instskip(SKIP_2) | instid1(VALU_DEP_3)
	v_rcp_f32_e32 v17, v16
	v_add_co_u32 v30, null, 0xb54cda56, v11
	v_add_co_u32 v31, null, 0x646e171e, v15
	v_mad_u64_u32 v[0:1], null, 0xcd9e8d57, v2, 0
	v_xor3_b32 v2, v24, v5, v9
	v_add_co_u32 v32, null, 0x1fd5c5a3, v15
	v_div_scale_f32 v36, vcc_lo, 1.0, s5, 1.0
	s_delay_alu instid0(VALU_DEP_3) | instskip(SKIP_3) | instid1(VALU_DEP_3)
	v_mad_u64_u32 v[5:6], null, 0xcd9e8d57, v2, 0
	v_xor3_b32 v7, v1, v25, v7
	v_add_co_u32 v33, null, 0x5384540f, v11
	v_add_co_u32 v34, null, 0xf1bbcdc8, v11
	v_mad_u64_u32 v[1:2], null, 0xd2511f53, v7, 0
	v_xor3_b32 v0, v26, v6, v0
	s_load_b32 s2, s[2:3], 0x0
	s_clause 0x2
	s_load_b64 s[6:7], s[0:1], 0x0
	s_load_b64 s[8:9], s[0:1], 0xd8
	;; [unrolled: 1-line block ×3, first 2 shown]
	s_mov_b32 s3, 0
	v_and_b32_e32 v38, 3, v3
	v_mad_u64_u32 v[6:7], null, 0xd2511f53, v0, 0
	v_xor3_b32 v0, v2, v27, v4
	s_delay_alu instid0(VALU_DEP_1) | instskip(NEXT) | instid1(VALU_DEP_3)
	v_mad_u64_u32 v[8:9], null, 0xcd9e8d57, v0, 0
	v_xor3_b32 v2, v28, v7, v1
	s_delay_alu instid0(VALU_DEP_1) | instskip(NEXT) | instid1(VALU_DEP_3)
	v_mad_u64_u32 v[0:1], null, 0xcd9e8d57, v2, 0
	v_xor3_b32 v2, v9, v29, v5
	s_waitcnt lgkmcnt(0)
	s_mul_i32 s2, s2, s12
	s_delay_alu instid0(SALU_CYCLE_1) | instskip(NEXT) | instid1(VALU_DEP_1)
	s_lshl_b32 s12, s2, 2
	v_mad_u64_u32 v[4:5], null, 0xd2511f53, v2, 0
	s_delay_alu instid0(VALU_DEP_3) | instskip(SKIP_1) | instid1(VALU_DEP_2)
	v_xor3_b32 v7, v30, v1, v8
	v_fma_f32 v8, -v16, v17, 1.0
	v_mad_u64_u32 v[1:2], null, 0xd2511f53, v7, 0
	s_delay_alu instid0(VALU_DEP_4) | instskip(NEXT) | instid1(VALU_DEP_3)
	v_xor3_b32 v7, v5, v31, v6
	v_fmac_f32_e32 v17, v8, v17
	s_delay_alu instid0(VALU_DEP_2) | instskip(NEXT) | instid1(VALU_DEP_4)
	v_mad_u64_u32 v[5:6], null, 0xcd9e8d57, v7, 0
	v_xor3_b32 v2, v32, v2, v4
	s_delay_alu instid0(VALU_DEP_3) | instskip(NEXT) | instid1(VALU_DEP_2)
	v_mul_f32_e32 v37, v36, v17
	v_mad_u64_u32 v[7:8], null, 0xcd9e8d57, v2, 0
	s_delay_alu instid0(VALU_DEP_2) | instskip(SKIP_1) | instid1(VALU_DEP_2)
	v_fma_f32 v2, -v16, v37, v36
	v_xor3_b32 v0, v6, v33, v0
	v_fmac_f32_e32 v37, v2, v17
	s_delay_alu instid0(VALU_DEP_2) | instskip(SKIP_1) | instid1(VALU_DEP_3)
	v_mad_u64_u32 v[9:10], null, 0xd2511f53, v0, 0
	v_xor3_b32 v0, v34, v8, v5
	v_fma_f32 v8, -v16, v37, v36
	v_add_nc_u32_e32 v36, 0x8ff34781, v11
	v_add_co_u32 v35, null, 0xdb3d7428, v15
	s_delay_alu instid0(VALU_DEP_4) | instskip(NEXT) | instid1(VALU_DEP_4)
	v_mad_u64_u32 v[4:5], null, 0xd2511f53, v0, 0
	v_div_fmas_f32 v0, v8, v17, v37
	s_delay_alu instid0(VALU_DEP_3) | instskip(SKIP_2) | instid1(VALU_DEP_4)
	v_xor3_b32 v6, v10, v35, v1
	v_mov_b32_e32 v15, 0
	v_add_nc_u32_e32 v37, 0x96a522ad, v12
	v_div_fixup_f32 v39, v0, s5, 1.0
	s_delay_alu instid0(VALU_DEP_4) | instskip(NEXT) | instid1(VALU_DEP_4)
	v_mad_u64_u32 v[1:2], null, 0xcd9e8d57, v6, 0
	v_dual_mov_b32 v40, v15 :: v_dual_mov_b32 v3, v4
	s_delay_alu instid0(VALU_DEP_2)
	v_xor3_b32 v0, v7, v2, v36
	v_xor3_b32 v2, v5, v9, v37
	s_branch .LBB16_6
.LBB16_4:                               ;   in Loop: Header=BB16_6 Depth=1
	s_or_b32 exec_lo, exec_lo, s1
.LBB16_5:                               ;   in Loop: Header=BB16_6 Depth=1
	s_delay_alu instid0(SALU_CYCLE_1)
	s_or_b32 exec_lo, exec_lo, s0
	v_lshlrev_b64 v[7:8], 1, v[14:15]
	v_cvt_f32_u32_e32 v0, v0
	v_cvt_f32_u32_e32 v1, v1
	;; [unrolled: 1-line block ×4, first 2 shown]
	s_delay_alu instid0(VALU_DEP_3) | instskip(SKIP_2) | instid1(VALU_DEP_4)
	v_dual_fmaak_f32 v0, 0x2f800000, v0, 0x2f800000 :: v_dual_fmaak_f32 v1, 0x2f800000, v1, 0x2f800000
	v_add_co_u32 v9, vcc_lo, s6, v7
	v_add_co_ci_u32_e32 v10, vcc_lo, s7, v8, vcc_lo
	v_dual_fmaak_f32 v3, 0x2f800000, v3, 0x2f800000 :: v_dual_fmaak_f32 v2, 0x2f800000, v2, 0x2f800000
	s_delay_alu instid0(VALU_DEP_4)
	v_cmp_gt_f32_e64 s0, s5, v1
	global_load_b64 v[9:10], v[9:10], off
	v_cmp_gt_f32_e32 vcc_lo, s5, v0
	v_cmp_gt_f32_e64 s1, s5, v3
	v_cmp_gt_f32_e64 s2, s5, v2
	v_cndmask_b32_e64 v2, 0, 1, s0
	v_cndmask_b32_e64 v1, 0, 1.0, s0
	v_cndmask_b32_e64 v42, 0, 1, vcc_lo
	v_cndmask_b32_e64 v17, 0, 1, s1
	v_cndmask_b32_e64 v43, 0, 1, s2
	v_lshlrev_b16 v2, 8, v2
	v_cndmask_b32_e64 v0, 0, 1.0, vcc_lo
	v_cndmask_b32_e64 v41, 0, 1.0, s2
	v_lshlrev_b16 v17, 8, v17
	v_cndmask_b32_e64 v3, 0, 1.0, s1
	v_or_b32_e32 v2, v42, v2
	s_delay_alu instid0(VALU_DEP_3) | instskip(NEXT) | instid1(VALU_DEP_1)
	v_or_b32_e32 v17, v43, v17
	v_lshlrev_b32_e32 v17, 16, v17
	s_waitcnt vmcnt(0)
	v_cvt_f32_f16_e32 v42, v9
	v_lshrrev_b32_e32 v9, 16, v9
	v_cvt_f32_f16_e32 v43, v10
	v_lshrrev_b32_e32 v10, 16, v10
	v_and_b32_e32 v44, 0xffff, v2
	v_mul_f32_e32 v0, v0, v42
	v_cvt_f32_f16_e32 v2, v9
	v_mul_f32_e32 v9, v41, v43
	v_cvt_f32_f16_e32 v10, v10
	s_delay_alu instid0(VALU_DEP_4) | instskip(NEXT) | instid1(VALU_DEP_4)
	v_fma_mixlo_f16 v0, v39, v0, 0
	v_mul_f32_e32 v41, v1, v2
	s_delay_alu instid0(VALU_DEP_4) | instskip(NEXT) | instid1(VALU_DEP_4)
	v_fma_mixlo_f16 v1, v39, v9, 0
	v_mul_f32_e32 v9, v3, v10
	v_add_co_u32 v2, vcc_lo, s8, v7
	v_add_co_ci_u32_e32 v3, vcc_lo, s9, v8, vcc_lo
	s_delay_alu instid0(VALU_DEP_3)
	v_fma_mixhi_f16 v1, v39, v9, 0
	v_fma_mixhi_f16 v0, v39, v41, 0
	v_or_b32_e32 v7, v44, v17
	global_store_b64 v[2:3], v[0:1], off
	global_store_b32 v14, v7, s[10:11]
	v_dual_mov_b32 v7, v16 :: v_dual_add_nc_u32 v14, s12, v14
	v_dual_mov_b32 v0, v4 :: v_dual_mov_b32 v1, v5
	v_mov_b32_e32 v2, v6
	s_delay_alu instid0(VALU_DEP_3) | instskip(NEXT) | instid1(VALU_DEP_4)
	v_cmp_le_u32_e32 vcc_lo, s4, v14
	v_mov_b32_e32 v3, v7
	s_waitcnt_vscnt null, 0x0
	s_barrier
	buffer_gl0_inv
	s_or_b32 s3, vcc_lo, s3
	s_delay_alu instid0(SALU_CYCLE_1)
	s_and_not1_b32 exec_lo, exec_lo, s3
	s_cbranch_execz .LBB16_15
.LBB16_6:                               ; =>This Inner Loop Header: Depth=1
	v_add_co_u32 v18, vcc_lo, v18, 1
	s_delay_alu instid0(VALU_DEP_1) | instskip(SKIP_2) | instid1(VALU_DEP_1)
	v_cndmask_b32_e64 v4, 0, 1, vcc_lo
	v_add_co_ci_u32_e32 v19, vcc_lo, 0, v19, vcc_lo
	s_mov_b32 s0, exec_lo
	v_cmp_eq_u32_e32 vcc_lo, 0, v19
	s_delay_alu instid0(VALU_DEP_3) | instskip(NEXT) | instid1(VALU_DEP_1)
	v_cndmask_b32_e32 v4, 0, v4, vcc_lo
	v_add_nc_u32_e32 v13, v4, v13
	s_delay_alu instid0(VALU_DEP_1) | instskip(SKIP_2) | instid1(VALU_DEP_2)
	v_cmp_eq_u32_e32 vcc_lo, 0, v13
	v_cndmask_b32_e32 v4, 0, v4, vcc_lo
	v_mad_u64_u32 v[6:7], null, 0xcd9e8d57, v13, 0
	v_add_nc_u32_e32 v40, v4, v40
	v_mad_u64_u32 v[4:5], null, 0xd2511f53, v18, 0
	s_delay_alu instid0(VALU_DEP_3) | instskip(NEXT) | instid1(VALU_DEP_2)
	v_xor3_b32 v9, v7, v11, v19
	v_xor_b32_e32 v5, v5, v12
	s_delay_alu instid0(VALU_DEP_2) | instskip(NEXT) | instid1(VALU_DEP_2)
	v_mad_u64_u32 v[7:8], null, 0xd2511f53, v9, 0
	v_xor_b32_e32 v5, v40, v5
	s_delay_alu instid0(VALU_DEP_2) | instskip(NEXT) | instid1(VALU_DEP_2)
	v_xor3_b32 v8, v20, v8, v4
	v_mad_u64_u32 v[9:10], null, 0xcd9e8d57, v5, 0
	s_delay_alu instid0(VALU_DEP_2) | instskip(NEXT) | instid1(VALU_DEP_2)
	v_mad_u64_u32 v[4:5], null, 0xcd9e8d57, v8, 0
	v_xor3_b32 v6, v21, v10, v6
	s_delay_alu instid0(VALU_DEP_2) | instskip(NEXT) | instid1(VALU_DEP_2)
	v_xor3_b32 v8, v22, v5, v9
	v_mad_u64_u32 v[16:17], null, 0xd2511f53, v6, 0
	s_delay_alu instid0(VALU_DEP_2) | instskip(NEXT) | instid1(VALU_DEP_2)
	v_mad_u64_u32 v[5:6], null, 0xd2511f53, v8, 0
	v_xor3_b32 v9, v23, v17, v7
	s_delay_alu instid0(VALU_DEP_2) | instskip(NEXT) | instid1(VALU_DEP_2)
	v_xor3_b32 v6, v24, v6, v16
	v_mad_u64_u32 v[7:8], null, 0xcd9e8d57, v9, 0
	s_delay_alu instid0(VALU_DEP_1) | instskip(NEXT) | instid1(VALU_DEP_3)
	v_xor3_b32 v4, v25, v8, v4
	v_mad_u64_u32 v[8:9], null, 0xcd9e8d57, v6, 0
	s_delay_alu instid0(VALU_DEP_2) | instskip(NEXT) | instid1(VALU_DEP_2)
	v_mad_u64_u32 v[16:17], null, 0xd2511f53, v4, 0
	v_xor3_b32 v6, v26, v9, v7
	s_delay_alu instid0(VALU_DEP_2) | instskip(NEXT) | instid1(VALU_DEP_2)
	v_xor3_b32 v9, v27, v17, v5
	v_mad_u64_u32 v[4:5], null, 0xd2511f53, v6, 0
	s_delay_alu instid0(VALU_DEP_2) | instskip(NEXT) | instid1(VALU_DEP_2)
	v_mad_u64_u32 v[6:7], null, 0xcd9e8d57, v9, 0
	v_xor3_b32 v5, v28, v5, v16
	s_delay_alu instid0(VALU_DEP_2) | instskip(NEXT) | instid1(VALU_DEP_2)
	;; [unrolled: 6-line block ×6, first 2 shown]
	v_xor3_b32 v4, v6, v7, v36
	v_mov_b32_e32 v6, v10
	v_cmpx_lt_i32_e32 1, v38
	s_xor_b32 s0, exec_lo, s0
	s_cbranch_execz .LBB16_12
; %bb.7:                                ;   in Loop: Header=BB16_6 Depth=1
	s_mov_b32 s1, exec_lo
	v_cmpx_lt_i32_e32 2, v38
	s_xor_b32 s1, exec_lo, s1
; %bb.8:                                ;   in Loop: Header=BB16_6 Depth=1
	v_dual_mov_b32 v7, v3 :: v_dual_mov_b32 v8, v4
	v_mov_b32_e32 v9, v5
	s_delay_alu instid0(VALU_DEP_2) | instskip(NEXT) | instid1(VALU_DEP_2)
	v_dual_mov_b32 v0, v7 :: v_dual_mov_b32 v1, v8
	v_dual_mov_b32 v2, v9 :: v_dual_mov_b32 v3, v10
; %bb.9:                                ;   in Loop: Header=BB16_6 Depth=1
	s_and_not1_saveexec_b32 s1, s1
; %bb.10:                               ;   in Loop: Header=BB16_6 Depth=1
	s_delay_alu instid0(VALU_DEP_1)
	v_dual_mov_b32 v0, v2 :: v_dual_mov_b32 v1, v3
	v_dual_mov_b32 v2, v4 :: v_dual_mov_b32 v3, v5
; %bb.11:                               ;   in Loop: Header=BB16_6 Depth=1
	s_or_b32 exec_lo, exec_lo, s1
.LBB16_12:                              ;   in Loop: Header=BB16_6 Depth=1
	s_and_not1_saveexec_b32 s0, s0
	s_cbranch_execz .LBB16_5
; %bb.13:                               ;   in Loop: Header=BB16_6 Depth=1
	s_mov_b32 s1, exec_lo
	v_cmpx_eq_u32_e32 1, v38
	s_cbranch_execz .LBB16_4
; %bb.14:                               ;   in Loop: Header=BB16_6 Depth=1
	v_dual_mov_b32 v0, v1 :: v_dual_mov_b32 v1, v2
	v_dual_mov_b32 v2, v3 :: v_dual_mov_b32 v3, v4
	s_branch .LBB16_4
.LBB16_15:
	s_endpgm
	.section	.rodata,"a",@progbits
	.p2align	6, 0x0
	.amdhsa_kernel _ZN2at6native12_GLOBAL__N_124fused_dropout_kernel_vecIN3c104HalfEfjLi1ELi4EbEEvNS_4cuda6detail10TensorInfoIKT_T1_EENS7_IS8_SA_EENS7_IT4_SA_EESA_T0_NS_15PhiloxCudaStateE
		.amdhsa_group_segment_fixed_size 0
		.amdhsa_private_segment_fixed_size 0
		.amdhsa_kernarg_size 944
		.amdhsa_user_sgpr_count 15
		.amdhsa_user_sgpr_dispatch_ptr 0
		.amdhsa_user_sgpr_queue_ptr 0
		.amdhsa_user_sgpr_kernarg_segment_ptr 1
		.amdhsa_user_sgpr_dispatch_id 0
		.amdhsa_user_sgpr_private_segment_size 0
		.amdhsa_wavefront_size32 1
		.amdhsa_uses_dynamic_stack 0
		.amdhsa_enable_private_segment 0
		.amdhsa_system_sgpr_workgroup_id_x 1
		.amdhsa_system_sgpr_workgroup_id_y 0
		.amdhsa_system_sgpr_workgroup_id_z 0
		.amdhsa_system_sgpr_workgroup_info 0
		.amdhsa_system_vgpr_workitem_id 0
		.amdhsa_next_free_vgpr 45
		.amdhsa_next_free_sgpr 16
		.amdhsa_reserve_vcc 1
		.amdhsa_float_round_mode_32 0
		.amdhsa_float_round_mode_16_64 0
		.amdhsa_float_denorm_mode_32 3
		.amdhsa_float_denorm_mode_16_64 3
		.amdhsa_dx10_clamp 1
		.amdhsa_ieee_mode 1
		.amdhsa_fp16_overflow 0
		.amdhsa_workgroup_processor_mode 1
		.amdhsa_memory_ordered 1
		.amdhsa_forward_progress 0
		.amdhsa_shared_vgpr_count 0
		.amdhsa_exception_fp_ieee_invalid_op 0
		.amdhsa_exception_fp_denorm_src 0
		.amdhsa_exception_fp_ieee_div_zero 0
		.amdhsa_exception_fp_ieee_overflow 0
		.amdhsa_exception_fp_ieee_underflow 0
		.amdhsa_exception_fp_ieee_inexact 0
		.amdhsa_exception_int_div_zero 0
	.end_amdhsa_kernel
	.section	.text._ZN2at6native12_GLOBAL__N_124fused_dropout_kernel_vecIN3c104HalfEfjLi1ELi4EbEEvNS_4cuda6detail10TensorInfoIKT_T1_EENS7_IS8_SA_EENS7_IT4_SA_EESA_T0_NS_15PhiloxCudaStateE,"axG",@progbits,_ZN2at6native12_GLOBAL__N_124fused_dropout_kernel_vecIN3c104HalfEfjLi1ELi4EbEEvNS_4cuda6detail10TensorInfoIKT_T1_EENS7_IS8_SA_EENS7_IT4_SA_EESA_T0_NS_15PhiloxCudaStateE,comdat
.Lfunc_end16:
	.size	_ZN2at6native12_GLOBAL__N_124fused_dropout_kernel_vecIN3c104HalfEfjLi1ELi4EbEEvNS_4cuda6detail10TensorInfoIKT_T1_EENS7_IS8_SA_EENS7_IT4_SA_EESA_T0_NS_15PhiloxCudaStateE, .Lfunc_end16-_ZN2at6native12_GLOBAL__N_124fused_dropout_kernel_vecIN3c104HalfEfjLi1ELi4EbEEvNS_4cuda6detail10TensorInfoIKT_T1_EENS7_IS8_SA_EENS7_IT4_SA_EESA_T0_NS_15PhiloxCudaStateE
                                        ; -- End function
	.section	.AMDGPU.csdata,"",@progbits
; Kernel info:
; codeLenInByte = 2096
; NumSgprs: 18
; NumVgprs: 45
; ScratchSize: 0
; MemoryBound: 0
; FloatMode: 240
; IeeeMode: 1
; LDSByteSize: 0 bytes/workgroup (compile time only)
; SGPRBlocks: 2
; VGPRBlocks: 5
; NumSGPRsForWavesPerEU: 18
; NumVGPRsForWavesPerEU: 45
; Occupancy: 16
; WaveLimiterHint : 1
; COMPUTE_PGM_RSRC2:SCRATCH_EN: 0
; COMPUTE_PGM_RSRC2:USER_SGPR: 15
; COMPUTE_PGM_RSRC2:TRAP_HANDLER: 0
; COMPUTE_PGM_RSRC2:TGID_X_EN: 1
; COMPUTE_PGM_RSRC2:TGID_Y_EN: 0
; COMPUTE_PGM_RSRC2:TGID_Z_EN: 0
; COMPUTE_PGM_RSRC2:TIDIG_COMP_CNT: 0
	.section	.text._ZN2at6native12_GLOBAL__N_124fused_dropout_kernel_vecIN3c104HalfEfjLi1ELi2EbEEvNS_4cuda6detail10TensorInfoIKT_T1_EENS7_IS8_SA_EENS7_IT4_SA_EESA_T0_NS_15PhiloxCudaStateE,"axG",@progbits,_ZN2at6native12_GLOBAL__N_124fused_dropout_kernel_vecIN3c104HalfEfjLi1ELi2EbEEvNS_4cuda6detail10TensorInfoIKT_T1_EENS7_IS8_SA_EENS7_IT4_SA_EESA_T0_NS_15PhiloxCudaStateE,comdat
	.globl	_ZN2at6native12_GLOBAL__N_124fused_dropout_kernel_vecIN3c104HalfEfjLi1ELi2EbEEvNS_4cuda6detail10TensorInfoIKT_T1_EENS7_IS8_SA_EENS7_IT4_SA_EESA_T0_NS_15PhiloxCudaStateE ; -- Begin function _ZN2at6native12_GLOBAL__N_124fused_dropout_kernel_vecIN3c104HalfEfjLi1ELi2EbEEvNS_4cuda6detail10TensorInfoIKT_T1_EENS7_IS8_SA_EENS7_IT4_SA_EESA_T0_NS_15PhiloxCudaStateE
	.p2align	8
	.type	_ZN2at6native12_GLOBAL__N_124fused_dropout_kernel_vecIN3c104HalfEfjLi1ELi2EbEEvNS_4cuda6detail10TensorInfoIKT_T1_EENS7_IS8_SA_EENS7_IT4_SA_EESA_T0_NS_15PhiloxCudaStateE,@function
_ZN2at6native12_GLOBAL__N_124fused_dropout_kernel_vecIN3c104HalfEfjLi1ELi2EbEEvNS_4cuda6detail10TensorInfoIKT_T1_EENS7_IS8_SA_EENS7_IT4_SA_EESA_T0_NS_15PhiloxCudaStateE: ; @_ZN2at6native12_GLOBAL__N_124fused_dropout_kernel_vecIN3c104HalfEfjLi1ELi2EbEEvNS_4cuda6detail10TensorInfoIKT_T1_EENS7_IS8_SA_EENS7_IT4_SA_EESA_T0_NS_15PhiloxCudaStateE
; %bb.0:
	s_clause 0x1
	s_load_b128 s[4:7], s[0:1], 0x290
	s_load_b32 s2, s[0:1], 0x2a8
	s_waitcnt lgkmcnt(0)
	v_dual_mov_b32 v3, s6 :: v_dual_mov_b32 v4, s7
	v_dual_mov_b32 v9, s5 :: v_dual_mov_b32 v8, s4
	s_bitcmp0_b32 s2, 0
	s_cbranch_scc1 .LBB17_2
; %bb.1:
	v_dual_mov_b32 v1, s6 :: v_dual_mov_b32 v2, s7
	v_dual_mov_b32 v3, s4 :: v_dual_mov_b32 v4, s5
	s_load_b64 s[2:3], s[0:1], 0x2a0
	flat_load_b64 v[1:2], v[1:2]
	flat_load_b64 v[8:9], v[3:4]
	s_waitcnt vmcnt(1) lgkmcnt(0)
	v_add_co_u32 v3, vcc_lo, v1, s2
	v_add_co_ci_u32_e32 v4, vcc_lo, s3, v2, vcc_lo
.LBB17_2:
	s_clause 0x1
	s_load_b32 s6, s[0:1], 0x2bc
	s_load_b64 s[2:3], s[0:1], 0x288
	s_add_u32 s4, s0, 0x2b0
	s_addc_u32 s5, s1, 0
	s_waitcnt lgkmcnt(0)
	s_and_b32 s10, s6, 0xffff
	s_mov_b32 s6, exec_lo
	v_mad_u64_u32 v[10:11], null, s15, s10, v[0:1]
	s_delay_alu instid0(VALU_DEP_1) | instskip(NEXT) | instid1(VALU_DEP_1)
	v_lshlrev_b32_e32 v11, 1, v10
	v_cmpx_gt_u32_e64 s2, v11
	s_cbranch_execz .LBB17_15
; %bb.3:
	v_mad_u64_u32 v[0:1], null, 0xcd9e8d57, v10, 0
	v_alignbit_b32 v15, v4, v3, 2
	v_lshrrev_b32_e32 v16, 2, v4
	s_waitcnt vmcnt(0)
	v_mov_b32_e32 v32, v9
	v_add_co_u32 v18, null, 0x9e3779b9, v8
	v_mad_u64_u32 v[4:5], null, 0xd2511f53, v15, 0
	v_xor3_b32 v6, v8, v1, v16
	s_delay_alu instid0(VALU_DEP_4) | instskip(SKIP_1) | instid1(VALU_DEP_3)
	v_add_co_u32 v17, null, 0xbb67ae85, v32
	v_add_co_u32 v19, null, 0x3c6ef372, v8
	v_mad_u64_u32 v[1:2], null, 0xd2511f53, v6, 0
	v_xor_b32_e32 v7, v5, v9
	v_add_co_u32 v20, null, 0x76cf5d0a, v32
	v_add_co_u32 v21, null, 0x32370b8f, v32
	s_delay_alu instid0(VALU_DEP_3) | instskip(SKIP_3) | instid1(VALU_DEP_3)
	v_mad_u64_u32 v[5:6], null, 0xcd9e8d57, v7, 0
	v_xor3_b32 v2, v17, v2, v4
	v_add_co_u32 v22, null, 0xdaa66d2b, v8
	v_add_co_u32 v23, null, 0x78dde6e4, v8
	v_mad_u64_u32 v[12:13], null, 0xcd9e8d57, v2, 0
	v_xor3_b32 v0, v6, v18, v0
	v_add_co_u32 v24, null, 0xed9eba14, v32
	v_add_co_u32 v25, null, 0xa9066899, v32
	s_delay_alu instid0(VALU_DEP_3) | instskip(SKIP_3) | instid1(VALU_DEP_3)
	v_mad_u64_u32 v[6:7], null, 0xd2511f53, v0, 0
	v_xor3_b32 v0, v19, v13, v5
	v_add_co_u32 v26, null, 0x1715609d, v8
	v_add_co_u32 v27, null, 0xb54cda56, v8
	v_mad_u64_u32 v[4:5], null, 0xd2511f53, v0, 0
	v_xor3_b32 v2, v7, v20, v1
	v_add_co_u32 v28, null, 0x646e171e, v32
	v_div_scale_f32 v33, null, s3, s3, 1.0
	s_delay_alu instid0(VALU_DEP_3) | instskip(SKIP_2) | instid1(VALU_DEP_4)
	v_mad_u64_u32 v[0:1], null, 0xcd9e8d57, v2, 0
	v_xor3_b32 v2, v21, v5, v6
	v_add_co_u32 v29, null, 0x1fd5c5a3, v32
	v_rcp_f32_e32 v34, v33
	v_add_co_u32 v30, null, 0x5384540f, v8
	s_delay_alu instid0(VALU_DEP_3) | instskip(SKIP_3) | instid1(VALU_DEP_3)
	v_mad_u64_u32 v[5:6], null, 0xcd9e8d57, v2, 0
	v_xor3_b32 v7, v1, v22, v12
	v_add_co_u32 v31, null, 0xf1bbcdc8, v8
	v_div_scale_f32 v35, vcc_lo, 1.0, s3, 1.0
	v_mad_u64_u32 v[1:2], null, 0xd2511f53, v7, 0
	v_xor3_b32 v0, v23, v6, v0
	s_load_b32 s11, s[4:5], 0x0
	s_clause 0x2
	s_load_b64 s[4:5], s[0:1], 0x0
	s_load_b64 s[6:7], s[0:1], 0xd8
	;; [unrolled: 1-line block ×3, first 2 shown]
	s_mov_b32 s1, 0
	v_mad_u64_u32 v[6:7], null, 0xd2511f53, v0, 0
	v_xor3_b32 v0, v2, v24, v4
	s_delay_alu instid0(VALU_DEP_1) | instskip(NEXT) | instid1(VALU_DEP_3)
	v_mad_u64_u32 v[12:13], null, 0xcd9e8d57, v0, 0
	v_xor3_b32 v2, v25, v7, v1
	s_delay_alu instid0(VALU_DEP_1) | instskip(NEXT) | instid1(VALU_DEP_3)
	v_mad_u64_u32 v[0:1], null, 0xcd9e8d57, v2, 0
	v_xor3_b32 v2, v13, v26, v5
	s_waitcnt lgkmcnt(0)
	s_mul_i32 s11, s11, s10
	s_delay_alu instid0(SALU_CYCLE_1) | instskip(NEXT) | instid1(VALU_DEP_1)
	s_lshl_b32 s10, s11, 1
	v_mad_u64_u32 v[4:5], null, 0xd2511f53, v2, 0
	s_delay_alu instid0(VALU_DEP_3) | instskip(SKIP_1) | instid1(VALU_DEP_2)
	v_xor3_b32 v7, v27, v1, v12
	v_fma_f32 v12, -v33, v34, 1.0
	v_mad_u64_u32 v[1:2], null, 0xd2511f53, v7, 0
	s_delay_alu instid0(VALU_DEP_4) | instskip(NEXT) | instid1(VALU_DEP_3)
	v_xor3_b32 v7, v5, v28, v6
	v_fmac_f32_e32 v34, v12, v34
	s_delay_alu instid0(VALU_DEP_2) | instskip(NEXT) | instid1(VALU_DEP_4)
	v_mad_u64_u32 v[5:6], null, 0xcd9e8d57, v7, 0
	v_xor3_b32 v2, v29, v2, v4
	s_delay_alu instid0(VALU_DEP_1) | instskip(NEXT) | instid1(VALU_DEP_3)
	v_mad_u64_u32 v[13:14], null, 0xcd9e8d57, v2, 0
	v_xor3_b32 v0, v6, v30, v0
	s_delay_alu instid0(VALU_DEP_1) | instskip(NEXT) | instid1(VALU_DEP_3)
	v_mad_u64_u32 v[6:7], null, 0xd2511f53, v0, 0
	v_xor3_b32 v0, v31, v14, v5
	s_delay_alu instid0(VALU_DEP_1) | instskip(SKIP_1) | instid1(VALU_DEP_1)
	v_mad_u64_u32 v[4:5], null, 0xd2511f53, v0, 0
	v_mul_f32_e32 v12, v35, v34
	v_fma_f32 v2, -v33, v12, v35
	s_delay_alu instid0(VALU_DEP_1) | instskip(NEXT) | instid1(VALU_DEP_1)
	v_fmac_f32_e32 v12, v2, v34
	v_fma_f32 v14, -v33, v12, v35
	v_add_nc_u32_e32 v33, 0x8ff34781, v8
	v_add_co_u32 v32, null, 0xdb3d7428, v32
	v_and_b32_e32 v35, 3, v3
	v_mov_b32_e32 v3, v4
	v_div_fmas_f32 v0, v14, v34, v12
	s_delay_alu instid0(VALU_DEP_4) | instskip(SKIP_2) | instid1(VALU_DEP_4)
	v_xor3_b32 v7, v7, v32, v1
	v_mov_b32_e32 v12, 0
	v_add_nc_u32_e32 v34, 0x96a522ad, v9
	v_div_fixup_f32 v36, v0, s3, 1.0
	s_delay_alu instid0(VALU_DEP_4) | instskip(NEXT) | instid1(VALU_DEP_4)
	v_mad_u64_u32 v[1:2], null, 0xcd9e8d57, v7, 0
	v_mov_b32_e32 v37, v12
	s_delay_alu instid0(VALU_DEP_2)
	v_xor3_b32 v0, v13, v2, v33
	v_xor3_b32 v2, v5, v6, v34
	s_branch .LBB17_6
.LBB17_4:                               ;   in Loop: Header=BB17_6 Depth=1
	s_or_b32 exec_lo, exec_lo, s11
.LBB17_5:                               ;   in Loop: Header=BB17_6 Depth=1
	s_delay_alu instid0(SALU_CYCLE_1) | instskip(SKIP_3) | instid1(VALU_DEP_1)
	s_or_b32 exec_lo, exec_lo, s0
	v_lshlrev_b64 v[2:3], 1, v[11:12]
	v_cvt_f32_u32_e32 v0, v0
	v_cvt_f32_u32_e32 v1, v1
	v_dual_fmaak_f32 v0, 0x2f800000, v0, 0x2f800000 :: v_dual_fmaak_f32 v1, 0x2f800000, v1, 0x2f800000
	s_delay_alu instid0(VALU_DEP_4) | instskip(SKIP_1) | instid1(VALU_DEP_3)
	v_add_co_u32 v38, vcc_lo, s4, v2
	v_add_co_ci_u32_e32 v39, vcc_lo, s5, v3, vcc_lo
	v_cmp_gt_f32_e32 vcc_lo, s3, v0
	s_delay_alu instid0(VALU_DEP_4) | instskip(SKIP_4) | instid1(VALU_DEP_1)
	v_cmp_gt_f32_e64 s0, s3, v1
	global_load_b32 v7, v[38:39], off
	v_cndmask_b32_e64 v0, 0, 1.0, vcc_lo
	v_cndmask_b32_e64 v14, 0, 1.0, s0
	v_cndmask_b32_e64 v38, 0, 1, s0
	v_lshlrev_b16 v38, 8, v38
	s_waitcnt vmcnt(0)
	v_cvt_f32_f16_e32 v1, v7
	v_lshrrev_b32_e32 v7, 16, v7
	s_delay_alu instid0(VALU_DEP_2) | instskip(NEXT) | instid1(VALU_DEP_2)
	v_mul_f32_e32 v0, v0, v1
	v_cvt_f32_f16_e32 v1, v7
	v_cndmask_b32_e64 v7, 0, 1, vcc_lo
	s_delay_alu instid0(VALU_DEP_3) | instskip(NEXT) | instid1(VALU_DEP_3)
	v_fma_mixlo_f16 v39, v36, v0, 0
	v_mul_f32_e32 v14, v14, v1
	v_add_co_u32 v0, vcc_lo, s6, v2
	v_add_co_ci_u32_e32 v1, vcc_lo, s7, v3, vcc_lo
	v_or_b32_e32 v2, v7, v38
	v_mov_b32_e32 v7, v13
	v_fma_mixhi_f16 v39, v36, v14, 0
	global_store_b32 v[0:1], v39, off
	global_store_b16 v11, v2, s[8:9]
	v_dual_mov_b32 v0, v4 :: v_dual_add_nc_u32 v11, s10, v11
	v_dual_mov_b32 v1, v5 :: v_dual_mov_b32 v2, v6
	v_mov_b32_e32 v3, v7
	s_delay_alu instid0(VALU_DEP_3) | instskip(SKIP_4) | instid1(SALU_CYCLE_1)
	v_cmp_le_u32_e32 vcc_lo, s2, v11
	s_waitcnt_vscnt null, 0x0
	s_barrier
	buffer_gl0_inv
	s_or_b32 s1, vcc_lo, s1
	s_and_not1_b32 exec_lo, exec_lo, s1
	s_cbranch_execz .LBB17_15
.LBB17_6:                               ; =>This Inner Loop Header: Depth=1
	v_add_co_u32 v15, vcc_lo, v15, 1
	s_delay_alu instid0(VALU_DEP_1) | instskip(SKIP_2) | instid1(VALU_DEP_1)
	v_cndmask_b32_e64 v4, 0, 1, vcc_lo
	v_add_co_ci_u32_e32 v16, vcc_lo, 0, v16, vcc_lo
	s_mov_b32 s0, exec_lo
	v_cmp_eq_u32_e32 vcc_lo, 0, v16
	s_delay_alu instid0(VALU_DEP_3) | instskip(NEXT) | instid1(VALU_DEP_1)
	v_cndmask_b32_e32 v4, 0, v4, vcc_lo
	v_add_nc_u32_e32 v10, v4, v10
	s_delay_alu instid0(VALU_DEP_1) | instskip(SKIP_2) | instid1(VALU_DEP_2)
	v_cmp_eq_u32_e32 vcc_lo, 0, v10
	v_mad_u64_u32 v[6:7], null, 0xcd9e8d57, v10, 0
	v_cndmask_b32_e32 v4, 0, v4, vcc_lo
	v_xor3_b32 v7, v7, v8, v16
	s_delay_alu instid0(VALU_DEP_2) | instskip(SKIP_1) | instid1(VALU_DEP_3)
	v_add_nc_u32_e32 v37, v4, v37
	v_mad_u64_u32 v[4:5], null, 0xd2511f53, v15, 0
	v_mad_u64_u32 v[38:39], null, 0xd2511f53, v7, 0
	s_delay_alu instid0(VALU_DEP_2) | instskip(NEXT) | instid1(VALU_DEP_1)
	v_xor_b32_e32 v5, v5, v9
	v_xor_b32_e32 v5, v37, v5
	s_delay_alu instid0(VALU_DEP_1) | instskip(NEXT) | instid1(VALU_DEP_1)
	v_mad_u64_u32 v[13:14], null, 0xcd9e8d57, v5, 0
	v_xor3_b32 v6, v18, v14, v6
	v_xor3_b32 v14, v17, v39, v4
	s_delay_alu instid0(VALU_DEP_2) | instskip(NEXT) | instid1(VALU_DEP_2)
	v_mad_u64_u32 v[4:5], null, 0xd2511f53, v6, 0
	v_mad_u64_u32 v[6:7], null, 0xcd9e8d57, v14, 0
	s_delay_alu instid0(VALU_DEP_2) | instskip(NEXT) | instid1(VALU_DEP_2)
	v_xor3_b32 v5, v20, v5, v38
	v_xor3_b32 v7, v19, v7, v13
	s_delay_alu instid0(VALU_DEP_2) | instskip(NEXT) | instid1(VALU_DEP_2)
	v_mad_u64_u32 v[13:14], null, 0xcd9e8d57, v5, 0
	v_mad_u64_u32 v[38:39], null, 0xd2511f53, v7, 0
	s_delay_alu instid0(VALU_DEP_2) | instskip(NEXT) | instid1(VALU_DEP_2)
	;; [unrolled: 6-line block ×8, first 2 shown]
	v_xor3_b32 v4, v6, v4, v33
	v_xor3_b32 v6, v14, v39, v34
	v_cmpx_lt_i32_e32 1, v35
	s_xor_b32 s0, exec_lo, s0
	s_cbranch_execz .LBB17_12
; %bb.7:                                ;   in Loop: Header=BB17_6 Depth=1
	s_mov_b32 s11, exec_lo
	v_cmpx_lt_i32_e32 2, v35
	s_xor_b32 s11, exec_lo, s11
; %bb.8:                                ;   in Loop: Header=BB17_6 Depth=1
	v_dual_mov_b32 v0, v3 :: v_dual_mov_b32 v1, v4
; %bb.9:                                ;   in Loop: Header=BB17_6 Depth=1
	s_and_not1_saveexec_b32 s11, s11
; %bb.10:                               ;   in Loop: Header=BB17_6 Depth=1
	v_dual_mov_b32 v0, v2 :: v_dual_mov_b32 v1, v3
; %bb.11:                               ;   in Loop: Header=BB17_6 Depth=1
	s_or_b32 exec_lo, exec_lo, s11
.LBB17_12:                              ;   in Loop: Header=BB17_6 Depth=1
	s_and_not1_saveexec_b32 s0, s0
	s_cbranch_execz .LBB17_5
; %bb.13:                               ;   in Loop: Header=BB17_6 Depth=1
	s_mov_b32 s11, exec_lo
	v_cmpx_eq_u32_e32 1, v35
	s_cbranch_execz .LBB17_4
; %bb.14:                               ;   in Loop: Header=BB17_6 Depth=1
	v_dual_mov_b32 v0, v1 :: v_dual_mov_b32 v1, v2
	s_branch .LBB17_4
.LBB17_15:
	s_endpgm
	.section	.rodata,"a",@progbits
	.p2align	6, 0x0
	.amdhsa_kernel _ZN2at6native12_GLOBAL__N_124fused_dropout_kernel_vecIN3c104HalfEfjLi1ELi2EbEEvNS_4cuda6detail10TensorInfoIKT_T1_EENS7_IS8_SA_EENS7_IT4_SA_EESA_T0_NS_15PhiloxCudaStateE
		.amdhsa_group_segment_fixed_size 0
		.amdhsa_private_segment_fixed_size 0
		.amdhsa_kernarg_size 944
		.amdhsa_user_sgpr_count 15
		.amdhsa_user_sgpr_dispatch_ptr 0
		.amdhsa_user_sgpr_queue_ptr 0
		.amdhsa_user_sgpr_kernarg_segment_ptr 1
		.amdhsa_user_sgpr_dispatch_id 0
		.amdhsa_user_sgpr_private_segment_size 0
		.amdhsa_wavefront_size32 1
		.amdhsa_uses_dynamic_stack 0
		.amdhsa_enable_private_segment 0
		.amdhsa_system_sgpr_workgroup_id_x 1
		.amdhsa_system_sgpr_workgroup_id_y 0
		.amdhsa_system_sgpr_workgroup_id_z 0
		.amdhsa_system_sgpr_workgroup_info 0
		.amdhsa_system_vgpr_workitem_id 0
		.amdhsa_next_free_vgpr 41
		.amdhsa_next_free_sgpr 16
		.amdhsa_reserve_vcc 1
		.amdhsa_float_round_mode_32 0
		.amdhsa_float_round_mode_16_64 0
		.amdhsa_float_denorm_mode_32 3
		.amdhsa_float_denorm_mode_16_64 3
		.amdhsa_dx10_clamp 1
		.amdhsa_ieee_mode 1
		.amdhsa_fp16_overflow 0
		.amdhsa_workgroup_processor_mode 1
		.amdhsa_memory_ordered 1
		.amdhsa_forward_progress 0
		.amdhsa_shared_vgpr_count 0
		.amdhsa_exception_fp_ieee_invalid_op 0
		.amdhsa_exception_fp_denorm_src 0
		.amdhsa_exception_fp_ieee_div_zero 0
		.amdhsa_exception_fp_ieee_overflow 0
		.amdhsa_exception_fp_ieee_underflow 0
		.amdhsa_exception_fp_ieee_inexact 0
		.amdhsa_exception_int_div_zero 0
	.end_amdhsa_kernel
	.section	.text._ZN2at6native12_GLOBAL__N_124fused_dropout_kernel_vecIN3c104HalfEfjLi1ELi2EbEEvNS_4cuda6detail10TensorInfoIKT_T1_EENS7_IS8_SA_EENS7_IT4_SA_EESA_T0_NS_15PhiloxCudaStateE,"axG",@progbits,_ZN2at6native12_GLOBAL__N_124fused_dropout_kernel_vecIN3c104HalfEfjLi1ELi2EbEEvNS_4cuda6detail10TensorInfoIKT_T1_EENS7_IS8_SA_EENS7_IT4_SA_EESA_T0_NS_15PhiloxCudaStateE,comdat
.Lfunc_end17:
	.size	_ZN2at6native12_GLOBAL__N_124fused_dropout_kernel_vecIN3c104HalfEfjLi1ELi2EbEEvNS_4cuda6detail10TensorInfoIKT_T1_EENS7_IS8_SA_EENS7_IT4_SA_EESA_T0_NS_15PhiloxCudaStateE, .Lfunc_end17-_ZN2at6native12_GLOBAL__N_124fused_dropout_kernel_vecIN3c104HalfEfjLi1ELi2EbEEvNS_4cuda6detail10TensorInfoIKT_T1_EENS7_IS8_SA_EENS7_IT4_SA_EESA_T0_NS_15PhiloxCudaStateE
                                        ; -- End function
	.section	.AMDGPU.csdata,"",@progbits
; Kernel info:
; codeLenInByte = 1900
; NumSgprs: 18
; NumVgprs: 41
; ScratchSize: 0
; MemoryBound: 0
; FloatMode: 240
; IeeeMode: 1
; LDSByteSize: 0 bytes/workgroup (compile time only)
; SGPRBlocks: 2
; VGPRBlocks: 5
; NumSGPRsForWavesPerEU: 18
; NumVGPRsForWavesPerEU: 41
; Occupancy: 16
; WaveLimiterHint : 1
; COMPUTE_PGM_RSRC2:SCRATCH_EN: 0
; COMPUTE_PGM_RSRC2:USER_SGPR: 15
; COMPUTE_PGM_RSRC2:TRAP_HANDLER: 0
; COMPUTE_PGM_RSRC2:TGID_X_EN: 1
; COMPUTE_PGM_RSRC2:TGID_Y_EN: 0
; COMPUTE_PGM_RSRC2:TGID_Z_EN: 0
; COMPUTE_PGM_RSRC2:TIDIG_COMP_CNT: 0
	.section	.text._ZN2at6native12_GLOBAL__N_120fused_dropout_kernelIN3c104HalfEfjLi1ELi1EbEEvNS_4cuda6detail10TensorInfoIKT_T1_EENS7_IS8_SA_EENS7_IT4_SA_EESA_T0_NS_15PhiloxCudaStateE,"axG",@progbits,_ZN2at6native12_GLOBAL__N_120fused_dropout_kernelIN3c104HalfEfjLi1ELi1EbEEvNS_4cuda6detail10TensorInfoIKT_T1_EENS7_IS8_SA_EENS7_IT4_SA_EESA_T0_NS_15PhiloxCudaStateE,comdat
	.globl	_ZN2at6native12_GLOBAL__N_120fused_dropout_kernelIN3c104HalfEfjLi1ELi1EbEEvNS_4cuda6detail10TensorInfoIKT_T1_EENS7_IS8_SA_EENS7_IT4_SA_EESA_T0_NS_15PhiloxCudaStateE ; -- Begin function _ZN2at6native12_GLOBAL__N_120fused_dropout_kernelIN3c104HalfEfjLi1ELi1EbEEvNS_4cuda6detail10TensorInfoIKT_T1_EENS7_IS8_SA_EENS7_IT4_SA_EESA_T0_NS_15PhiloxCudaStateE
	.p2align	8
	.type	_ZN2at6native12_GLOBAL__N_120fused_dropout_kernelIN3c104HalfEfjLi1ELi1EbEEvNS_4cuda6detail10TensorInfoIKT_T1_EENS7_IS8_SA_EENS7_IT4_SA_EESA_T0_NS_15PhiloxCudaStateE,@function
_ZN2at6native12_GLOBAL__N_120fused_dropout_kernelIN3c104HalfEfjLi1ELi1EbEEvNS_4cuda6detail10TensorInfoIKT_T1_EENS7_IS8_SA_EENS7_IT4_SA_EESA_T0_NS_15PhiloxCudaStateE: ; @_ZN2at6native12_GLOBAL__N_120fused_dropout_kernelIN3c104HalfEfjLi1ELi1EbEEvNS_4cuda6detail10TensorInfoIKT_T1_EENS7_IS8_SA_EENS7_IT4_SA_EESA_T0_NS_15PhiloxCudaStateE
; %bb.0:
	s_clause 0x1
	s_load_b128 s[4:7], s[0:1], 0x290
	s_load_b32 s2, s[0:1], 0x2a8
	s_waitcnt lgkmcnt(0)
	v_dual_mov_b32 v1, s6 :: v_dual_mov_b32 v2, s7
	v_dual_mov_b32 v13, s5 :: v_dual_mov_b32 v12, s4
	s_bitcmp0_b32 s2, 0
	s_cbranch_scc1 .LBB18_2
; %bb.1:
	v_dual_mov_b32 v1, s6 :: v_dual_mov_b32 v2, s7
	v_dual_mov_b32 v3, s4 :: v_dual_mov_b32 v4, s5
	s_load_b64 s[2:3], s[0:1], 0x2a0
	flat_load_b64 v[1:2], v[1:2]
	flat_load_b64 v[12:13], v[3:4]
	s_waitcnt vmcnt(1) lgkmcnt(0)
	v_add_co_u32 v1, vcc_lo, v1, s2
	v_add_co_ci_u32_e32 v2, vcc_lo, s3, v2, vcc_lo
.LBB18_2:
	s_clause 0x1
	s_load_b32 s2, s[0:1], 0x2bc
	s_load_b32 s3, s[0:1], 0x2b0
	s_waitcnt lgkmcnt(0)
	s_and_b32 s2, s2, 0xffff
	s_delay_alu instid0(SALU_CYCLE_1)
	s_mul_i32 s4, s3, s2
	s_mul_i32 s13, s15, s2
	s_lshl_b32 s12, s4, 2
	s_load_b64 s[4:5], s[0:1], 0x288
	v_cvt_f32_u32_e32 v3, s12
	s_sub_i32 s7, 0, s12
	v_add_nc_u32_e32 v18, s13, v0
	s_delay_alu instid0(VALU_DEP_2) | instskip(SKIP_4) | instid1(VALU_DEP_1)
	v_rcp_iflag_f32_e32 v3, v3
	s_waitcnt_depctr 0xfff
	v_mul_f32_e32 v3, 0x4f7ffffe, v3
	s_waitcnt lgkmcnt(0)
	s_add_i32 s8, s4, -1
	v_cvt_u32_f32_e32 v3, v3
	s_delay_alu instid0(VALU_DEP_1) | instskip(NEXT) | instid1(VALU_DEP_1)
	v_readfirstlane_b32 s6, v3
	s_mul_i32 s7, s7, s6
	s_delay_alu instid0(SALU_CYCLE_1) | instskip(NEXT) | instid1(SALU_CYCLE_1)
	s_mul_hi_u32 s7, s6, s7
	s_add_i32 s6, s6, s7
	s_delay_alu instid0(SALU_CYCLE_1) | instskip(NEXT) | instid1(SALU_CYCLE_1)
	s_mul_hi_u32 s6, s8, s6
	s_mul_i32 s7, s6, s12
	s_delay_alu instid0(SALU_CYCLE_1)
	s_sub_i32 s7, s8, s7
	s_add_i32 s8, s6, 1
	s_sub_i32 s9, s7, s12
	s_cmp_ge_u32 s7, s12
	s_cselect_b32 s6, s8, s6
	s_cselect_b32 s7, s9, s7
	s_add_i32 s8, s6, 1
	s_cmp_ge_u32 s7, s12
	s_cselect_b32 s6, s8, s6
	s_delay_alu instid0(SALU_CYCLE_1) | instskip(NEXT) | instid1(SALU_CYCLE_1)
	s_add_i32 s6, s6, 1
	s_mul_i32 s14, s12, s6
	s_mov_b32 s6, exec_lo
	v_cmpx_gt_u32_e64 s14, v18
	s_cbranch_execz .LBB18_31
; %bb.3:
	v_alignbit_b32 v19, v2, v1, 2
	v_mad_u64_u32 v[3:4], null, 0xcd9e8d57, v18, 0
	v_lshrrev_b32_e32 v20, 2, v2
	s_waitcnt vmcnt(0)
	v_dual_mov_b32 v10, v13 :: v_dual_mov_b32 v15, 0
	v_mad_u64_u32 v[5:6], null, 0xd2511f53, v19, 0
	v_add_co_u32 v22, null, 0x9e3779b9, v12
	v_xor3_b32 v2, v12, v4, v20
	s_delay_alu instid0(VALU_DEP_4) | instskip(SKIP_2) | instid1(VALU_DEP_4)
	v_add_co_u32 v21, null, 0xbb67ae85, v10
	v_add_co_u32 v23, null, 0x3c6ef372, v12
	v_xor_b32_e32 v4, v6, v13
	v_mad_u64_u32 v[6:7], null, 0xd2511f53, v2, 0
	v_add_co_u32 v24, null, 0x76cf5d0a, v10
	s_delay_alu instid0(VALU_DEP_3) | instskip(SKIP_1) | instid1(VALU_DEP_4)
	v_mad_u64_u32 v[8:9], null, 0xcd9e8d57, v4, 0
	v_add_co_u32 v25, null, 0x32370b8f, v10
	v_xor3_b32 v4, v21, v7, v5
	v_add_co_u32 v26, null, 0xdaa66d2b, v12
	v_add_co_u32 v27, null, 0x78dde6e4, v12
	v_xor3_b32 v7, v9, v22, v3
	s_delay_alu instid0(VALU_DEP_4) | instskip(SKIP_1) | instid1(VALU_DEP_3)
	v_mad_u64_u32 v[2:3], null, 0xcd9e8d57, v4, 0
	v_add_co_u32 v28, null, 0xed9eba14, v10
	v_mad_u64_u32 v[4:5], null, 0xd2511f53, v7, 0
	v_and_b32_e32 v29, 3, v1
	v_add_co_u32 v32, null, 0xa9066899, v10
	v_xor3_b32 v3, v23, v3, v8
	v_add_co_u32 v33, null, 0x1715609d, v12
	v_xor3_b32 v9, v5, v24, v6
	v_add_co_u32 v34, null, 0xb54cda56, v12
	s_delay_alu instid0(VALU_DEP_4) | instskip(NEXT) | instid1(VALU_DEP_3)
	v_mad_u64_u32 v[5:6], null, 0xd2511f53, v3, 0
	v_mad_u64_u32 v[7:8], null, 0xcd9e8d57, v9, 0
	v_add_co_u32 v36, null, 0x646e171e, v10
	v_add_co_u32 v35, null, 0x5384540f, v12
	s_delay_alu instid0(VALU_DEP_4) | instskip(SKIP_3) | instid1(VALU_DEP_4)
	v_xor3_b32 v4, v25, v6, v4
	v_add_co_u32 v38, null, 0x1fd5c5a3, v10
	v_xor3_b32 v6, v8, v26, v2
	v_div_scale_f32 v11, vcc_lo, 1.0, s5, 1.0
	v_mad_u64_u32 v[2:3], null, 0xcd9e8d57, v4, 0
	s_delay_alu instid0(VALU_DEP_3) | instskip(SKIP_3) | instid1(VALU_DEP_4)
	v_mad_u64_u32 v[8:9], null, 0xd2511f53, v6, 0
	s_mul_i32 s17, s3, 3
	v_add_co_u32 v37, null, 0xf1bbcdc8, v12
	v_add_co_u32 v39, null, 0xdb3d7428, v10
	v_xor3_b32 v1, v27, v3, v7
	s_delay_alu instid0(VALU_DEP_4) | instskip(SKIP_2) | instid1(VALU_DEP_3)
	v_xor3_b32 v7, v9, v28, v5
	v_div_scale_f32 v9, null, s5, s5, 1.0
	s_add_i32 s18, s15, s17
	v_mad_u64_u32 v[3:4], null, 0xd2511f53, v1, 0
	s_delay_alu instid0(VALU_DEP_3) | instskip(NEXT) | instid1(VALU_DEP_3)
	v_mad_u64_u32 v[5:6], null, 0xcd9e8d57, v7, 0
	v_rcp_f32_e32 v14, v9
	s_clause 0x2
	s_load_b64 s[6:7], s[0:1], 0x0
	s_load_b32 s19, s[0:1], 0x144
	s_load_b64 s[8:9], s[0:1], 0x1b0
	s_delay_alu instid0(VALU_DEP_2)
	v_xor3_b32 v4, v32, v4, v8
	s_clause 0x1
	s_load_b64 s[10:11], s[0:1], 0xd8
	s_load_b32 s0, s[0:1], 0x6c
	v_xor3_b32 v8, v6, v33, v2
	s_mul_i32 s18, s18, s2
	s_lshl_b32 s1, s3, 1
	v_mad_u64_u32 v[1:2], null, 0xcd9e8d57, v4, 0
	s_delay_alu instid0(VALU_DEP_2)
	v_mad_u64_u32 v[6:7], null, 0xd2511f53, v8, 0
	s_waitcnt_depctr 0xfff
	v_fma_f32 v4, -v9, v14, 1.0
	v_dual_mov_b32 v49, 0 :: v_dual_add_nc_u32 v30, 0x8ff34781, v12
	s_add_i32 s1, s15, s1
	v_xor3_b32 v5, v34, v2, v5
	s_delay_alu instid0(VALU_DEP_3)
	v_fmac_f32_e32 v14, v4, v14
	v_xor3_b32 v7, v7, v36, v3
	v_add_nc_u32_e32 v31, 0x96a522ad, v13
	s_add_i32 s15, s15, s3
	v_mad_u64_u32 v[2:3], null, 0xd2511f53, v5, 0
	v_mul_f32_e32 v16, v11, v14
	v_mad_u64_u32 v[4:5], null, 0xcd9e8d57, v7, 0
	s_mul_i32 s17, s1, s2
	s_mul_i32 s15, s15, s2
	s_delay_alu instid0(VALU_DEP_2) | instskip(NEXT) | instid1(VALU_DEP_4)
	v_fma_f32 v17, -v9, v16, v11
	v_xor3_b32 v3, v38, v3, v6
	s_waitcnt lgkmcnt(0)
	v_mul_lo_u32 v40, s19, v18
	v_mul_lo_u32 v41, s0, v18
	v_xor3_b32 v1, v5, v35, v1
	v_fmac_f32_e32 v16, v17, v14
	v_mad_u64_u32 v[5:6], null, 0xcd9e8d57, v3, 0
	s_mul_i32 s1, s3, s19
	s_delay_alu instid0(VALU_DEP_3) | instskip(NEXT) | instid1(VALU_DEP_3)
	v_mad_u64_u32 v[7:8], null, 0xd2511f53, v1, 0
	v_fma_f32 v10, -v9, v16, v11
	s_mul_i32 s3, s3, s0
	s_mul_i32 s1, s1, s2
	s_delay_alu instid0(VALU_DEP_3) | instskip(SKIP_2) | instid1(VALU_DEP_4)
	v_xor3_b32 v1, v37, v6, v4
	v_add_nc_u32_e32 v6, s17, v0
	s_mul_i32 s3, s3, s2
	v_xor3_b32 v4, v8, v39, v2
	s_mov_b32 s16, 0
	v_mad_u64_u32 v[8:9], null, 0xd2511f53, v1, 0
	v_div_fmas_f32 v1, v10, v14, v16
	s_delay_alu instid0(VALU_DEP_3) | instskip(SKIP_2) | instid1(VALU_DEP_4)
	v_mad_u64_u32 v[2:3], null, 0xcd9e8d57, v4, 0
	v_mul_lo_u32 v43, s0, v6
	v_mul_lo_u32 v44, s19, v6
	v_div_fixup_f32 v42, v1, s5, 1.0
	v_mov_b32_e32 v4, v8
	s_lshl_b32 s20, s3, 2
	s_mov_b32 s21, 0
	v_xor3_b32 v1, v5, v3, v30
	v_xor3_b32 v3, v9, v7, v31
	v_add_nc_u32_e32 v7, s15, v0
	v_add_nc_u32_e32 v5, s18, v0
	s_mov_b32 s22, 0
                                        ; implicit-def: $vgpr50
                                        ; implicit-def: $vgpr51
                                        ; implicit-def: $vgpr52
                                        ; implicit-def: $vgpr53
	s_delay_alu instid0(VALU_DEP_2) | instskip(NEXT) | instid1(VALU_DEP_2)
	v_mul_lo_u32 v47, s19, v7
	v_mul_lo_u32 v45, s0, v5
	;; [unrolled: 1-line block ×4, first 2 shown]
	s_lshl_b32 s19, s1, 2
	s_branch .LBB18_5
.LBB18_4:                               ;   in Loop: Header=BB18_5 Depth=1
	s_or_b32 exec_lo, exec_lo, s1
	v_mov_b32_e32 v8, v16
	v_add_nc_u32_e32 v0, s12, v0
	s_add_i32 s22, s22, s19
	s_add_i32 s21, s21, s20
	s_waitcnt vmcnt(0)
	s_waitcnt_vscnt null, 0x0
	s_barrier
	v_add_nc_u32_e32 v1, s13, v0
	buffer_gl0_inv
	v_cmp_le_u32_e32 vcc_lo, s14, v1
	v_dual_mov_b32 v1, v5 :: v_dual_mov_b32 v2, v6
	v_dual_mov_b32 v3, v7 :: v_dual_mov_b32 v4, v8
	s_or_b32 s16, vcc_lo, s16
	s_delay_alu instid0(SALU_CYCLE_1)
	s_and_not1_b32 exec_lo, exec_lo, s16
	s_cbranch_execz .LBB18_31
.LBB18_5:                               ; =>This Inner Loop Header: Depth=1
	v_add_co_u32 v19, vcc_lo, v19, 1
	s_delay_alu instid0(VALU_DEP_1) | instskip(SKIP_2) | instid1(VALU_DEP_1)
	v_cndmask_b32_e64 v5, 0, 1, vcc_lo
	v_add_co_ci_u32_e32 v20, vcc_lo, 0, v20, vcc_lo
	s_mov_b32 s0, exec_lo
	v_cmp_eq_u32_e32 vcc_lo, 0, v20
	s_delay_alu instid0(VALU_DEP_3) | instskip(NEXT) | instid1(VALU_DEP_1)
	v_cndmask_b32_e32 v5, 0, v5, vcc_lo
	v_add_nc_u32_e32 v18, v5, v18
	s_delay_alu instid0(VALU_DEP_1) | instskip(SKIP_2) | instid1(VALU_DEP_2)
	v_cmp_eq_u32_e32 vcc_lo, 0, v18
	v_cndmask_b32_e32 v5, 0, v5, vcc_lo
	v_mad_u64_u32 v[7:8], null, 0xcd9e8d57, v18, 0
	v_add_nc_u32_e32 v49, v5, v49
	v_mad_u64_u32 v[5:6], null, 0xd2511f53, v19, 0
	s_delay_alu instid0(VALU_DEP_3) | instskip(NEXT) | instid1(VALU_DEP_2)
	v_xor3_b32 v10, v8, v12, v20
	v_xor_b32_e32 v6, v6, v13
	s_delay_alu instid0(VALU_DEP_2) | instskip(NEXT) | instid1(VALU_DEP_2)
	v_mad_u64_u32 v[8:9], null, 0xd2511f53, v10, 0
	v_xor_b32_e32 v6, v49, v6
	s_delay_alu instid0(VALU_DEP_2) | instskip(NEXT) | instid1(VALU_DEP_2)
	v_xor3_b32 v9, v21, v9, v5
	v_mad_u64_u32 v[10:11], null, 0xcd9e8d57, v6, 0
	s_delay_alu instid0(VALU_DEP_2) | instskip(NEXT) | instid1(VALU_DEP_2)
	v_mad_u64_u32 v[5:6], null, 0xcd9e8d57, v9, 0
	v_xor3_b32 v7, v22, v11, v7
	s_delay_alu instid0(VALU_DEP_2) | instskip(NEXT) | instid1(VALU_DEP_2)
	v_xor3_b32 v9, v23, v6, v10
	v_mad_u64_u32 v[16:17], null, 0xd2511f53, v7, 0
	s_delay_alu instid0(VALU_DEP_2) | instskip(NEXT) | instid1(VALU_DEP_2)
	v_mad_u64_u32 v[6:7], null, 0xd2511f53, v9, 0
	v_xor3_b32 v10, v24, v17, v8
	s_delay_alu instid0(VALU_DEP_2) | instskip(NEXT) | instid1(VALU_DEP_2)
	v_xor3_b32 v7, v25, v7, v16
	v_mad_u64_u32 v[8:9], null, 0xcd9e8d57, v10, 0
	s_delay_alu instid0(VALU_DEP_1) | instskip(NEXT) | instid1(VALU_DEP_3)
	v_xor3_b32 v5, v26, v9, v5
	v_mad_u64_u32 v[9:10], null, 0xcd9e8d57, v7, 0
	s_delay_alu instid0(VALU_DEP_2) | instskip(NEXT) | instid1(VALU_DEP_2)
	v_mad_u64_u32 v[16:17], null, 0xd2511f53, v5, 0
	v_xor3_b32 v7, v27, v10, v8
	s_delay_alu instid0(VALU_DEP_2) | instskip(NEXT) | instid1(VALU_DEP_2)
	v_xor3_b32 v10, v28, v17, v6
	v_mad_u64_u32 v[5:6], null, 0xd2511f53, v7, 0
	s_delay_alu instid0(VALU_DEP_2) | instskip(NEXT) | instid1(VALU_DEP_2)
	v_mad_u64_u32 v[7:8], null, 0xcd9e8d57, v10, 0
	v_xor3_b32 v6, v32, v6, v16
	s_delay_alu instid0(VALU_DEP_2) | instskip(NEXT) | instid1(VALU_DEP_2)
	;; [unrolled: 6-line block ×6, first 2 shown]
	v_xor3_b32 v5, v7, v8, v30
	v_mov_b32_e32 v7, v11
	v_cmpx_lt_i32_e32 1, v29
	s_xor_b32 s0, exec_lo, s0
	s_cbranch_execz .LBB18_11
; %bb.6:                                ;   in Loop: Header=BB18_5 Depth=1
	s_mov_b32 s1, exec_lo
	v_cmpx_lt_i32_e32 2, v29
	s_xor_b32 s1, exec_lo, s1
; %bb.7:                                ;   in Loop: Header=BB18_5 Depth=1
	v_dual_mov_b32 v8, v4 :: v_dual_mov_b32 v9, v5
	v_mov_b32_e32 v10, v6
	s_delay_alu instid0(VALU_DEP_2) | instskip(NEXT) | instid1(VALU_DEP_2)
	v_dual_mov_b32 v1, v8 :: v_dual_mov_b32 v2, v9
	v_dual_mov_b32 v3, v10 :: v_dual_mov_b32 v4, v11
; %bb.8:                                ;   in Loop: Header=BB18_5 Depth=1
	s_and_not1_saveexec_b32 s1, s1
; %bb.9:                                ;   in Loop: Header=BB18_5 Depth=1
	s_delay_alu instid0(VALU_DEP_1)
	v_dual_mov_b32 v1, v3 :: v_dual_mov_b32 v2, v4
	v_dual_mov_b32 v3, v5 :: v_dual_mov_b32 v4, v6
; %bb.10:                               ;   in Loop: Header=BB18_5 Depth=1
	s_or_b32 exec_lo, exec_lo, s1
.LBB18_11:                              ;   in Loop: Header=BB18_5 Depth=1
	s_and_not1_saveexec_b32 s0, s0
	s_cbranch_execz .LBB18_15
; %bb.12:                               ;   in Loop: Header=BB18_5 Depth=1
	s_mov_b32 s1, exec_lo
	v_cmpx_eq_u32_e32 1, v29
; %bb.13:                               ;   in Loop: Header=BB18_5 Depth=1
	v_dual_mov_b32 v1, v2 :: v_dual_mov_b32 v2, v3
	v_dual_mov_b32 v3, v4 :: v_dual_mov_b32 v4, v5
; %bb.14:                               ;   in Loop: Header=BB18_5 Depth=1
	s_or_b32 exec_lo, exec_lo, s1
.LBB18_15:                              ;   in Loop: Header=BB18_5 Depth=1
	s_delay_alu instid0(SALU_CYCLE_1) | instskip(SKIP_1) | instid1(VALU_DEP_1)
	s_or_b32 exec_lo, exec_lo, s0
	v_add_nc_u32_e32 v8, s13, v0
	v_cmp_gt_u32_e64 s2, s4, v8
	s_delay_alu instid0(VALU_DEP_1)
	s_and_saveexec_b32 s0, s2
	s_cbranch_execz .LBB18_17
; %bb.16:                               ;   in Loop: Header=BB18_5 Depth=1
	v_add_nc_u32_e32 v14, s21, v41
	s_delay_alu instid0(VALU_DEP_1) | instskip(NEXT) | instid1(VALU_DEP_1)
	v_lshlrev_b64 v[8:9], 1, v[14:15]
	v_add_co_u32 v8, vcc_lo, s6, v8
	s_delay_alu instid0(VALU_DEP_2)
	v_add_co_ci_u32_e32 v9, vcc_lo, s7, v9, vcc_lo
	global_load_u16 v53, v[8:9], off
.LBB18_17:                              ;   in Loop: Header=BB18_5 Depth=1
	s_or_b32 exec_lo, exec_lo, s0
	v_add_nc_u32_e32 v8, s15, v0
	s_delay_alu instid0(VALU_DEP_1) | instskip(NEXT) | instid1(VALU_DEP_1)
	v_cmp_gt_u32_e64 s1, s4, v8
	s_and_saveexec_b32 s0, s1
	s_cbranch_execz .LBB18_19
; %bb.18:                               ;   in Loop: Header=BB18_5 Depth=1
	v_add_nc_u32_e32 v14, s21, v48
	s_delay_alu instid0(VALU_DEP_1) | instskip(NEXT) | instid1(VALU_DEP_1)
	v_lshlrev_b64 v[8:9], 1, v[14:15]
	v_add_co_u32 v8, vcc_lo, s6, v8
	s_delay_alu instid0(VALU_DEP_2)
	v_add_co_ci_u32_e32 v9, vcc_lo, s7, v9, vcc_lo
	global_load_u16 v52, v[8:9], off
.LBB18_19:                              ;   in Loop: Header=BB18_5 Depth=1
	s_or_b32 exec_lo, exec_lo, s0
	v_add_nc_u32_e32 v8, s17, v0
	s_delay_alu instid0(VALU_DEP_1) | instskip(NEXT) | instid1(VALU_DEP_1)
	v_cmp_gt_u32_e64 s0, s4, v8
	s_and_saveexec_b32 s3, s0
	s_cbranch_execz .LBB18_21
; %bb.20:                               ;   in Loop: Header=BB18_5 Depth=1
	v_add_nc_u32_e32 v14, s21, v43
	s_delay_alu instid0(VALU_DEP_1) | instskip(NEXT) | instid1(VALU_DEP_1)
	v_lshlrev_b64 v[8:9], 1, v[14:15]
	v_add_co_u32 v8, vcc_lo, s6, v8
	s_delay_alu instid0(VALU_DEP_2)
	v_add_co_ci_u32_e32 v9, vcc_lo, s7, v9, vcc_lo
	global_load_u16 v51, v[8:9], off
.LBB18_21:                              ;   in Loop: Header=BB18_5 Depth=1
	s_or_b32 exec_lo, exec_lo, s3
	v_add_nc_u32_e32 v8, s18, v0
	s_delay_alu instid0(VALU_DEP_1)
	v_cmp_gt_u32_e32 vcc_lo, s4, v8
	s_and_saveexec_b32 s23, vcc_lo
	s_cbranch_execnz .LBB18_26
; %bb.22:                               ;   in Loop: Header=BB18_5 Depth=1
	s_or_b32 exec_lo, exec_lo, s23
	s_and_saveexec_b32 s23, s2
	s_cbranch_execnz .LBB18_27
.LBB18_23:                              ;   in Loop: Header=BB18_5 Depth=1
	s_or_b32 exec_lo, exec_lo, s23
	s_and_saveexec_b32 s3, s1
	s_cbranch_execnz .LBB18_28
.LBB18_24:                              ;   in Loop: Header=BB18_5 Depth=1
	s_or_b32 exec_lo, exec_lo, s3
	s_and_saveexec_b32 s2, s0
	s_cbranch_execnz .LBB18_29
.LBB18_25:                              ;   in Loop: Header=BB18_5 Depth=1
	s_or_b32 exec_lo, exec_lo, s2
	s_and_saveexec_b32 s1, vcc_lo
	s_cbranch_execz .LBB18_4
	s_branch .LBB18_30
.LBB18_26:                              ;   in Loop: Header=BB18_5 Depth=1
	v_add_nc_u32_e32 v14, s21, v45
	s_delay_alu instid0(VALU_DEP_1) | instskip(NEXT) | instid1(VALU_DEP_1)
	v_lshlrev_b64 v[8:9], 1, v[14:15]
	v_add_co_u32 v8, s3, s6, v8
	s_delay_alu instid0(VALU_DEP_1)
	v_add_co_ci_u32_e64 v9, s3, s7, v9, s3
	global_load_u16 v50, v[8:9], off
	s_or_b32 exec_lo, exec_lo, s23
	s_and_saveexec_b32 s23, s2
	s_cbranch_execz .LBB18_23
.LBB18_27:                              ;   in Loop: Header=BB18_5 Depth=1
	v_cvt_f32_u32_e32 v1, v1
	s_waitcnt vmcnt(0)
	v_cvt_f32_f16_e32 v10, v53
	s_delay_alu instid0(VALU_DEP_2) | instskip(NEXT) | instid1(VALU_DEP_1)
	v_dual_fmaak_f32 v1, 0x2f800000, v1, 0x2f800000 :: v_dual_add_nc_u32 v14, s22, v40
	v_lshlrev_b64 v[8:9], 1, v[14:15]
	s_delay_alu instid0(VALU_DEP_2) | instskip(NEXT) | instid1(VALU_DEP_2)
	v_cmp_gt_f32_e64 s2, s5, v1
	v_add_co_u32 v8, s3, s10, v8
	s_delay_alu instid0(VALU_DEP_2) | instskip(NEXT) | instid1(VALU_DEP_4)
	v_cndmask_b32_e64 v1, 0, 1.0, s2
	v_add_co_ci_u32_e64 v9, s3, s11, v9, s3
	s_delay_alu instid0(VALU_DEP_2) | instskip(SKIP_1) | instid1(VALU_DEP_2)
	v_mul_f32_e32 v1, v1, v10
	v_cndmask_b32_e64 v10, 0, 1, s2
	v_fma_mixlo_f16 v1, v42, v1, 0
	global_store_b16 v[8:9], v1, off
	global_store_b8 v14, v10, s[8:9]
	s_or_b32 exec_lo, exec_lo, s23
	s_and_saveexec_b32 s3, s1
	s_cbranch_execz .LBB18_24
.LBB18_28:                              ;   in Loop: Header=BB18_5 Depth=1
	v_cvt_f32_u32_e32 v1, v2
	s_waitcnt vmcnt(0)
	v_cvt_f32_f16_e32 v8, v52
	s_delay_alu instid0(VALU_DEP_2) | instskip(NEXT) | instid1(VALU_DEP_1)
	v_dual_fmaak_f32 v1, 0x2f800000, v1, 0x2f800000 :: v_dual_add_nc_u32 v14, s22, v47
	v_cmp_gt_f32_e64 s1, s5, v1
	s_delay_alu instid0(VALU_DEP_2) | instskip(NEXT) | instid1(VALU_DEP_2)
	v_lshlrev_b64 v[1:2], 1, v[14:15]
	v_cndmask_b32_e64 v9, 0, 1.0, s1
	s_delay_alu instid0(VALU_DEP_2) | instskip(NEXT) | instid1(VALU_DEP_1)
	v_add_co_u32 v1, s2, s10, v1
	v_add_co_ci_u32_e64 v2, s2, s11, v2, s2
	s_delay_alu instid0(VALU_DEP_3) | instskip(SKIP_1) | instid1(VALU_DEP_2)
	v_mul_f32_e32 v8, v9, v8
	v_cndmask_b32_e64 v9, 0, 1, s1
	v_fma_mixlo_f16 v8, v42, v8, 0
	global_store_b16 v[1:2], v8, off
	global_store_b8 v14, v9, s[8:9]
	s_or_b32 exec_lo, exec_lo, s3
	s_and_saveexec_b32 s2, s0
	s_cbranch_execz .LBB18_25
.LBB18_29:                              ;   in Loop: Header=BB18_5 Depth=1
	v_cvt_f32_u32_e32 v1, v3
	s_waitcnt vmcnt(0)
	v_cvt_f32_f16_e32 v3, v51
	s_delay_alu instid0(VALU_DEP_2) | instskip(NEXT) | instid1(VALU_DEP_1)
	v_dual_fmaak_f32 v1, 0x2f800000, v1, 0x2f800000 :: v_dual_add_nc_u32 v14, s22, v44
	v_cmp_gt_f32_e64 s0, s5, v1
	s_delay_alu instid0(VALU_DEP_2) | instskip(NEXT) | instid1(VALU_DEP_2)
	v_lshlrev_b64 v[1:2], 1, v[14:15]
	v_cndmask_b32_e64 v8, 0, 1.0, s0
	s_delay_alu instid0(VALU_DEP_2) | instskip(NEXT) | instid1(VALU_DEP_1)
	v_add_co_u32 v1, s1, s10, v1
	v_add_co_ci_u32_e64 v2, s1, s11, v2, s1
	s_delay_alu instid0(VALU_DEP_3) | instskip(SKIP_1) | instid1(VALU_DEP_2)
	v_mul_f32_e32 v3, v8, v3
	v_cndmask_b32_e64 v8, 0, 1, s0
	v_fma_mixlo_f16 v3, v42, v3, 0
	global_store_b16 v[1:2], v3, off
	global_store_b8 v14, v8, s[8:9]
	s_or_b32 exec_lo, exec_lo, s2
	s_and_saveexec_b32 s1, vcc_lo
	s_cbranch_execz .LBB18_4
.LBB18_30:                              ;   in Loop: Header=BB18_5 Depth=1
	v_cvt_f32_u32_e32 v1, v4
	s_waitcnt vmcnt(0)
	v_cvt_f32_f16_e32 v3, v50
	s_delay_alu instid0(VALU_DEP_2) | instskip(NEXT) | instid1(VALU_DEP_1)
	v_dual_fmaak_f32 v1, 0x2f800000, v1, 0x2f800000 :: v_dual_add_nc_u32 v14, s22, v46
	v_cmp_gt_f32_e32 vcc_lo, s5, v1
	s_delay_alu instid0(VALU_DEP_2) | instskip(SKIP_1) | instid1(VALU_DEP_2)
	v_lshlrev_b64 v[1:2], 1, v[14:15]
	v_cndmask_b32_e64 v4, 0, 1.0, vcc_lo
	v_add_co_u32 v1, s0, s10, v1
	s_delay_alu instid0(VALU_DEP_1) | instskip(NEXT) | instid1(VALU_DEP_3)
	v_add_co_ci_u32_e64 v2, s0, s11, v2, s0
	v_mul_f32_e32 v3, v4, v3
	v_cndmask_b32_e64 v4, 0, 1, vcc_lo
	s_delay_alu instid0(VALU_DEP_2)
	v_fma_mixlo_f16 v3, v42, v3, 0
	global_store_b16 v[1:2], v3, off
	global_store_b8 v14, v4, s[8:9]
	s_branch .LBB18_4
.LBB18_31:
	s_endpgm
	.section	.rodata,"a",@progbits
	.p2align	6, 0x0
	.amdhsa_kernel _ZN2at6native12_GLOBAL__N_120fused_dropout_kernelIN3c104HalfEfjLi1ELi1EbEEvNS_4cuda6detail10TensorInfoIKT_T1_EENS7_IS8_SA_EENS7_IT4_SA_EESA_T0_NS_15PhiloxCudaStateE
		.amdhsa_group_segment_fixed_size 0
		.amdhsa_private_segment_fixed_size 0
		.amdhsa_kernarg_size 944
		.amdhsa_user_sgpr_count 15
		.amdhsa_user_sgpr_dispatch_ptr 0
		.amdhsa_user_sgpr_queue_ptr 0
		.amdhsa_user_sgpr_kernarg_segment_ptr 1
		.amdhsa_user_sgpr_dispatch_id 0
		.amdhsa_user_sgpr_private_segment_size 0
		.amdhsa_wavefront_size32 1
		.amdhsa_uses_dynamic_stack 0
		.amdhsa_enable_private_segment 0
		.amdhsa_system_sgpr_workgroup_id_x 1
		.amdhsa_system_sgpr_workgroup_id_y 0
		.amdhsa_system_sgpr_workgroup_id_z 0
		.amdhsa_system_sgpr_workgroup_info 0
		.amdhsa_system_vgpr_workitem_id 0
		.amdhsa_next_free_vgpr 54
		.amdhsa_next_free_sgpr 24
		.amdhsa_reserve_vcc 1
		.amdhsa_float_round_mode_32 0
		.amdhsa_float_round_mode_16_64 0
		.amdhsa_float_denorm_mode_32 3
		.amdhsa_float_denorm_mode_16_64 3
		.amdhsa_dx10_clamp 1
		.amdhsa_ieee_mode 1
		.amdhsa_fp16_overflow 0
		.amdhsa_workgroup_processor_mode 1
		.amdhsa_memory_ordered 1
		.amdhsa_forward_progress 0
		.amdhsa_shared_vgpr_count 0
		.amdhsa_exception_fp_ieee_invalid_op 0
		.amdhsa_exception_fp_denorm_src 0
		.amdhsa_exception_fp_ieee_div_zero 0
		.amdhsa_exception_fp_ieee_overflow 0
		.amdhsa_exception_fp_ieee_underflow 0
		.amdhsa_exception_fp_ieee_inexact 0
		.amdhsa_exception_int_div_zero 0
	.end_amdhsa_kernel
	.section	.text._ZN2at6native12_GLOBAL__N_120fused_dropout_kernelIN3c104HalfEfjLi1ELi1EbEEvNS_4cuda6detail10TensorInfoIKT_T1_EENS7_IS8_SA_EENS7_IT4_SA_EESA_T0_NS_15PhiloxCudaStateE,"axG",@progbits,_ZN2at6native12_GLOBAL__N_120fused_dropout_kernelIN3c104HalfEfjLi1ELi1EbEEvNS_4cuda6detail10TensorInfoIKT_T1_EENS7_IS8_SA_EENS7_IT4_SA_EESA_T0_NS_15PhiloxCudaStateE,comdat
.Lfunc_end18:
	.size	_ZN2at6native12_GLOBAL__N_120fused_dropout_kernelIN3c104HalfEfjLi1ELi1EbEEvNS_4cuda6detail10TensorInfoIKT_T1_EENS7_IS8_SA_EENS7_IT4_SA_EESA_T0_NS_15PhiloxCudaStateE, .Lfunc_end18-_ZN2at6native12_GLOBAL__N_120fused_dropout_kernelIN3c104HalfEfjLi1ELi1EbEEvNS_4cuda6detail10TensorInfoIKT_T1_EENS7_IS8_SA_EENS7_IT4_SA_EESA_T0_NS_15PhiloxCudaStateE
                                        ; -- End function
	.section	.AMDGPU.csdata,"",@progbits
; Kernel info:
; codeLenInByte = 2876
; NumSgprs: 26
; NumVgprs: 54
; ScratchSize: 0
; MemoryBound: 0
; FloatMode: 240
; IeeeMode: 1
; LDSByteSize: 0 bytes/workgroup (compile time only)
; SGPRBlocks: 3
; VGPRBlocks: 6
; NumSGPRsForWavesPerEU: 26
; NumVGPRsForWavesPerEU: 54
; Occupancy: 16
; WaveLimiterHint : 1
; COMPUTE_PGM_RSRC2:SCRATCH_EN: 0
; COMPUTE_PGM_RSRC2:USER_SGPR: 15
; COMPUTE_PGM_RSRC2:TRAP_HANDLER: 0
; COMPUTE_PGM_RSRC2:TGID_X_EN: 1
; COMPUTE_PGM_RSRC2:TGID_Y_EN: 0
; COMPUTE_PGM_RSRC2:TGID_Z_EN: 0
; COMPUTE_PGM_RSRC2:TIDIG_COMP_CNT: 0
	.section	.text._ZN2at6native12_GLOBAL__N_120fused_dropout_kernelIN3c104HalfEfjLin1ELi1EbEEvNS_4cuda6detail10TensorInfoIKT_T1_EENS7_IS8_SA_EENS7_IT4_SA_EESA_T0_NS_15PhiloxCudaStateE,"axG",@progbits,_ZN2at6native12_GLOBAL__N_120fused_dropout_kernelIN3c104HalfEfjLin1ELi1EbEEvNS_4cuda6detail10TensorInfoIKT_T1_EENS7_IS8_SA_EENS7_IT4_SA_EESA_T0_NS_15PhiloxCudaStateE,comdat
	.globl	_ZN2at6native12_GLOBAL__N_120fused_dropout_kernelIN3c104HalfEfjLin1ELi1EbEEvNS_4cuda6detail10TensorInfoIKT_T1_EENS7_IS8_SA_EENS7_IT4_SA_EESA_T0_NS_15PhiloxCudaStateE ; -- Begin function _ZN2at6native12_GLOBAL__N_120fused_dropout_kernelIN3c104HalfEfjLin1ELi1EbEEvNS_4cuda6detail10TensorInfoIKT_T1_EENS7_IS8_SA_EENS7_IT4_SA_EESA_T0_NS_15PhiloxCudaStateE
	.p2align	8
	.type	_ZN2at6native12_GLOBAL__N_120fused_dropout_kernelIN3c104HalfEfjLin1ELi1EbEEvNS_4cuda6detail10TensorInfoIKT_T1_EENS7_IS8_SA_EENS7_IT4_SA_EESA_T0_NS_15PhiloxCudaStateE,@function
_ZN2at6native12_GLOBAL__N_120fused_dropout_kernelIN3c104HalfEfjLin1ELi1EbEEvNS_4cuda6detail10TensorInfoIKT_T1_EENS7_IS8_SA_EENS7_IT4_SA_EESA_T0_NS_15PhiloxCudaStateE: ; @_ZN2at6native12_GLOBAL__N_120fused_dropout_kernelIN3c104HalfEfjLin1ELi1EbEEvNS_4cuda6detail10TensorInfoIKT_T1_EENS7_IS8_SA_EENS7_IT4_SA_EESA_T0_NS_15PhiloxCudaStateE
; %bb.0:
	s_clause 0x1
	s_load_b128 s[4:7], s[0:1], 0x290
	s_load_b32 s2, s[0:1], 0x2a8
	s_waitcnt lgkmcnt(0)
	v_dual_mov_b32 v1, s6 :: v_dual_mov_b32 v2, s7
	v_dual_mov_b32 v12, s5 :: v_dual_mov_b32 v11, s4
	s_bitcmp0_b32 s2, 0
	s_cbranch_scc1 .LBB19_2
; %bb.1:
	v_dual_mov_b32 v1, s6 :: v_dual_mov_b32 v2, s7
	v_dual_mov_b32 v3, s4 :: v_dual_mov_b32 v4, s5
	s_load_b64 s[2:3], s[0:1], 0x2a0
	flat_load_b64 v[1:2], v[1:2]
	flat_load_b64 v[11:12], v[3:4]
	s_waitcnt vmcnt(1) lgkmcnt(0)
	v_add_co_u32 v1, vcc_lo, v1, s2
	v_add_co_ci_u32_e32 v2, vcc_lo, s3, v2, vcc_lo
.LBB19_2:
	s_clause 0x2
	s_load_b32 s2, s[0:1], 0x2bc
	s_load_b32 s18, s[0:1], 0x2b0
	s_load_b64 s[4:5], s[0:1], 0x288
	s_waitcnt lgkmcnt(0)
	s_and_b32 s2, s2, 0xffff
	s_add_i32 s7, s4, -1
	s_mul_i32 s18, s18, s2
	v_mad_u64_u32 v[13:14], null, s15, s2, v[0:1]
	s_lshl_b32 s19, s18, 2
	s_delay_alu instid0(SALU_CYCLE_1) | instskip(SKIP_1) | instid1(VALU_DEP_1)
	v_cvt_f32_u32_e32 v3, s19
	s_sub_i32 s6, 0, s19
	v_rcp_iflag_f32_e32 v3, v3
	s_waitcnt_depctr 0xfff
	v_mul_f32_e32 v3, 0x4f7ffffe, v3
	s_delay_alu instid0(VALU_DEP_1) | instskip(NEXT) | instid1(VALU_DEP_1)
	v_cvt_u32_f32_e32 v3, v3
	v_readfirstlane_b32 s3, v3
	s_delay_alu instid0(VALU_DEP_1) | instskip(NEXT) | instid1(SALU_CYCLE_1)
	s_mul_i32 s6, s6, s3
	s_mul_hi_u32 s6, s3, s6
	s_delay_alu instid0(SALU_CYCLE_1) | instskip(NEXT) | instid1(SALU_CYCLE_1)
	s_add_i32 s3, s3, s6
	s_mul_hi_u32 s3, s7, s3
	s_delay_alu instid0(SALU_CYCLE_1) | instskip(NEXT) | instid1(SALU_CYCLE_1)
	s_mul_i32 s6, s3, s19
	s_sub_i32 s6, s7, s6
	s_add_i32 s7, s3, 1
	s_sub_i32 s8, s6, s19
	s_cmp_ge_u32 s6, s19
	s_cselect_b32 s2, s7, s3
	s_cselect_b32 s3, s8, s6
	s_add_i32 s6, s2, 1
	s_cmp_ge_u32 s3, s19
	s_cselect_b32 s2, s6, s2
	s_delay_alu instid0(SALU_CYCLE_1) | instskip(NEXT) | instid1(SALU_CYCLE_1)
	s_add_i32 s2, s2, 1
	s_mul_i32 s19, s19, s2
	s_mov_b32 s2, exec_lo
	v_cmpx_gt_u32_e64 s19, v13
	s_cbranch_execz .LBB19_43
; %bb.3:
	v_alignbit_b32 v17, v2, v1, 2
	v_mad_u64_u32 v[3:4], null, 0xcd9e8d57, v13, 0
	v_lshrrev_b32_e32 v18, 2, v2
	s_waitcnt vmcnt(0)
	v_dual_mov_b32 v10, v12 :: v_dual_and_b32 v27, 3, v1
	v_mad_u64_u32 v[5:6], null, 0xd2511f53, v17, 0
	v_add_co_u32 v20, null, 0x9e3779b9, v11
	v_xor3_b32 v0, v11, v4, v18
	s_delay_alu instid0(VALU_DEP_4) | instskip(SKIP_2) | instid1(VALU_DEP_4)
	v_add_co_u32 v19, null, 0xbb67ae85, v10
	v_add_co_u32 v21, null, 0x3c6ef372, v11
	v_xor_b32_e32 v2, v6, v12
	v_mad_u64_u32 v[6:7], null, 0xd2511f53, v0, 0
	v_add_co_u32 v22, null, 0x76cf5d0a, v10
	s_delay_alu instid0(VALU_DEP_3) | instskip(SKIP_1) | instid1(VALU_DEP_4)
	v_mad_u64_u32 v[8:9], null, 0xcd9e8d57, v2, 0
	v_add_co_u32 v23, null, 0x32370b8f, v10
	v_xor3_b32 v0, v19, v7, v5
	v_add_co_u32 v24, null, 0xdaa66d2b, v11
	v_add_co_u32 v25, null, 0x78dde6e4, v11
	v_xor3_b32 v7, v9, v20, v3
	s_delay_alu instid0(VALU_DEP_4) | instskip(SKIP_1) | instid1(VALU_DEP_3)
	v_mad_u64_u32 v[2:3], null, 0xcd9e8d57, v0, 0
	v_add_co_u32 v26, null, 0xed9eba14, v10
	v_mad_u64_u32 v[4:5], null, 0xd2511f53, v7, 0
	v_add_co_u32 v30, null, 0xa9066899, v10
	s_delay_alu instid0(VALU_DEP_4) | instskip(SKIP_3) | instid1(VALU_DEP_4)
	v_xor3_b32 v0, v21, v3, v8
	v_add_co_u32 v31, null, 0x1715609d, v11
	v_add_co_u32 v32, null, 0xb54cda56, v11
	v_xor3_b32 v3, v5, v22, v6
	v_mad_u64_u32 v[5:6], null, 0xd2511f53, v0, 0
	v_add_co_u32 v33, null, 0x646e171e, v10
	s_delay_alu instid0(VALU_DEP_3) | instskip(SKIP_1) | instid1(VALU_DEP_4)
	v_mad_u64_u32 v[7:8], null, 0xcd9e8d57, v3, 0
	v_add_co_u32 v34, null, 0x1fd5c5a3, v10
	v_xor3_b32 v0, v23, v6, v4
	v_add_co_u32 v35, null, 0x5384540f, v11
	v_div_scale_f32 v16, vcc_lo, 1.0, s5, 1.0
	v_xor3_b32 v4, v8, v24, v2
	s_delay_alu instid0(VALU_DEP_4)
	v_mad_u64_u32 v[2:3], null, 0xcd9e8d57, v0, 0
	s_clause 0x3
	s_load_b64 s[6:7], s[0:1], 0x1b0
	s_load_b32 s20, s[0:1], 0x144
	s_load_b64 s[10:11], s[0:1], 0xd8
	s_load_b32 s14, s[0:1], 0xd0
	v_mad_u64_u32 v[8:9], null, 0xd2511f53, v4, 0
	v_add_co_u32 v36, null, 0xf1bbcdc8, v11
	v_xor3_b32 v3, v25, v3, v7
	v_add_co_u32 v37, null, 0xdb3d7428, v10
	s_clause 0x1
	s_load_b32 s21, s[0:1], 0x6c
	s_load_b64 s[12:13], s[0:1], 0x0
	s_delay_alu instid0(VALU_DEP_4) | instskip(SKIP_2) | instid1(VALU_DEP_3)
	v_xor3_b32 v5, v9, v26, v5
	v_mad_u64_u32 v[0:1], null, 0xd2511f53, v3, 0
	v_div_scale_f32 v9, null, s5, s5, 1.0
	v_mad_u64_u32 v[3:4], null, 0xcd9e8d57, v5, 0
	v_dual_mov_b32 v14, 0 :: v_dual_add_nc_u32 v29, 0x96a522ad, v12
	s_delay_alu instid0(VALU_DEP_3) | instskip(NEXT) | instid1(VALU_DEP_4)
	v_rcp_f32_e32 v15, v9
	v_xor3_b32 v5, v30, v1, v8
	s_waitcnt lgkmcnt(0)
	s_cmp_gt_i32 s14, 1
	v_add_nc_u32_e32 v28, 0x8ff34781, v11
	s_delay_alu instid0(VALU_DEP_4) | instskip(SKIP_3) | instid1(VALU_DEP_2)
	v_xor3_b32 v6, v4, v31, v2
	s_mov_b32 s9, 0
	v_mad_u64_u32 v[1:2], null, 0xcd9e8d57, v5, 0
	s_cselect_b32 s22, -1, 0
	v_mad_u64_u32 v[4:5], null, 0xd2511f53, v6, 0
	s_waitcnt_depctr 0xfff
	v_fma_f32 v6, -v9, v15, 1.0
	s_add_i32 s8, s14, -1
	v_mov_b32_e32 v40, 0
	s_lshl_b64 s[2:3], s[8:9], 2
	s_add_i32 s8, s14, 1
	v_fmac_f32_e32 v15, v6, v15
	v_xor3_b32 v6, v32, v2, v3
	v_xor3_b32 v0, v5, v33, v0
	s_add_u32 s0, s2, s0
	s_addc_u32 s1, s3, s1
	v_mul_f32_e32 v8, v16, v15
	v_mad_u64_u32 v[2:3], null, 0xd2511f53, v6, 0
	v_mad_u64_u32 v[5:6], null, 0xcd9e8d57, v0, 0
	s_delay_alu instid0(VALU_DEP_3) | instskip(SKIP_2) | instid1(VALU_DEP_3)
	v_fma_f32 v38, -v9, v8, v16
	s_add_u32 s14, s0, 8
	s_addc_u32 s15, s1, 0
                                        ; implicit-def: $vgpr41
                                        ; implicit-def: $vgpr42
                                        ; implicit-def: $vgpr43
                                        ; implicit-def: $vgpr44
	v_xor3_b32 v3, v34, v3, v4
	s_delay_alu instid0(VALU_DEP_2) | instskip(SKIP_2) | instid1(VALU_DEP_4)
	v_fmac_f32_e32 v8, v38, v15
	v_mov_b32_e32 v38, v13
	v_xor3_b32 v4, v6, v35, v1
	v_mad_u64_u32 v[0:1], null, 0xcd9e8d57, v3, 0
	s_delay_alu instid0(VALU_DEP_2) | instskip(NEXT) | instid1(VALU_DEP_2)
	v_mad_u64_u32 v[6:7], null, 0xd2511f53, v4, 0
	v_xor3_b32 v1, v36, v1, v5
	s_delay_alu instid0(VALU_DEP_2) | instskip(SKIP_1) | instid1(VALU_DEP_3)
	v_xor3_b32 v5, v7, v37, v2
	v_fma_f32 v7, -v9, v8, v16
	v_mad_u64_u32 v[3:4], null, 0xd2511f53, v1, 0
	s_delay_alu instid0(VALU_DEP_3) | instskip(NEXT) | instid1(VALU_DEP_3)
	v_mad_u64_u32 v[1:2], null, 0xcd9e8d57, v5, 0
	v_div_fmas_f32 v5, v7, v15, v8
	s_delay_alu instid0(VALU_DEP_1) | instskip(NEXT) | instid1(VALU_DEP_3)
	v_div_fixup_f32 v39, v5, s5, 1.0
	v_xor3_b32 v0, v0, v2, v28
	v_xor3_b32 v2, v4, v6, v29
	s_branch .LBB19_5
.LBB19_4:                               ;   in Loop: Header=BB19_5 Depth=1
	s_or_b32 exec_lo, exec_lo, s1
	v_mov_b32_e32 v7, v15
	v_dual_mov_b32 v0, v4 :: v_dual_add_nc_u32 v13, s18, v10
	v_dual_mov_b32 v1, v5 :: v_dual_mov_b32 v2, v6
	s_delay_alu instid0(VALU_DEP_3) | instskip(NEXT) | instid1(VALU_DEP_3)
	v_mov_b32_e32 v3, v7
	v_cmp_le_u32_e32 vcc_lo, s19, v13
	s_waitcnt vmcnt(0)
	s_waitcnt_vscnt null, 0x0
	s_barrier
	buffer_gl0_inv
	s_or_b32 s9, vcc_lo, s9
	s_delay_alu instid0(SALU_CYCLE_1)
	s_and_not1_b32 exec_lo, exec_lo, s9
	s_cbranch_execz .LBB19_43
.LBB19_5:                               ; =>This Loop Header: Depth=1
                                        ;     Child Loop BB19_18 Depth 2
                                        ;     Child Loop BB19_23 Depth 2
	;; [unrolled: 1-line block ×4, first 2 shown]
	v_add_co_u32 v17, vcc_lo, v17, 1
	s_delay_alu instid0(VALU_DEP_1) | instskip(SKIP_2) | instid1(VALU_DEP_1)
	v_cndmask_b32_e64 v4, 0, 1, vcc_lo
	v_add_co_ci_u32_e32 v18, vcc_lo, 0, v18, vcc_lo
	s_mov_b32 s0, exec_lo
	v_cmp_eq_u32_e32 vcc_lo, 0, v18
	s_delay_alu instid0(VALU_DEP_3) | instskip(NEXT) | instid1(VALU_DEP_1)
	v_cndmask_b32_e32 v4, 0, v4, vcc_lo
	v_add_nc_u32_e32 v38, v4, v38
	s_delay_alu instid0(VALU_DEP_1) | instskip(SKIP_2) | instid1(VALU_DEP_2)
	v_cmp_eq_u32_e32 vcc_lo, 0, v38
	v_mad_u64_u32 v[6:7], null, 0xcd9e8d57, v38, 0
	v_cndmask_b32_e32 v4, 0, v4, vcc_lo
	v_xor3_b32 v9, v7, v11, v18
	s_delay_alu instid0(VALU_DEP_2) | instskip(SKIP_1) | instid1(VALU_DEP_3)
	v_add_nc_u32_e32 v40, v4, v40
	v_mad_u64_u32 v[4:5], null, 0xd2511f53, v17, 0
	v_mad_u64_u32 v[7:8], null, 0xd2511f53, v9, 0
	s_delay_alu instid0(VALU_DEP_2) | instskip(NEXT) | instid1(VALU_DEP_2)
	v_xor_b32_e32 v5, v5, v12
	v_xor3_b32 v8, v19, v8, v4
	s_delay_alu instid0(VALU_DEP_2) | instskip(NEXT) | instid1(VALU_DEP_1)
	v_xor_b32_e32 v5, v40, v5
	v_mad_u64_u32 v[9:10], null, 0xcd9e8d57, v5, 0
	s_delay_alu instid0(VALU_DEP_3) | instskip(NEXT) | instid1(VALU_DEP_2)
	v_mad_u64_u32 v[4:5], null, 0xcd9e8d57, v8, 0
	v_xor3_b32 v6, v20, v10, v6
	s_delay_alu instid0(VALU_DEP_2) | instskip(NEXT) | instid1(VALU_DEP_2)
	v_xor3_b32 v8, v21, v5, v9
	v_mad_u64_u32 v[15:16], null, 0xd2511f53, v6, 0
	s_delay_alu instid0(VALU_DEP_2) | instskip(NEXT) | instid1(VALU_DEP_2)
	v_mad_u64_u32 v[5:6], null, 0xd2511f53, v8, 0
	v_xor3_b32 v9, v22, v16, v7
	s_delay_alu instid0(VALU_DEP_2) | instskip(NEXT) | instid1(VALU_DEP_2)
	v_xor3_b32 v6, v23, v6, v15
	v_mad_u64_u32 v[7:8], null, 0xcd9e8d57, v9, 0
	s_delay_alu instid0(VALU_DEP_1) | instskip(NEXT) | instid1(VALU_DEP_3)
	v_xor3_b32 v4, v24, v8, v4
	v_mad_u64_u32 v[8:9], null, 0xcd9e8d57, v6, 0
	s_delay_alu instid0(VALU_DEP_2) | instskip(NEXT) | instid1(VALU_DEP_2)
	v_mad_u64_u32 v[15:16], null, 0xd2511f53, v4, 0
	v_xor3_b32 v6, v25, v9, v7
	s_delay_alu instid0(VALU_DEP_2) | instskip(NEXT) | instid1(VALU_DEP_2)
	v_xor3_b32 v9, v26, v16, v5
	v_mad_u64_u32 v[4:5], null, 0xd2511f53, v6, 0
	s_delay_alu instid0(VALU_DEP_2) | instskip(NEXT) | instid1(VALU_DEP_2)
	v_mad_u64_u32 v[6:7], null, 0xcd9e8d57, v9, 0
	v_xor3_b32 v5, v30, v5, v15
	s_delay_alu instid0(VALU_DEP_2) | instskip(NEXT) | instid1(VALU_DEP_2)
	;; [unrolled: 6-line block ×6, first 2 shown]
	v_xor3_b32 v4, v6, v7, v28
	v_mov_b32_e32 v6, v10
	v_cmpx_lt_i32_e32 1, v27
	s_xor_b32 s0, exec_lo, s0
	s_cbranch_execnz .LBB19_8
; %bb.6:                                ;   in Loop: Header=BB19_5 Depth=1
	s_and_not1_saveexec_b32 s0, s0
	s_cbranch_execnz .LBB19_13
.LBB19_7:                               ;   in Loop: Header=BB19_5 Depth=1
	s_or_b32 exec_lo, exec_lo, s0
	v_cmp_gt_u32_e64 s0, s4, v13
	s_delay_alu instid0(VALU_DEP_1)
	s_and_saveexec_b32 s1, s0
	s_cbranch_execnz .LBB19_16
	s_branch .LBB19_20
.LBB19_8:                               ;   in Loop: Header=BB19_5 Depth=1
	s_mov_b32 s1, exec_lo
	v_cmpx_lt_i32_e32 2, v27
	s_xor_b32 s1, exec_lo, s1
; %bb.9:                                ;   in Loop: Header=BB19_5 Depth=1
	v_dual_mov_b32 v7, v3 :: v_dual_mov_b32 v8, v4
	v_mov_b32_e32 v9, v5
	s_delay_alu instid0(VALU_DEP_2) | instskip(NEXT) | instid1(VALU_DEP_2)
	v_dual_mov_b32 v0, v7 :: v_dual_mov_b32 v1, v8
	v_dual_mov_b32 v2, v9 :: v_dual_mov_b32 v3, v10
; %bb.10:                               ;   in Loop: Header=BB19_5 Depth=1
	s_and_not1_saveexec_b32 s1, s1
; %bb.11:                               ;   in Loop: Header=BB19_5 Depth=1
	s_delay_alu instid0(VALU_DEP_1)
	v_dual_mov_b32 v0, v2 :: v_dual_mov_b32 v1, v3
	v_dual_mov_b32 v2, v4 :: v_dual_mov_b32 v3, v5
; %bb.12:                               ;   in Loop: Header=BB19_5 Depth=1
	s_or_b32 exec_lo, exec_lo, s1
	s_and_not1_saveexec_b32 s0, s0
	s_cbranch_execz .LBB19_7
.LBB19_13:                              ;   in Loop: Header=BB19_5 Depth=1
	s_mov_b32 s1, exec_lo
	v_cmpx_eq_u32_e32 1, v27
; %bb.14:                               ;   in Loop: Header=BB19_5 Depth=1
	v_dual_mov_b32 v0, v1 :: v_dual_mov_b32 v1, v2
	v_dual_mov_b32 v2, v3 :: v_dual_mov_b32 v3, v4
; %bb.15:                               ;   in Loop: Header=BB19_5 Depth=1
	s_or_b32 exec_lo, exec_lo, s1
	s_delay_alu instid0(SALU_CYCLE_1) | instskip(SKIP_1) | instid1(VALU_DEP_1)
	s_or_b32 exec_lo, exec_lo, s0
	v_cmp_gt_u32_e64 s0, s4, v13
	s_and_saveexec_b32 s1, s0
	s_cbranch_execz .LBB19_20
.LBB19_16:                              ;   in Loop: Header=BB19_5 Depth=1
	v_dual_mov_b32 v7, 0 :: v_dual_mov_b32 v8, v13
	s_and_not1_b32 vcc_lo, exec_lo, s22
	s_cbranch_vccnz .LBB19_19
; %bb.17:                               ;   in Loop: Header=BB19_5 Depth=1
	v_dual_mov_b32 v7, 0 :: v_dual_mov_b32 v8, v13
	s_mov_b64 s[2:3], s[14:15]
	s_mov_b32 s16, s8
	s_set_inst_prefetch_distance 0x1
	.p2align	6
.LBB19_18:                              ;   Parent Loop BB19_5 Depth=1
                                        ; =>  This Inner Loop Header: Depth=2
	s_clause 0x1
	s_load_b32 s17, s[2:3], 0x0
	s_load_b32 s23, s[2:3], 0x64
	s_add_i32 s16, s16, -1
	v_mov_b32_e32 v16, v8
	s_waitcnt lgkmcnt(0)
	v_cvt_f32_u32_e32 v9, s17
	s_sub_i32 s24, 0, s17
	s_add_u32 s2, s2, -4
	s_addc_u32 s3, s3, -1
	s_cmp_gt_u32 s16, 2
	v_rcp_iflag_f32_e32 v9, v9
	s_waitcnt_depctr 0xfff
	v_mul_f32_e32 v9, 0x4f7ffffe, v9
	s_delay_alu instid0(VALU_DEP_1) | instskip(NEXT) | instid1(VALU_DEP_1)
	v_cvt_u32_f32_e32 v9, v9
	v_mul_lo_u32 v10, s24, v9
	s_delay_alu instid0(VALU_DEP_1) | instskip(NEXT) | instid1(VALU_DEP_1)
	v_mul_hi_u32 v10, v9, v10
	v_add_nc_u32_e32 v8, v9, v10
	s_delay_alu instid0(VALU_DEP_1) | instskip(NEXT) | instid1(VALU_DEP_1)
	v_mul_hi_u32 v8, v16, v8
	v_mul_lo_u32 v9, v8, s17
	v_add_nc_u32_e32 v10, 1, v8
	s_delay_alu instid0(VALU_DEP_2) | instskip(NEXT) | instid1(VALU_DEP_1)
	v_sub_nc_u32_e32 v9, v16, v9
	v_subrev_nc_u32_e32 v44, s17, v9
	v_cmp_le_u32_e32 vcc_lo, s17, v9
	s_delay_alu instid0(VALU_DEP_2) | instskip(NEXT) | instid1(VALU_DEP_1)
	v_dual_cndmask_b32 v8, v8, v10 :: v_dual_cndmask_b32 v9, v9, v44
	v_add_nc_u32_e32 v10, 1, v8
	s_delay_alu instid0(VALU_DEP_2) | instskip(NEXT) | instid1(VALU_DEP_2)
	v_cmp_le_u32_e32 vcc_lo, s17, v9
	v_cndmask_b32_e32 v8, v8, v10, vcc_lo
	s_delay_alu instid0(VALU_DEP_1) | instskip(NEXT) | instid1(VALU_DEP_1)
	v_mul_lo_u32 v9, v8, s17
	v_sub_nc_u32_e32 v16, v16, v9
	s_delay_alu instid0(VALU_DEP_1) | instskip(NEXT) | instid1(VALU_DEP_1)
	v_mad_u64_u32 v[9:10], null, s23, v16, v[7:8]
	v_mov_b32_e32 v7, v9
	s_cbranch_scc1 .LBB19_18
.LBB19_19:                              ;   in Loop: Header=BB19_5 Depth=1
	s_set_inst_prefetch_distance 0x2
	s_delay_alu instid0(VALU_DEP_1) | instskip(SKIP_1) | instid1(VALU_DEP_1)
	v_mad_u64_u32 v[9:10], null, s21, v8, v[7:8]
	v_mov_b32_e32 v10, v14
	v_lshlrev_b64 v[7:8], 1, v[9:10]
	s_delay_alu instid0(VALU_DEP_1) | instskip(NEXT) | instid1(VALU_DEP_2)
	v_add_co_u32 v7, vcc_lo, s12, v7
	v_add_co_ci_u32_e32 v8, vcc_lo, s13, v8, vcc_lo
	global_load_u16 v44, v[7:8], off
.LBB19_20:                              ;   in Loop: Header=BB19_5 Depth=1
	s_or_b32 exec_lo, exec_lo, s1
	v_add_nc_u32_e32 v8, s18, v13
	s_delay_alu instid0(VALU_DEP_1) | instskip(NEXT) | instid1(VALU_DEP_1)
	v_cmp_gt_u32_e64 s1, s4, v8
	s_and_saveexec_b32 s16, s1
	s_cbranch_execz .LBB19_25
; %bb.21:                               ;   in Loop: Header=BB19_5 Depth=1
	v_mov_b32_e32 v7, 0
	v_mov_b32_e32 v9, v8
	s_and_not1_b32 vcc_lo, exec_lo, s22
	s_cbranch_vccnz .LBB19_24
; %bb.22:                               ;   in Loop: Header=BB19_5 Depth=1
	v_mov_b32_e32 v7, 0
	v_mov_b32_e32 v9, v8
	s_mov_b64 s[2:3], s[14:15]
	s_mov_b32 s17, s8
	s_set_inst_prefetch_distance 0x1
	.p2align	6
.LBB19_23:                              ;   Parent Loop BB19_5 Depth=1
                                        ; =>  This Inner Loop Header: Depth=2
	s_clause 0x1
	s_load_b32 s23, s[2:3], 0x0
	s_load_b32 s24, s[2:3], 0x64
	s_add_i32 s17, s17, -1
	v_mov_b32_e32 v43, v9
	s_waitcnt lgkmcnt(0)
	v_cvt_f32_u32_e32 v10, s23
	s_sub_i32 s25, 0, s23
	s_add_u32 s2, s2, -4
	s_addc_u32 s3, s3, -1
	s_cmp_gt_u32 s17, 2
	v_rcp_iflag_f32_e32 v10, v10
	s_waitcnt_depctr 0xfff
	v_mul_f32_e32 v10, 0x4f7ffffe, v10
	s_delay_alu instid0(VALU_DEP_1) | instskip(NEXT) | instid1(VALU_DEP_1)
	v_cvt_u32_f32_e32 v10, v10
	v_mul_lo_u32 v16, s25, v10
	s_delay_alu instid0(VALU_DEP_1) | instskip(NEXT) | instid1(VALU_DEP_1)
	v_mul_hi_u32 v16, v10, v16
	v_add_nc_u32_e32 v9, v10, v16
	s_delay_alu instid0(VALU_DEP_1) | instskip(NEXT) | instid1(VALU_DEP_1)
	v_mul_hi_u32 v9, v43, v9
	v_mul_lo_u32 v10, v9, s23
	v_add_nc_u32_e32 v16, 1, v9
	s_delay_alu instid0(VALU_DEP_2) | instskip(NEXT) | instid1(VALU_DEP_1)
	v_sub_nc_u32_e32 v10, v43, v10
	v_subrev_nc_u32_e32 v45, s23, v10
	v_cmp_le_u32_e32 vcc_lo, s23, v10
	s_delay_alu instid0(VALU_DEP_2) | instskip(NEXT) | instid1(VALU_DEP_1)
	v_dual_cndmask_b32 v9, v9, v16 :: v_dual_cndmask_b32 v10, v10, v45
	v_add_nc_u32_e32 v16, 1, v9
	s_delay_alu instid0(VALU_DEP_2) | instskip(NEXT) | instid1(VALU_DEP_2)
	v_cmp_le_u32_e32 vcc_lo, s23, v10
	v_cndmask_b32_e32 v9, v9, v16, vcc_lo
	s_delay_alu instid0(VALU_DEP_1) | instskip(NEXT) | instid1(VALU_DEP_1)
	v_mul_lo_u32 v10, v9, s23
	v_sub_nc_u32_e32 v10, v43, v10
	s_delay_alu instid0(VALU_DEP_1) | instskip(NEXT) | instid1(VALU_DEP_1)
	v_mad_u64_u32 v[45:46], null, s24, v10, v[7:8]
	v_mov_b32_e32 v7, v45
	s_cbranch_scc1 .LBB19_23
.LBB19_24:                              ;   in Loop: Header=BB19_5 Depth=1
	s_set_inst_prefetch_distance 0x2
	s_delay_alu instid0(VALU_DEP_1) | instskip(SKIP_1) | instid1(VALU_DEP_1)
	v_mad_u64_u32 v[45:46], null, s21, v9, v[7:8]
	v_mov_b32_e32 v46, v14
	v_lshlrev_b64 v[9:10], 1, v[45:46]
	s_delay_alu instid0(VALU_DEP_1) | instskip(NEXT) | instid1(VALU_DEP_2)
	v_add_co_u32 v9, vcc_lo, s12, v9
	v_add_co_ci_u32_e32 v10, vcc_lo, s13, v10, vcc_lo
	global_load_u16 v43, v[9:10], off
.LBB19_25:                              ;   in Loop: Header=BB19_5 Depth=1
	s_or_b32 exec_lo, exec_lo, s16
	v_add_nc_u32_e32 v9, s18, v8
	s_delay_alu instid0(VALU_DEP_1) | instskip(NEXT) | instid1(VALU_DEP_1)
	v_cmp_gt_u32_e64 s2, s4, v9
	s_and_saveexec_b32 s3, s2
	s_cbranch_execz .LBB19_30
; %bb.26:                               ;   in Loop: Header=BB19_5 Depth=1
	v_dual_mov_b32 v7, 0 :: v_dual_mov_b32 v10, v9
	s_and_not1_b32 vcc_lo, exec_lo, s22
	s_cbranch_vccnz .LBB19_29
; %bb.27:                               ;   in Loop: Header=BB19_5 Depth=1
	v_dual_mov_b32 v7, 0 :: v_dual_mov_b32 v10, v9
	s_mov_b64 s[16:17], s[14:15]
	s_mov_b32 s23, s8
	s_set_inst_prefetch_distance 0x1
	.p2align	6
.LBB19_28:                              ;   Parent Loop BB19_5 Depth=1
                                        ; =>  This Inner Loop Header: Depth=2
	s_clause 0x1
	s_load_b32 s24, s[16:17], 0x0
	s_load_b32 s25, s[16:17], 0x64
	s_add_i32 s23, s23, -1
	v_mov_b32_e32 v45, v10
	s_waitcnt lgkmcnt(0)
	v_cvt_f32_u32_e32 v16, s24
	s_sub_i32 s26, 0, s24
	s_add_u32 s16, s16, -4
	s_addc_u32 s17, s17, -1
	s_cmp_gt_u32 s23, 2
	v_rcp_iflag_f32_e32 v16, v16
	s_waitcnt_depctr 0xfff
	v_mul_f32_e32 v16, 0x4f7ffffe, v16
	s_delay_alu instid0(VALU_DEP_1) | instskip(NEXT) | instid1(VALU_DEP_1)
	v_cvt_u32_f32_e32 v16, v16
	v_mul_lo_u32 v42, s26, v16
	s_delay_alu instid0(VALU_DEP_1) | instskip(NEXT) | instid1(VALU_DEP_1)
	v_mul_hi_u32 v42, v16, v42
	v_add_nc_u32_e32 v10, v16, v42
	s_delay_alu instid0(VALU_DEP_1) | instskip(NEXT) | instid1(VALU_DEP_1)
	v_mul_hi_u32 v10, v45, v10
	v_mul_lo_u32 v16, v10, s24
	v_add_nc_u32_e32 v42, 1, v10
	s_delay_alu instid0(VALU_DEP_2) | instskip(NEXT) | instid1(VALU_DEP_1)
	v_sub_nc_u32_e32 v16, v45, v16
	v_subrev_nc_u32_e32 v46, s24, v16
	v_cmp_le_u32_e32 vcc_lo, s24, v16
	s_delay_alu instid0(VALU_DEP_4) | instskip(NEXT) | instid1(VALU_DEP_3)
	v_cndmask_b32_e32 v10, v10, v42, vcc_lo
	v_cndmask_b32_e32 v16, v16, v46, vcc_lo
	s_delay_alu instid0(VALU_DEP_2) | instskip(NEXT) | instid1(VALU_DEP_2)
	v_add_nc_u32_e32 v42, 1, v10
	v_cmp_le_u32_e32 vcc_lo, s24, v16
	s_delay_alu instid0(VALU_DEP_2) | instskip(NEXT) | instid1(VALU_DEP_1)
	v_cndmask_b32_e32 v10, v10, v42, vcc_lo
	v_mul_lo_u32 v16, v10, s24
	s_delay_alu instid0(VALU_DEP_1) | instskip(NEXT) | instid1(VALU_DEP_1)
	v_sub_nc_u32_e32 v16, v45, v16
	v_mad_u64_u32 v[45:46], null, s25, v16, v[7:8]
	s_delay_alu instid0(VALU_DEP_1)
	v_mov_b32_e32 v7, v45
	s_cbranch_scc1 .LBB19_28
.LBB19_29:                              ;   in Loop: Header=BB19_5 Depth=1
	s_set_inst_prefetch_distance 0x2
	s_delay_alu instid0(VALU_DEP_1) | instskip(SKIP_1) | instid1(VALU_DEP_1)
	v_mad_u64_u32 v[45:46], null, s21, v10, v[7:8]
	v_mov_b32_e32 v46, v14
	v_lshlrev_b64 v[45:46], 1, v[45:46]
	s_delay_alu instid0(VALU_DEP_1) | instskip(NEXT) | instid1(VALU_DEP_2)
	v_add_co_u32 v45, vcc_lo, s12, v45
	v_add_co_ci_u32_e32 v46, vcc_lo, s13, v46, vcc_lo
	global_load_u16 v42, v[45:46], off
.LBB19_30:                              ;   in Loop: Header=BB19_5 Depth=1
	s_or_b32 exec_lo, exec_lo, s3
	v_add_nc_u32_e32 v10, s18, v9
	s_delay_alu instid0(VALU_DEP_1) | instskip(NEXT) | instid1(VALU_DEP_1)
	v_cmp_gt_u32_e64 s3, s4, v10
	s_and_saveexec_b32 s23, s3
	s_cbranch_execnz .LBB19_35
; %bb.31:                               ;   in Loop: Header=BB19_5 Depth=1
	s_or_b32 exec_lo, exec_lo, s23
	s_and_saveexec_b32 s16, s0
	s_cbranch_execnz .LBB19_39
.LBB19_32:                              ;   in Loop: Header=BB19_5 Depth=1
	s_or_b32 exec_lo, exec_lo, s16
	s_and_saveexec_b32 s16, s1
	s_cbranch_execnz .LBB19_40
.LBB19_33:                              ;   in Loop: Header=BB19_5 Depth=1
	s_or_b32 exec_lo, exec_lo, s16
	s_and_saveexec_b32 s1, s2
	s_cbranch_execnz .LBB19_41
.LBB19_34:                              ;   in Loop: Header=BB19_5 Depth=1
	s_or_b32 exec_lo, exec_lo, s1
	s_and_saveexec_b32 s1, s3
	s_cbranch_execz .LBB19_4
	s_branch .LBB19_42
.LBB19_35:                              ;   in Loop: Header=BB19_5 Depth=1
	v_dual_mov_b32 v7, 0 :: v_dual_mov_b32 v16, v10
	s_and_not1_b32 vcc_lo, exec_lo, s22
	s_cbranch_vccnz .LBB19_38
; %bb.36:                               ;   in Loop: Header=BB19_5 Depth=1
	v_dual_mov_b32 v7, 0 :: v_dual_mov_b32 v16, v10
	s_mov_b64 s[16:17], s[14:15]
	s_mov_b32 s24, s8
	s_set_inst_prefetch_distance 0x1
	.p2align	6
.LBB19_37:                              ;   Parent Loop BB19_5 Depth=1
                                        ; =>  This Inner Loop Header: Depth=2
	s_clause 0x1
	s_load_b32 s25, s[16:17], 0x0
	s_load_b32 s26, s[16:17], 0x64
	s_add_i32 s24, s24, -1
	v_mov_b32_e32 v46, v16
	s_waitcnt lgkmcnt(0)
	v_cvt_f32_u32_e32 v41, s25
	s_sub_i32 s27, 0, s25
	s_add_u32 s16, s16, -4
	s_addc_u32 s17, s17, -1
	s_cmp_gt_u32 s24, 2
	v_rcp_iflag_f32_e32 v41, v41
	s_waitcnt_depctr 0xfff
	v_mul_f32_e32 v41, 0x4f7ffffe, v41
	s_delay_alu instid0(VALU_DEP_1) | instskip(NEXT) | instid1(VALU_DEP_1)
	v_cvt_u32_f32_e32 v41, v41
	v_mul_lo_u32 v45, s27, v41
	s_delay_alu instid0(VALU_DEP_1) | instskip(NEXT) | instid1(VALU_DEP_1)
	v_mul_hi_u32 v45, v41, v45
	v_add_nc_u32_e32 v16, v41, v45
	s_delay_alu instid0(VALU_DEP_1) | instskip(NEXT) | instid1(VALU_DEP_1)
	v_mul_hi_u32 v16, v46, v16
	v_mul_lo_u32 v41, v16, s25
	v_add_nc_u32_e32 v45, 1, v16
	s_delay_alu instid0(VALU_DEP_2) | instskip(NEXT) | instid1(VALU_DEP_1)
	v_sub_nc_u32_e32 v41, v46, v41
	v_subrev_nc_u32_e32 v47, s25, v41
	v_cmp_le_u32_e32 vcc_lo, s25, v41
	s_delay_alu instid0(VALU_DEP_2) | instskip(NEXT) | instid1(VALU_DEP_1)
	v_dual_cndmask_b32 v16, v16, v45 :: v_dual_cndmask_b32 v41, v41, v47
	v_add_nc_u32_e32 v45, 1, v16
	s_delay_alu instid0(VALU_DEP_2) | instskip(NEXT) | instid1(VALU_DEP_2)
	v_cmp_le_u32_e32 vcc_lo, s25, v41
	v_cndmask_b32_e32 v16, v16, v45, vcc_lo
	s_delay_alu instid0(VALU_DEP_1) | instskip(NEXT) | instid1(VALU_DEP_1)
	v_mul_lo_u32 v41, v16, s25
	v_sub_nc_u32_e32 v41, v46, v41
	s_delay_alu instid0(VALU_DEP_1) | instskip(NEXT) | instid1(VALU_DEP_1)
	v_mad_u64_u32 v[45:46], null, s26, v41, v[7:8]
	v_mov_b32_e32 v7, v45
	s_cbranch_scc1 .LBB19_37
.LBB19_38:                              ;   in Loop: Header=BB19_5 Depth=1
	s_set_inst_prefetch_distance 0x2
	s_delay_alu instid0(VALU_DEP_1) | instskip(SKIP_1) | instid1(VALU_DEP_1)
	v_mad_u64_u32 v[45:46], null, s21, v16, v[7:8]
	v_mov_b32_e32 v46, v14
	v_lshlrev_b64 v[45:46], 1, v[45:46]
	s_delay_alu instid0(VALU_DEP_1) | instskip(NEXT) | instid1(VALU_DEP_2)
	v_add_co_u32 v45, vcc_lo, s12, v45
	v_add_co_ci_u32_e32 v46, vcc_lo, s13, v46, vcc_lo
	global_load_u16 v41, v[45:46], off
	s_or_b32 exec_lo, exec_lo, s23
	s_and_saveexec_b32 s16, s0
	s_cbranch_execz .LBB19_32
.LBB19_39:                              ;   in Loop: Header=BB19_5 Depth=1
	v_cvt_f32_u32_e32 v0, v0
	v_mul_lo_u32 v13, v13, s20
	s_waitcnt vmcnt(0)
	v_cvt_f32_f16_e32 v7, v44
	s_delay_alu instid0(VALU_DEP_3) | instskip(NEXT) | instid1(VALU_DEP_3)
	v_fmaak_f32 v0, 0x2f800000, v0, 0x2f800000
	v_lshlrev_b64 v[45:46], 1, v[13:14]
	s_delay_alu instid0(VALU_DEP_2) | instskip(NEXT) | instid1(VALU_DEP_2)
	v_cmp_gt_f32_e32 vcc_lo, s5, v0
	v_add_co_u32 v45, s0, s10, v45
	v_cndmask_b32_e64 v0, 0, 1.0, vcc_lo
	s_delay_alu instid0(VALU_DEP_4) | instskip(NEXT) | instid1(VALU_DEP_2)
	v_add_co_ci_u32_e64 v46, s0, s11, v46, s0
	v_mul_f32_e32 v0, v0, v7
	v_cndmask_b32_e64 v7, 0, 1, vcc_lo
	s_delay_alu instid0(VALU_DEP_2)
	v_fma_mixlo_f16 v0, v39, v0, 0
	global_store_b16 v[45:46], v0, off
	global_store_b8 v13, v7, s[6:7]
	s_or_b32 exec_lo, exec_lo, s16
	s_and_saveexec_b32 s16, s1
	s_cbranch_execz .LBB19_33
.LBB19_40:                              ;   in Loop: Header=BB19_5 Depth=1
	v_cvt_f32_u32_e32 v0, v1
	s_waitcnt vmcnt(0)
	v_cvt_f32_f16_e32 v7, v43
	v_mul_lo_u32 v13, v8, s20
	s_delay_alu instid0(VALU_DEP_3) | instskip(NEXT) | instid1(VALU_DEP_1)
	v_fmaak_f32 v0, 0x2f800000, v0, 0x2f800000
	v_cmp_gt_f32_e32 vcc_lo, s5, v0
	s_delay_alu instid0(VALU_DEP_3) | instskip(SKIP_1) | instid1(VALU_DEP_2)
	v_lshlrev_b64 v[0:1], 1, v[13:14]
	v_cndmask_b32_e64 v8, 0, 1.0, vcc_lo
	v_add_co_u32 v0, s0, s10, v0
	s_delay_alu instid0(VALU_DEP_1) | instskip(NEXT) | instid1(VALU_DEP_3)
	v_add_co_ci_u32_e64 v1, s0, s11, v1, s0
	v_mul_f32_e32 v7, v8, v7
	v_cndmask_b32_e64 v8, 0, 1, vcc_lo
	s_delay_alu instid0(VALU_DEP_2)
	v_fma_mixlo_f16 v7, v39, v7, 0
	global_store_b16 v[0:1], v7, off
	global_store_b8 v13, v8, s[6:7]
	s_or_b32 exec_lo, exec_lo, s16
	s_and_saveexec_b32 s1, s2
	s_cbranch_execz .LBB19_34
.LBB19_41:                              ;   in Loop: Header=BB19_5 Depth=1
	v_cvt_f32_u32_e32 v0, v2
	v_mul_lo_u32 v13, v9, s20
	s_waitcnt vmcnt(0)
	v_cvt_f32_f16_e32 v2, v42
	s_delay_alu instid0(VALU_DEP_3) | instskip(NEXT) | instid1(VALU_DEP_1)
	v_fmaak_f32 v0, 0x2f800000, v0, 0x2f800000
	v_cmp_gt_f32_e32 vcc_lo, s5, v0
	s_delay_alu instid0(VALU_DEP_4) | instskip(SKIP_1) | instid1(VALU_DEP_2)
	v_lshlrev_b64 v[0:1], 1, v[13:14]
	v_cndmask_b32_e64 v7, 0, 1.0, vcc_lo
	v_add_co_u32 v0, s0, s10, v0
	s_delay_alu instid0(VALU_DEP_1) | instskip(NEXT) | instid1(VALU_DEP_3)
	v_add_co_ci_u32_e64 v1, s0, s11, v1, s0
	v_mul_f32_e32 v2, v7, v2
	v_cndmask_b32_e64 v7, 0, 1, vcc_lo
	s_delay_alu instid0(VALU_DEP_2)
	v_fma_mixlo_f16 v2, v39, v2, 0
	global_store_b16 v[0:1], v2, off
	global_store_b8 v13, v7, s[6:7]
	s_or_b32 exec_lo, exec_lo, s1
	s_and_saveexec_b32 s1, s3
	s_cbranch_execz .LBB19_4
.LBB19_42:                              ;   in Loop: Header=BB19_5 Depth=1
	v_cvt_f32_u32_e32 v0, v3
	v_mul_lo_u32 v13, v10, s20
	s_waitcnt vmcnt(0)
	v_cvt_f32_f16_e32 v2, v41
	s_delay_alu instid0(VALU_DEP_3) | instskip(NEXT) | instid1(VALU_DEP_1)
	v_fmaak_f32 v0, 0x2f800000, v0, 0x2f800000
	v_cmp_gt_f32_e32 vcc_lo, s5, v0
	s_delay_alu instid0(VALU_DEP_4) | instskip(SKIP_1) | instid1(VALU_DEP_2)
	v_lshlrev_b64 v[0:1], 1, v[13:14]
	v_cndmask_b32_e64 v3, 0, 1.0, vcc_lo
	v_add_co_u32 v0, s0, s10, v0
	s_delay_alu instid0(VALU_DEP_1) | instskip(NEXT) | instid1(VALU_DEP_3)
	v_add_co_ci_u32_e64 v1, s0, s11, v1, s0
	v_mul_f32_e32 v2, v3, v2
	v_cndmask_b32_e64 v3, 0, 1, vcc_lo
	s_delay_alu instid0(VALU_DEP_2)
	v_fma_mixlo_f16 v2, v39, v2, 0
	global_store_b16 v[0:1], v2, off
	global_store_b8 v13, v3, s[6:7]
	s_branch .LBB19_4
.LBB19_43:
	s_endpgm
	.section	.rodata,"a",@progbits
	.p2align	6, 0x0
	.amdhsa_kernel _ZN2at6native12_GLOBAL__N_120fused_dropout_kernelIN3c104HalfEfjLin1ELi1EbEEvNS_4cuda6detail10TensorInfoIKT_T1_EENS7_IS8_SA_EENS7_IT4_SA_EESA_T0_NS_15PhiloxCudaStateE
		.amdhsa_group_segment_fixed_size 0
		.amdhsa_private_segment_fixed_size 0
		.amdhsa_kernarg_size 944
		.amdhsa_user_sgpr_count 15
		.amdhsa_user_sgpr_dispatch_ptr 0
		.amdhsa_user_sgpr_queue_ptr 0
		.amdhsa_user_sgpr_kernarg_segment_ptr 1
		.amdhsa_user_sgpr_dispatch_id 0
		.amdhsa_user_sgpr_private_segment_size 0
		.amdhsa_wavefront_size32 1
		.amdhsa_uses_dynamic_stack 0
		.amdhsa_enable_private_segment 0
		.amdhsa_system_sgpr_workgroup_id_x 1
		.amdhsa_system_sgpr_workgroup_id_y 0
		.amdhsa_system_sgpr_workgroup_id_z 0
		.amdhsa_system_sgpr_workgroup_info 0
		.amdhsa_system_vgpr_workitem_id 0
		.amdhsa_next_free_vgpr 48
		.amdhsa_next_free_sgpr 28
		.amdhsa_reserve_vcc 1
		.amdhsa_float_round_mode_32 0
		.amdhsa_float_round_mode_16_64 0
		.amdhsa_float_denorm_mode_32 3
		.amdhsa_float_denorm_mode_16_64 3
		.amdhsa_dx10_clamp 1
		.amdhsa_ieee_mode 1
		.amdhsa_fp16_overflow 0
		.amdhsa_workgroup_processor_mode 1
		.amdhsa_memory_ordered 1
		.amdhsa_forward_progress 0
		.amdhsa_shared_vgpr_count 0
		.amdhsa_exception_fp_ieee_invalid_op 0
		.amdhsa_exception_fp_denorm_src 0
		.amdhsa_exception_fp_ieee_div_zero 0
		.amdhsa_exception_fp_ieee_overflow 0
		.amdhsa_exception_fp_ieee_underflow 0
		.amdhsa_exception_fp_ieee_inexact 0
		.amdhsa_exception_int_div_zero 0
	.end_amdhsa_kernel
	.section	.text._ZN2at6native12_GLOBAL__N_120fused_dropout_kernelIN3c104HalfEfjLin1ELi1EbEEvNS_4cuda6detail10TensorInfoIKT_T1_EENS7_IS8_SA_EENS7_IT4_SA_EESA_T0_NS_15PhiloxCudaStateE,"axG",@progbits,_ZN2at6native12_GLOBAL__N_120fused_dropout_kernelIN3c104HalfEfjLin1ELi1EbEEvNS_4cuda6detail10TensorInfoIKT_T1_EENS7_IS8_SA_EENS7_IT4_SA_EESA_T0_NS_15PhiloxCudaStateE,comdat
.Lfunc_end19:
	.size	_ZN2at6native12_GLOBAL__N_120fused_dropout_kernelIN3c104HalfEfjLin1ELi1EbEEvNS_4cuda6detail10TensorInfoIKT_T1_EENS7_IS8_SA_EENS7_IT4_SA_EESA_T0_NS_15PhiloxCudaStateE, .Lfunc_end19-_ZN2at6native12_GLOBAL__N_120fused_dropout_kernelIN3c104HalfEfjLin1ELi1EbEEvNS_4cuda6detail10TensorInfoIKT_T1_EENS7_IS8_SA_EENS7_IT4_SA_EESA_T0_NS_15PhiloxCudaStateE
                                        ; -- End function
	.section	.AMDGPU.csdata,"",@progbits
; Kernel info:
; codeLenInByte = 3804
; NumSgprs: 30
; NumVgprs: 48
; ScratchSize: 0
; MemoryBound: 0
; FloatMode: 240
; IeeeMode: 1
; LDSByteSize: 0 bytes/workgroup (compile time only)
; SGPRBlocks: 3
; VGPRBlocks: 5
; NumSGPRsForWavesPerEU: 30
; NumVGPRsForWavesPerEU: 48
; Occupancy: 16
; WaveLimiterHint : 1
; COMPUTE_PGM_RSRC2:SCRATCH_EN: 0
; COMPUTE_PGM_RSRC2:USER_SGPR: 15
; COMPUTE_PGM_RSRC2:TRAP_HANDLER: 0
; COMPUTE_PGM_RSRC2:TGID_X_EN: 1
; COMPUTE_PGM_RSRC2:TGID_Y_EN: 0
; COMPUTE_PGM_RSRC2:TGID_Z_EN: 0
; COMPUTE_PGM_RSRC2:TIDIG_COMP_CNT: 0
	.section	.text._ZN2at6native12_GLOBAL__N_120fused_dropout_kernelIN3c104HalfEfjLin1ELin1EbEEvNS_4cuda6detail10TensorInfoIKT_T1_EENS7_IS8_SA_EENS7_IT4_SA_EESA_T0_NS_15PhiloxCudaStateE,"axG",@progbits,_ZN2at6native12_GLOBAL__N_120fused_dropout_kernelIN3c104HalfEfjLin1ELin1EbEEvNS_4cuda6detail10TensorInfoIKT_T1_EENS7_IS8_SA_EENS7_IT4_SA_EESA_T0_NS_15PhiloxCudaStateE,comdat
	.globl	_ZN2at6native12_GLOBAL__N_120fused_dropout_kernelIN3c104HalfEfjLin1ELin1EbEEvNS_4cuda6detail10TensorInfoIKT_T1_EENS7_IS8_SA_EENS7_IT4_SA_EESA_T0_NS_15PhiloxCudaStateE ; -- Begin function _ZN2at6native12_GLOBAL__N_120fused_dropout_kernelIN3c104HalfEfjLin1ELin1EbEEvNS_4cuda6detail10TensorInfoIKT_T1_EENS7_IS8_SA_EENS7_IT4_SA_EESA_T0_NS_15PhiloxCudaStateE
	.p2align	8
	.type	_ZN2at6native12_GLOBAL__N_120fused_dropout_kernelIN3c104HalfEfjLin1ELin1EbEEvNS_4cuda6detail10TensorInfoIKT_T1_EENS7_IS8_SA_EENS7_IT4_SA_EESA_T0_NS_15PhiloxCudaStateE,@function
_ZN2at6native12_GLOBAL__N_120fused_dropout_kernelIN3c104HalfEfjLin1ELin1EbEEvNS_4cuda6detail10TensorInfoIKT_T1_EENS7_IS8_SA_EENS7_IT4_SA_EESA_T0_NS_15PhiloxCudaStateE: ; @_ZN2at6native12_GLOBAL__N_120fused_dropout_kernelIN3c104HalfEfjLin1ELin1EbEEvNS_4cuda6detail10TensorInfoIKT_T1_EENS7_IS8_SA_EENS7_IT4_SA_EESA_T0_NS_15PhiloxCudaStateE
; %bb.0:
	s_clause 0x1
	s_load_b128 s[4:7], s[0:1], 0x290
	s_load_b32 s2, s[0:1], 0x2a8
	s_waitcnt lgkmcnt(0)
	v_dual_mov_b32 v1, s6 :: v_dual_mov_b32 v2, s7
	v_dual_mov_b32 v12, s5 :: v_dual_mov_b32 v11, s4
	s_bitcmp0_b32 s2, 0
	s_cbranch_scc1 .LBB20_2
; %bb.1:
	v_dual_mov_b32 v1, s6 :: v_dual_mov_b32 v2, s7
	v_dual_mov_b32 v3, s4 :: v_dual_mov_b32 v4, s5
	s_load_b64 s[2:3], s[0:1], 0x2a0
	flat_load_b64 v[1:2], v[1:2]
	flat_load_b64 v[11:12], v[3:4]
	s_waitcnt vmcnt(1) lgkmcnt(0)
	v_add_co_u32 v1, vcc_lo, v1, s2
	v_add_co_ci_u32_e32 v2, vcc_lo, s3, v2, vcc_lo
.LBB20_2:
	s_clause 0x2
	s_load_b32 s2, s[0:1], 0x2bc
	s_load_b32 s20, s[0:1], 0x2b0
	s_load_b64 s[4:5], s[0:1], 0x288
	s_waitcnt lgkmcnt(0)
	s_and_b32 s2, s2, 0xffff
	s_add_i32 s7, s4, -1
	s_mul_i32 s20, s20, s2
	v_mad_u64_u32 v[13:14], null, s15, s2, v[0:1]
	s_lshl_b32 s21, s20, 2
	s_delay_alu instid0(SALU_CYCLE_1) | instskip(SKIP_1) | instid1(VALU_DEP_1)
	v_cvt_f32_u32_e32 v3, s21
	s_sub_i32 s6, 0, s21
	v_rcp_iflag_f32_e32 v3, v3
	s_waitcnt_depctr 0xfff
	v_mul_f32_e32 v3, 0x4f7ffffe, v3
	s_delay_alu instid0(VALU_DEP_1) | instskip(NEXT) | instid1(VALU_DEP_1)
	v_cvt_u32_f32_e32 v3, v3
	v_readfirstlane_b32 s3, v3
	s_delay_alu instid0(VALU_DEP_1) | instskip(NEXT) | instid1(SALU_CYCLE_1)
	s_mul_i32 s6, s6, s3
	s_mul_hi_u32 s6, s3, s6
	s_delay_alu instid0(SALU_CYCLE_1) | instskip(NEXT) | instid1(SALU_CYCLE_1)
	s_add_i32 s3, s3, s6
	s_mul_hi_u32 s3, s7, s3
	s_delay_alu instid0(SALU_CYCLE_1) | instskip(NEXT) | instid1(SALU_CYCLE_1)
	s_mul_i32 s6, s3, s21
	s_sub_i32 s6, s7, s6
	s_add_i32 s7, s3, 1
	s_sub_i32 s8, s6, s21
	s_cmp_ge_u32 s6, s21
	s_cselect_b32 s2, s7, s3
	s_cselect_b32 s3, s8, s6
	s_add_i32 s6, s2, 1
	s_cmp_ge_u32 s3, s21
	s_cselect_b32 s2, s6, s2
	s_delay_alu instid0(SALU_CYCLE_1) | instskip(NEXT) | instid1(SALU_CYCLE_1)
	s_add_i32 s2, s2, 1
	s_mul_i32 s22, s21, s2
	s_mov_b32 s2, exec_lo
	v_cmpx_gt_u32_e64 s22, v13
	s_cbranch_execz .LBB20_55
; %bb.3:
	v_mad_u64_u32 v[3:4], null, 0xcd9e8d57, v13, 0
	v_alignbit_b32 v16, v2, v1, 2
	v_lshrrev_b32_e32 v17, 2, v2
	s_waitcnt vmcnt(0)
	v_dual_mov_b32 v14, v12 :: v_dual_mov_b32 v23, 0
	v_add_co_u32 v19, null, 0x9e3779b9, v11
	v_mad_u64_u32 v[5:6], null, 0xd2511f53, v16, 0
	v_xor3_b32 v0, v11, v4, v17
	s_delay_alu instid0(VALU_DEP_4) | instskip(SKIP_1) | instid1(VALU_DEP_3)
	v_add_co_u32 v18, null, 0xbb67ae85, v14
	v_add_co_u32 v20, null, 0x3c6ef372, v11
	v_mad_u64_u32 v[7:8], null, 0xd2511f53, v0, 0
	v_xor_b32_e32 v0, v6, v12
	v_add_co_u32 v21, null, 0x76cf5d0a, v14
	v_add_co_u32 v22, null, 0x32370b8f, v14
	s_delay_alu instid0(VALU_DEP_3) | instskip(SKIP_3) | instid1(VALU_DEP_3)
	v_mad_u64_u32 v[9:10], null, 0xcd9e8d57, v0, 0
	v_xor3_b32 v0, v18, v8, v5
	v_add_co_u32 v25, null, 0xdaa66d2b, v11
	v_add_co_u32 v28, null, 0x78dde6e4, v11
	v_mad_u64_u32 v[4:5], null, 0xcd9e8d57, v0, 0
	v_xor3_b32 v0, v10, v19, v3
	v_add_co_u32 v29, null, 0xed9eba14, v14
	v_add_co_u32 v31, null, 0xa9066899, v14
	s_delay_alu instid0(VALU_DEP_3)
	v_mad_u64_u32 v[2:3], null, 0xd2511f53, v0, 0
	v_xor3_b32 v0, v20, v5, v9
	v_div_scale_f32 v9, vcc_lo, 1.0, s5, 1.0
	v_and_b32_e32 v24, 3, v1
	v_add_co_u32 v32, null, 0x1715609d, v11
	v_xor3_b32 v3, v3, v21, v7
	v_mad_u64_u32 v[5:6], null, 0xd2511f53, v0, 0
	v_div_scale_f32 v8, null, s5, s5, 1.0
	s_delay_alu instid0(VALU_DEP_3) | instskip(SKIP_1) | instid1(VALU_DEP_4)
	v_mad_u64_u32 v[0:1], null, 0xcd9e8d57, v3, 0
	v_add_co_u32 v30, null, 0xb54cda56, v11
	v_xor3_b32 v6, v22, v6, v2
	s_delay_alu instid0(VALU_DEP_4) | instskip(SKIP_1) | instid1(VALU_DEP_4)
	v_rcp_f32_e32 v10, v8
	v_add_co_u32 v35, null, 0x646e171e, v14
	v_xor3_b32 v1, v1, v25, v4
	s_delay_alu instid0(VALU_DEP_3)
	v_mad_u64_u32 v[2:3], null, 0xcd9e8d57, v6, 0
	s_clause 0x2
	s_load_b32 s14, s[0:1], 0xd0
	s_load_b32 s24, s[0:1], 0x6c
	s_load_b64 s[12:13], s[0:1], 0x0
	v_mad_u64_u32 v[6:7], null, 0xd2511f53, v1, 0
	s_clause 0x1
	s_load_b64 s[8:9], s[0:1], 0x1b0
	s_load_b32 s17, s[0:1], 0x1a8
	v_xor3_b32 v3, v28, v3, v0
	v_add_co_u32 v33, null, 0x5384540f, v11
	v_add_co_u32 v36, null, 0x1fd5c5a3, v14
	s_delay_alu instid0(VALU_DEP_4) | instskip(NEXT) | instid1(VALU_DEP_4)
	v_xor3_b32 v5, v7, v29, v5
	v_mad_u64_u32 v[0:1], null, 0xd2511f53, v3, 0
	v_fma_f32 v7, -v8, v10, 1.0
	v_add_nc_u32_e32 v27, 0x96a522ad, v12
	s_delay_alu instid0(VALU_DEP_4) | instskip(SKIP_1) | instid1(VALU_DEP_4)
	v_mad_u64_u32 v[3:4], null, 0xcd9e8d57, v5, 0
	v_add_co_u32 v34, null, 0xf1bbcdc8, v11
	v_fmac_f32_e32 v10, v7, v10
	v_xor3_b32 v1, v31, v1, v6
	v_add_co_u32 v37, null, 0xdb3d7428, v14
	v_xor3_b32 v4, v4, v32, v2
	s_delay_alu instid0(VALU_DEP_4) | instskip(NEXT) | instid1(VALU_DEP_4)
	v_mul_f32_e32 v15, v9, v10
	v_mad_u64_u32 v[5:6], null, 0xcd9e8d57, v1, 0
	s_add_u32 s16, s0, 0xd8
	s_delay_alu instid0(VALU_DEP_3) | instskip(NEXT) | instid1(VALU_DEP_3)
	v_mad_u64_u32 v[1:2], null, 0xd2511f53, v4, 0
	v_fma_f32 v38, -v8, v15, v9
	s_addc_u32 s18, s1, 0
	v_add_nc_u32_e32 v26, 0x8ff34781, v11
	s_delay_alu instid0(VALU_DEP_4)
	v_xor3_b32 v6, v30, v6, v3
	s_clause 0x1
	s_load_b32 s23, s[0:1], 0x144
	s_load_b64 s[10:11], s[0:1], 0xd8
	v_fmac_f32_e32 v15, v38, v10
	v_xor3_b32 v0, v2, v35, v0
	s_waitcnt lgkmcnt(0)
	s_cmp_gt_i32 s14, 1
	v_mad_u64_u32 v[3:4], null, 0xd2511f53, v6, 0
	s_cselect_b32 s25, -1, 0
	v_mad_u64_u32 v[6:7], null, 0xcd9e8d57, v0, 0
	s_cmp_gt_i32 s17, 1
	s_mov_b32 s7, 0
	s_cselect_b32 s26, -1, 0
	s_delay_alu instid0(VALU_DEP_2) | instskip(SKIP_2) | instid1(VALU_DEP_2)
	v_xor3_b32 v2, v36, v4, v1
	s_add_i32 s6, s14, -1
	s_add_i32 s27, s14, 1
	v_xor3_b32 v7, v7, v33, v5
	s_lshl_b64 s[2:3], s[6:7], 2
	v_mad_u64_u32 v[0:1], null, 0xcd9e8d57, v2, 0
	s_add_u32 s0, s2, s0
	s_delay_alu instid0(VALU_DEP_2) | instskip(SKIP_3) | instid1(VALU_DEP_3)
	v_mad_u64_u32 v[4:5], null, 0xd2511f53, v7, 0
	v_fma_f32 v7, -v8, v15, v9
	s_addc_u32 s1, s3, s1
	s_add_u32 s14, s0, 8
	v_xor3_b32 v1, v34, v1, v6
	s_addc_u32 s15, s1, 0
	s_add_i32 s6, s17, -1
	s_delay_alu instid0(VALU_DEP_3) | instskip(SKIP_3) | instid1(VALU_DEP_2)
	v_xor3_b32 v3, v5, v37, v3
	s_lshl_b64 s[0:1], s[6:7], 2
	v_mad_u64_u32 v[5:6], null, 0xd2511f53, v1, 0
	s_add_i32 s6, s17, 1
	v_mad_u64_u32 v[1:2], null, 0xcd9e8d57, v3, 0
	v_div_fmas_f32 v3, v7, v10, v15
	s_add_u32 s0, s0, s16
	v_dual_mov_b32 v39, v13 :: v_dual_mov_b32 v40, 0
	s_addc_u32 s1, s1, s18
	s_delay_alu instid0(VALU_DEP_2) | instskip(NEXT) | instid1(VALU_DEP_4)
	v_div_fixup_f32 v38, v3, s5, 1.0
	v_xor3_b32 v0, v0, v2, v26
	v_xor3_b32 v2, v6, v4, v27
	v_mov_b32_e32 v3, v5
	s_add_u32 s16, s0, 8
	s_addc_u32 s17, s1, 0
                                        ; implicit-def: $vgpr41
                                        ; implicit-def: $vgpr42
                                        ; implicit-def: $vgpr43
                                        ; implicit-def: $vgpr44
	s_branch .LBB20_6
.LBB20_4:                               ;   in Loop: Header=BB20_6 Depth=1
	s_set_inst_prefetch_distance 0x2
	v_cvt_f32_u32_e32 v3, v3
	v_mad_u64_u32 v[1:2], null, s23, v8, v[0:1]
	v_mov_b32_e32 v2, v23
	s_waitcnt vmcnt(0)
	v_cvt_f32_f16_e32 v7, v41
	v_fmaak_f32 v0, 0x2f800000, v3, 0x2f800000
	s_delay_alu instid0(VALU_DEP_3) | instskip(NEXT) | instid1(VALU_DEP_2)
	v_lshlrev_b64 v[2:3], 1, v[1:2]
	v_cmp_gt_f32_e32 vcc_lo, s5, v0
	s_delay_alu instid0(VALU_DEP_2) | instskip(SKIP_1) | instid1(VALU_DEP_4)
	v_add_co_u32 v2, s0, s10, v2
	v_cndmask_b32_e64 v0, 0, 1.0, vcc_lo
	v_add_co_ci_u32_e64 v3, s0, s11, v3, s0
	s_delay_alu instid0(VALU_DEP_2) | instskip(SKIP_1) | instid1(VALU_DEP_2)
	v_mul_f32_e32 v0, v0, v7
	v_cndmask_b32_e64 v7, 0, 1, vcc_lo
	v_fma_mixlo_f16 v0, v38, v0, 0
	global_store_b16 v[2:3], v0, off
	global_store_b8 v1, v7, s[8:9]
.LBB20_5:                               ;   in Loop: Header=BB20_6 Depth=1
	s_or_b32 exec_lo, exec_lo, s2
	v_mov_b32_e32 v7, v14
	v_dual_mov_b32 v0, v4 :: v_dual_add_nc_u32 v13, s21, v13
	v_dual_mov_b32 v1, v5 :: v_dual_mov_b32 v2, v6
	s_delay_alu instid0(VALU_DEP_3) | instskip(NEXT) | instid1(VALU_DEP_3)
	v_mov_b32_e32 v3, v7
	v_cmp_le_u32_e32 vcc_lo, s22, v13
	s_waitcnt vmcnt(0)
	s_waitcnt_vscnt null, 0x0
	s_barrier
	buffer_gl0_inv
	s_or_b32 s7, vcc_lo, s7
	s_delay_alu instid0(SALU_CYCLE_1)
	s_and_not1_b32 exec_lo, exec_lo, s7
	s_cbranch_execz .LBB20_55
.LBB20_6:                               ; =>This Loop Header: Depth=1
                                        ;     Child Loop BB20_19 Depth 2
                                        ;     Child Loop BB20_24 Depth 2
	;; [unrolled: 1-line block ×8, first 2 shown]
	v_add_co_u32 v16, vcc_lo, v16, 1
	s_delay_alu instid0(VALU_DEP_1) | instskip(SKIP_2) | instid1(VALU_DEP_1)
	v_cndmask_b32_e64 v4, 0, 1, vcc_lo
	v_add_co_ci_u32_e32 v17, vcc_lo, 0, v17, vcc_lo
	s_mov_b32 s0, exec_lo
	v_cmp_eq_u32_e32 vcc_lo, 0, v17
	s_delay_alu instid0(VALU_DEP_3) | instskip(NEXT) | instid1(VALU_DEP_1)
	v_cndmask_b32_e32 v4, 0, v4, vcc_lo
	v_add_nc_u32_e32 v39, v4, v39
	s_delay_alu instid0(VALU_DEP_1) | instskip(SKIP_2) | instid1(VALU_DEP_2)
	v_cmp_eq_u32_e32 vcc_lo, 0, v39
	v_cndmask_b32_e32 v4, 0, v4, vcc_lo
	v_mad_u64_u32 v[6:7], null, 0xcd9e8d57, v39, 0
	v_add_nc_u32_e32 v40, v4, v40
	v_mad_u64_u32 v[4:5], null, 0xd2511f53, v16, 0
	s_delay_alu instid0(VALU_DEP_3) | instskip(NEXT) | instid1(VALU_DEP_2)
	v_xor3_b32 v9, v7, v11, v17
	v_xor_b32_e32 v5, v5, v12
	s_delay_alu instid0(VALU_DEP_2) | instskip(NEXT) | instid1(VALU_DEP_2)
	v_mad_u64_u32 v[7:8], null, 0xd2511f53, v9, 0
	v_xor_b32_e32 v5, v40, v5
	s_delay_alu instid0(VALU_DEP_2) | instskip(NEXT) | instid1(VALU_DEP_2)
	v_xor3_b32 v8, v18, v8, v4
	v_mad_u64_u32 v[9:10], null, 0xcd9e8d57, v5, 0
	s_delay_alu instid0(VALU_DEP_2) | instskip(NEXT) | instid1(VALU_DEP_2)
	v_mad_u64_u32 v[4:5], null, 0xcd9e8d57, v8, 0
	v_xor3_b32 v6, v19, v10, v6
	s_delay_alu instid0(VALU_DEP_2) | instskip(NEXT) | instid1(VALU_DEP_2)
	v_xor3_b32 v8, v20, v5, v9
	v_mad_u64_u32 v[14:15], null, 0xd2511f53, v6, 0
	s_delay_alu instid0(VALU_DEP_2) | instskip(NEXT) | instid1(VALU_DEP_2)
	v_mad_u64_u32 v[5:6], null, 0xd2511f53, v8, 0
	v_xor3_b32 v9, v21, v15, v7
	s_delay_alu instid0(VALU_DEP_2) | instskip(NEXT) | instid1(VALU_DEP_2)
	v_xor3_b32 v6, v22, v6, v14
	v_mad_u64_u32 v[7:8], null, 0xcd9e8d57, v9, 0
	s_delay_alu instid0(VALU_DEP_1) | instskip(NEXT) | instid1(VALU_DEP_3)
	v_xor3_b32 v4, v25, v8, v4
	v_mad_u64_u32 v[8:9], null, 0xcd9e8d57, v6, 0
	s_delay_alu instid0(VALU_DEP_2) | instskip(NEXT) | instid1(VALU_DEP_2)
	v_mad_u64_u32 v[14:15], null, 0xd2511f53, v4, 0
	v_xor3_b32 v6, v28, v9, v7
	s_delay_alu instid0(VALU_DEP_2) | instskip(NEXT) | instid1(VALU_DEP_2)
	v_xor3_b32 v9, v29, v15, v5
	v_mad_u64_u32 v[4:5], null, 0xd2511f53, v6, 0
	s_delay_alu instid0(VALU_DEP_2) | instskip(NEXT) | instid1(VALU_DEP_2)
	v_mad_u64_u32 v[6:7], null, 0xcd9e8d57, v9, 0
	v_xor3_b32 v5, v31, v5, v14
	s_delay_alu instid0(VALU_DEP_2) | instskip(NEXT) | instid1(VALU_DEP_2)
	;; [unrolled: 6-line block ×6, first 2 shown]
	v_xor3_b32 v4, v6, v7, v26
	v_mov_b32_e32 v6, v10
	v_cmpx_lt_i32_e32 1, v24
	s_xor_b32 s0, exec_lo, s0
	s_cbranch_execnz .LBB20_9
; %bb.7:                                ;   in Loop: Header=BB20_6 Depth=1
	s_and_not1_saveexec_b32 s0, s0
	s_cbranch_execnz .LBB20_14
.LBB20_8:                               ;   in Loop: Header=BB20_6 Depth=1
	s_or_b32 exec_lo, exec_lo, s0
	v_cmp_gt_u32_e64 s3, s4, v13
	s_delay_alu instid0(VALU_DEP_1)
	s_and_saveexec_b32 s2, s3
	s_cbranch_execnz .LBB20_17
	s_branch .LBB20_21
.LBB20_9:                               ;   in Loop: Header=BB20_6 Depth=1
	s_mov_b32 s1, exec_lo
	v_cmpx_lt_i32_e32 2, v24
	s_xor_b32 s1, exec_lo, s1
; %bb.10:                               ;   in Loop: Header=BB20_6 Depth=1
	v_dual_mov_b32 v7, v3 :: v_dual_mov_b32 v8, v4
	v_mov_b32_e32 v9, v5
	s_delay_alu instid0(VALU_DEP_2) | instskip(NEXT) | instid1(VALU_DEP_2)
	v_dual_mov_b32 v0, v7 :: v_dual_mov_b32 v1, v8
	v_dual_mov_b32 v2, v9 :: v_dual_mov_b32 v3, v10
; %bb.11:                               ;   in Loop: Header=BB20_6 Depth=1
	s_and_not1_saveexec_b32 s1, s1
; %bb.12:                               ;   in Loop: Header=BB20_6 Depth=1
	s_delay_alu instid0(VALU_DEP_1)
	v_dual_mov_b32 v0, v2 :: v_dual_mov_b32 v1, v3
	v_dual_mov_b32 v2, v4 :: v_dual_mov_b32 v3, v5
; %bb.13:                               ;   in Loop: Header=BB20_6 Depth=1
	s_or_b32 exec_lo, exec_lo, s1
	s_and_not1_saveexec_b32 s0, s0
	s_cbranch_execz .LBB20_8
.LBB20_14:                              ;   in Loop: Header=BB20_6 Depth=1
	s_mov_b32 s1, exec_lo
	v_cmpx_eq_u32_e32 1, v24
; %bb.15:                               ;   in Loop: Header=BB20_6 Depth=1
	v_dual_mov_b32 v0, v1 :: v_dual_mov_b32 v1, v2
	v_dual_mov_b32 v2, v3 :: v_dual_mov_b32 v3, v4
; %bb.16:                               ;   in Loop: Header=BB20_6 Depth=1
	s_or_b32 exec_lo, exec_lo, s1
	s_delay_alu instid0(SALU_CYCLE_1) | instskip(SKIP_1) | instid1(VALU_DEP_1)
	s_or_b32 exec_lo, exec_lo, s0
	v_cmp_gt_u32_e64 s3, s4, v13
	s_and_saveexec_b32 s2, s3
	s_cbranch_execz .LBB20_21
.LBB20_17:                              ;   in Loop: Header=BB20_6 Depth=1
	v_dual_mov_b32 v7, 0 :: v_dual_mov_b32 v8, v13
	s_and_not1_b32 vcc_lo, exec_lo, s25
	s_cbranch_vccnz .LBB20_20
; %bb.18:                               ;   in Loop: Header=BB20_6 Depth=1
	v_dual_mov_b32 v7, 0 :: v_dual_mov_b32 v8, v13
	s_mov_b64 s[0:1], s[14:15]
	s_mov_b32 s18, s27
	s_set_inst_prefetch_distance 0x1
	.p2align	6
.LBB20_19:                              ;   Parent Loop BB20_6 Depth=1
                                        ; =>  This Inner Loop Header: Depth=2
	s_clause 0x1
	s_load_b32 s19, s[0:1], 0x0
	s_load_b32 s28, s[0:1], 0x64
	s_add_i32 s18, s18, -1
	s_waitcnt lgkmcnt(0)
	v_cvt_f32_u32_e32 v9, s19
	s_sub_i32 s29, 0, s19
	s_add_u32 s0, s0, -4
	s_addc_u32 s1, s1, -1
	s_cmp_gt_u32 s18, 2
	v_rcp_iflag_f32_e32 v9, v9
	s_waitcnt_depctr 0xfff
	v_mul_f32_e32 v9, 0x4f7ffffe, v9
	s_delay_alu instid0(VALU_DEP_1) | instskip(NEXT) | instid1(VALU_DEP_1)
	v_cvt_u32_f32_e32 v9, v9
	v_mul_lo_u32 v10, s29, v9
	s_delay_alu instid0(VALU_DEP_1) | instskip(NEXT) | instid1(VALU_DEP_1)
	v_mul_hi_u32 v10, v9, v10
	v_dual_mov_b32 v15, v8 :: v_dual_add_nc_u32 v8, v9, v10
	s_delay_alu instid0(VALU_DEP_1) | instskip(NEXT) | instid1(VALU_DEP_1)
	v_mul_hi_u32 v8, v15, v8
	v_mul_lo_u32 v9, v8, s19
	v_add_nc_u32_e32 v10, 1, v8
	s_delay_alu instid0(VALU_DEP_2) | instskip(NEXT) | instid1(VALU_DEP_1)
	v_sub_nc_u32_e32 v9, v15, v9
	v_subrev_nc_u32_e32 v44, s19, v9
	v_cmp_le_u32_e32 vcc_lo, s19, v9
	s_delay_alu instid0(VALU_DEP_2) | instskip(NEXT) | instid1(VALU_DEP_1)
	v_dual_cndmask_b32 v8, v8, v10 :: v_dual_cndmask_b32 v9, v9, v44
	v_add_nc_u32_e32 v10, 1, v8
	s_delay_alu instid0(VALU_DEP_2) | instskip(NEXT) | instid1(VALU_DEP_2)
	v_cmp_le_u32_e32 vcc_lo, s19, v9
	v_cndmask_b32_e32 v8, v8, v10, vcc_lo
	s_delay_alu instid0(VALU_DEP_1) | instskip(NEXT) | instid1(VALU_DEP_1)
	v_mul_lo_u32 v9, v8, s19
	v_sub_nc_u32_e32 v15, v15, v9
	s_delay_alu instid0(VALU_DEP_1) | instskip(NEXT) | instid1(VALU_DEP_1)
	v_mad_u64_u32 v[9:10], null, s28, v15, v[7:8]
	v_mov_b32_e32 v7, v9
	s_cbranch_scc1 .LBB20_19
.LBB20_20:                              ;   in Loop: Header=BB20_6 Depth=1
	s_set_inst_prefetch_distance 0x2
	s_delay_alu instid0(VALU_DEP_1) | instskip(SKIP_1) | instid1(VALU_DEP_1)
	v_mad_u64_u32 v[9:10], null, s24, v8, v[7:8]
	v_mov_b32_e32 v10, v23
	v_lshlrev_b64 v[7:8], 1, v[9:10]
	s_delay_alu instid0(VALU_DEP_1) | instskip(NEXT) | instid1(VALU_DEP_2)
	v_add_co_u32 v7, vcc_lo, s12, v7
	v_add_co_ci_u32_e32 v8, vcc_lo, s13, v8, vcc_lo
	global_load_u16 v44, v[7:8], off
.LBB20_21:                              ;   in Loop: Header=BB20_6 Depth=1
	s_or_b32 exec_lo, exec_lo, s2
	v_add_nc_u32_e32 v10, s20, v13
	s_delay_alu instid0(VALU_DEP_1) | instskip(NEXT) | instid1(VALU_DEP_1)
	v_cmp_gt_u32_e64 s2, s4, v10
	s_and_saveexec_b32 s18, s2
	s_cbranch_execz .LBB20_26
; %bb.22:                               ;   in Loop: Header=BB20_6 Depth=1
	v_dual_mov_b32 v7, 0 :: v_dual_mov_b32 v8, v10
	s_and_not1_b32 vcc_lo, exec_lo, s25
	s_cbranch_vccnz .LBB20_25
; %bb.23:                               ;   in Loop: Header=BB20_6 Depth=1
	v_dual_mov_b32 v7, 0 :: v_dual_mov_b32 v8, v10
	s_mov_b64 s[0:1], s[14:15]
	s_mov_b32 s19, s27
	s_set_inst_prefetch_distance 0x1
	.p2align	6
.LBB20_24:                              ;   Parent Loop BB20_6 Depth=1
                                        ; =>  This Inner Loop Header: Depth=2
	s_clause 0x1
	s_load_b32 s28, s[0:1], 0x0
	s_load_b32 s29, s[0:1], 0x64
	s_add_i32 s19, s19, -1
	s_waitcnt lgkmcnt(0)
	v_cvt_f32_u32_e32 v9, s28
	s_sub_i32 s30, 0, s28
	s_add_u32 s0, s0, -4
	s_addc_u32 s1, s1, -1
	s_cmp_gt_u32 s19, 2
	v_rcp_iflag_f32_e32 v9, v9
	s_waitcnt_depctr 0xfff
	v_mul_f32_e32 v9, 0x4f7ffffe, v9
	s_delay_alu instid0(VALU_DEP_1) | instskip(NEXT) | instid1(VALU_DEP_1)
	v_cvt_u32_f32_e32 v9, v9
	v_mul_lo_u32 v15, s30, v9
	s_delay_alu instid0(VALU_DEP_1) | instskip(NEXT) | instid1(VALU_DEP_1)
	v_mul_hi_u32 v15, v9, v15
	v_dual_mov_b32 v43, v8 :: v_dual_add_nc_u32 v8, v9, v15
	s_delay_alu instid0(VALU_DEP_1) | instskip(NEXT) | instid1(VALU_DEP_1)
	v_mul_hi_u32 v8, v43, v8
	v_mul_lo_u32 v9, v8, s28
	v_add_nc_u32_e32 v15, 1, v8
	s_delay_alu instid0(VALU_DEP_2) | instskip(NEXT) | instid1(VALU_DEP_1)
	v_sub_nc_u32_e32 v9, v43, v9
	v_cmp_le_u32_e32 vcc_lo, s28, v9
	v_subrev_nc_u32_e32 v45, s28, v9
	s_delay_alu instid0(VALU_DEP_4) | instskip(NEXT) | instid1(VALU_DEP_1)
	v_cndmask_b32_e32 v8, v8, v15, vcc_lo
	v_add_nc_u32_e32 v15, 1, v8
	s_delay_alu instid0(VALU_DEP_3) | instskip(NEXT) | instid1(VALU_DEP_1)
	v_cndmask_b32_e32 v9, v9, v45, vcc_lo
	v_cmp_le_u32_e32 vcc_lo, s28, v9
	s_delay_alu instid0(VALU_DEP_3) | instskip(NEXT) | instid1(VALU_DEP_1)
	v_cndmask_b32_e32 v8, v8, v15, vcc_lo
	v_mul_lo_u32 v9, v8, s28
	s_delay_alu instid0(VALU_DEP_1) | instskip(NEXT) | instid1(VALU_DEP_1)
	v_sub_nc_u32_e32 v9, v43, v9
	v_mad_u64_u32 v[45:46], null, s29, v9, v[7:8]
	s_delay_alu instid0(VALU_DEP_1)
	v_mov_b32_e32 v7, v45
	s_cbranch_scc1 .LBB20_24
.LBB20_25:                              ;   in Loop: Header=BB20_6 Depth=1
	s_set_inst_prefetch_distance 0x2
	s_delay_alu instid0(VALU_DEP_1) | instskip(SKIP_1) | instid1(VALU_DEP_1)
	v_mad_u64_u32 v[45:46], null, s24, v8, v[7:8]
	v_mov_b32_e32 v46, v23
	v_lshlrev_b64 v[7:8], 1, v[45:46]
	s_delay_alu instid0(VALU_DEP_1) | instskip(NEXT) | instid1(VALU_DEP_2)
	v_add_co_u32 v7, vcc_lo, s12, v7
	v_add_co_ci_u32_e32 v8, vcc_lo, s13, v8, vcc_lo
	global_load_u16 v43, v[7:8], off
.LBB20_26:                              ;   in Loop: Header=BB20_6 Depth=1
	s_or_b32 exec_lo, exec_lo, s18
	v_add_nc_u32_e32 v9, s20, v10
	s_delay_alu instid0(VALU_DEP_1) | instskip(NEXT) | instid1(VALU_DEP_1)
	v_cmp_gt_u32_e64 s1, s4, v9
	s_and_saveexec_b32 s0, s1
	s_cbranch_execz .LBB20_31
; %bb.27:                               ;   in Loop: Header=BB20_6 Depth=1
	v_dual_mov_b32 v7, 0 :: v_dual_mov_b32 v8, v9
	s_and_not1_b32 vcc_lo, exec_lo, s25
	s_cbranch_vccnz .LBB20_30
; %bb.28:                               ;   in Loop: Header=BB20_6 Depth=1
	v_dual_mov_b32 v7, 0 :: v_dual_mov_b32 v8, v9
	s_mov_b64 s[18:19], s[14:15]
	s_mov_b32 s28, s27
	s_set_inst_prefetch_distance 0x1
	.p2align	6
.LBB20_29:                              ;   Parent Loop BB20_6 Depth=1
                                        ; =>  This Inner Loop Header: Depth=2
	s_clause 0x1
	s_load_b32 s29, s[18:19], 0x0
	s_load_b32 s30, s[18:19], 0x64
	s_add_i32 s28, s28, -1
	s_waitcnt lgkmcnt(0)
	v_cvt_f32_u32_e32 v15, s29
	s_sub_i32 s31, 0, s29
	s_add_u32 s18, s18, -4
	s_addc_u32 s19, s19, -1
	s_cmp_gt_u32 s28, 2
	v_rcp_iflag_f32_e32 v15, v15
	s_waitcnt_depctr 0xfff
	v_mul_f32_e32 v15, 0x4f7ffffe, v15
	s_delay_alu instid0(VALU_DEP_1) | instskip(NEXT) | instid1(VALU_DEP_1)
	v_cvt_u32_f32_e32 v15, v15
	v_mul_lo_u32 v42, s31, v15
	s_delay_alu instid0(VALU_DEP_1) | instskip(NEXT) | instid1(VALU_DEP_1)
	v_mul_hi_u32 v42, v15, v42
	v_dual_mov_b32 v45, v8 :: v_dual_add_nc_u32 v8, v15, v42
	s_delay_alu instid0(VALU_DEP_1) | instskip(NEXT) | instid1(VALU_DEP_1)
	v_mul_hi_u32 v8, v45, v8
	v_mul_lo_u32 v15, v8, s29
	v_add_nc_u32_e32 v42, 1, v8
	s_delay_alu instid0(VALU_DEP_2) | instskip(NEXT) | instid1(VALU_DEP_1)
	v_sub_nc_u32_e32 v15, v45, v15
	v_subrev_nc_u32_e32 v46, s29, v15
	v_cmp_le_u32_e32 vcc_lo, s29, v15
	s_delay_alu instid0(VALU_DEP_4) | instskip(NEXT) | instid1(VALU_DEP_1)
	v_cndmask_b32_e32 v8, v8, v42, vcc_lo
	v_dual_cndmask_b32 v15, v15, v46 :: v_dual_add_nc_u32 v42, 1, v8
	s_delay_alu instid0(VALU_DEP_1) | instskip(NEXT) | instid1(VALU_DEP_2)
	v_cmp_le_u32_e32 vcc_lo, s29, v15
	v_cndmask_b32_e32 v8, v8, v42, vcc_lo
	s_delay_alu instid0(VALU_DEP_1) | instskip(NEXT) | instid1(VALU_DEP_1)
	v_mul_lo_u32 v15, v8, s29
	v_sub_nc_u32_e32 v15, v45, v15
	s_delay_alu instid0(VALU_DEP_1) | instskip(NEXT) | instid1(VALU_DEP_1)
	v_mad_u64_u32 v[45:46], null, s30, v15, v[7:8]
	v_mov_b32_e32 v7, v45
	s_cbranch_scc1 .LBB20_29
.LBB20_30:                              ;   in Loop: Header=BB20_6 Depth=1
	s_set_inst_prefetch_distance 0x2
	s_delay_alu instid0(VALU_DEP_1) | instskip(SKIP_1) | instid1(VALU_DEP_1)
	v_mad_u64_u32 v[45:46], null, s24, v8, v[7:8]
	v_mov_b32_e32 v46, v23
	v_lshlrev_b64 v[7:8], 1, v[45:46]
	s_delay_alu instid0(VALU_DEP_1) | instskip(NEXT) | instid1(VALU_DEP_2)
	v_add_co_u32 v7, vcc_lo, s12, v7
	v_add_co_ci_u32_e32 v8, vcc_lo, s13, v8, vcc_lo
	global_load_u16 v42, v[7:8], off
.LBB20_31:                              ;   in Loop: Header=BB20_6 Depth=1
	s_or_b32 exec_lo, exec_lo, s0
	v_add_nc_u32_e32 v8, s20, v9
	s_delay_alu instid0(VALU_DEP_1) | instskip(NEXT) | instid1(VALU_DEP_1)
	v_cmp_gt_u32_e64 s0, s4, v8
	s_and_saveexec_b32 s28, s0
	s_cbranch_execnz .LBB20_36
; %bb.32:                               ;   in Loop: Header=BB20_6 Depth=1
	s_or_b32 exec_lo, exec_lo, s28
	s_and_saveexec_b32 s28, s3
	s_cbranch_execnz .LBB20_40
.LBB20_33:                              ;   in Loop: Header=BB20_6 Depth=1
	s_or_b32 exec_lo, exec_lo, s28
	s_and_saveexec_b32 s18, s2
	s_cbranch_execnz .LBB20_44
.LBB20_34:                              ;   in Loop: Header=BB20_6 Depth=1
	s_or_b32 exec_lo, exec_lo, s18
	s_and_saveexec_b32 s18, s1
	s_cbranch_execnz .LBB20_48
.LBB20_35:                              ;   in Loop: Header=BB20_6 Depth=1
	s_or_b32 exec_lo, exec_lo, s18
	s_and_saveexec_b32 s2, s0
	s_cbranch_execz .LBB20_5
	s_branch .LBB20_52
.LBB20_36:                              ;   in Loop: Header=BB20_6 Depth=1
	v_mov_b32_e32 v7, 0
	v_mov_b32_e32 v15, v8
	s_and_not1_b32 vcc_lo, exec_lo, s25
	s_cbranch_vccnz .LBB20_39
; %bb.37:                               ;   in Loop: Header=BB20_6 Depth=1
	v_mov_b32_e32 v7, 0
	v_mov_b32_e32 v15, v8
	s_mov_b64 s[18:19], s[14:15]
	s_mov_b32 s29, s27
	s_set_inst_prefetch_distance 0x1
	.p2align	6
.LBB20_38:                              ;   Parent Loop BB20_6 Depth=1
                                        ; =>  This Inner Loop Header: Depth=2
	s_clause 0x1
	s_load_b32 s30, s[18:19], 0x0
	s_load_b32 s31, s[18:19], 0x64
	s_add_i32 s29, s29, -1
	v_mov_b32_e32 v46, v15
	s_waitcnt lgkmcnt(0)
	v_cvt_f32_u32_e32 v41, s30
	s_sub_i32 s33, 0, s30
	s_add_u32 s18, s18, -4
	s_addc_u32 s19, s19, -1
	s_cmp_gt_u32 s29, 2
	v_rcp_iflag_f32_e32 v41, v41
	s_waitcnt_depctr 0xfff
	v_mul_f32_e32 v41, 0x4f7ffffe, v41
	s_delay_alu instid0(VALU_DEP_1) | instskip(NEXT) | instid1(VALU_DEP_1)
	v_cvt_u32_f32_e32 v41, v41
	v_mul_lo_u32 v45, s33, v41
	s_delay_alu instid0(VALU_DEP_1) | instskip(NEXT) | instid1(VALU_DEP_1)
	v_mul_hi_u32 v45, v41, v45
	v_add_nc_u32_e32 v15, v41, v45
	s_delay_alu instid0(VALU_DEP_1) | instskip(NEXT) | instid1(VALU_DEP_1)
	v_mul_hi_u32 v15, v46, v15
	v_mul_lo_u32 v41, v15, s30
	v_add_nc_u32_e32 v45, 1, v15
	s_delay_alu instid0(VALU_DEP_2) | instskip(NEXT) | instid1(VALU_DEP_1)
	v_sub_nc_u32_e32 v41, v46, v41
	v_subrev_nc_u32_e32 v47, s30, v41
	v_cmp_le_u32_e32 vcc_lo, s30, v41
	s_delay_alu instid0(VALU_DEP_4) | instskip(NEXT) | instid1(VALU_DEP_3)
	v_cndmask_b32_e32 v15, v15, v45, vcc_lo
	v_cndmask_b32_e32 v41, v41, v47, vcc_lo
	s_delay_alu instid0(VALU_DEP_2) | instskip(NEXT) | instid1(VALU_DEP_2)
	v_add_nc_u32_e32 v45, 1, v15
	v_cmp_le_u32_e32 vcc_lo, s30, v41
	s_delay_alu instid0(VALU_DEP_2) | instskip(NEXT) | instid1(VALU_DEP_1)
	v_cndmask_b32_e32 v15, v15, v45, vcc_lo
	v_mul_lo_u32 v41, v15, s30
	s_delay_alu instid0(VALU_DEP_1) | instskip(NEXT) | instid1(VALU_DEP_1)
	v_sub_nc_u32_e32 v41, v46, v41
	v_mad_u64_u32 v[45:46], null, s31, v41, v[7:8]
	s_delay_alu instid0(VALU_DEP_1)
	v_mov_b32_e32 v7, v45
	s_cbranch_scc1 .LBB20_38
.LBB20_39:                              ;   in Loop: Header=BB20_6 Depth=1
	s_set_inst_prefetch_distance 0x2
	s_delay_alu instid0(VALU_DEP_1) | instskip(SKIP_1) | instid1(VALU_DEP_1)
	v_mad_u64_u32 v[45:46], null, s24, v15, v[7:8]
	v_mov_b32_e32 v46, v23
	v_lshlrev_b64 v[45:46], 1, v[45:46]
	s_delay_alu instid0(VALU_DEP_1) | instskip(NEXT) | instid1(VALU_DEP_2)
	v_add_co_u32 v45, vcc_lo, s12, v45
	v_add_co_ci_u32_e32 v46, vcc_lo, s13, v46, vcc_lo
	global_load_u16 v41, v[45:46], off
	s_or_b32 exec_lo, exec_lo, s28
	s_and_saveexec_b32 s28, s3
	s_cbranch_execz .LBB20_33
.LBB20_40:                              ;   in Loop: Header=BB20_6 Depth=1
	v_mov_b32_e32 v7, 0
	v_mov_b32_e32 v15, v13
	s_and_not1_b32 vcc_lo, exec_lo, s26
	s_cbranch_vccnz .LBB20_43
; %bb.41:                               ;   in Loop: Header=BB20_6 Depth=1
	v_mov_b32_e32 v7, 0
	v_mov_b32_e32 v15, v13
	s_mov_b64 s[18:19], s[16:17]
	s_mov_b32 s3, s6
	s_set_inst_prefetch_distance 0x1
	.p2align	6
.LBB20_42:                              ;   Parent Loop BB20_6 Depth=1
                                        ; =>  This Inner Loop Header: Depth=2
	s_clause 0x1
	s_load_b32 s29, s[18:19], 0x0
	s_load_b32 s30, s[18:19], 0x64
	v_mov_b32_e32 v47, v15
	s_add_i32 s3, s3, -1
	s_waitcnt lgkmcnt(0)
	v_cvt_f32_u32_e32 v45, s29
	s_sub_i32 s31, 0, s29
	s_add_u32 s18, s18, -4
	s_addc_u32 s19, s19, -1
	s_cmp_gt_u32 s3, 2
	v_rcp_iflag_f32_e32 v45, v45
	s_waitcnt_depctr 0xfff
	v_mul_f32_e32 v45, 0x4f7ffffe, v45
	s_delay_alu instid0(VALU_DEP_1) | instskip(NEXT) | instid1(VALU_DEP_1)
	v_cvt_u32_f32_e32 v45, v45
	v_mul_lo_u32 v46, s31, v45
	s_delay_alu instid0(VALU_DEP_1) | instskip(NEXT) | instid1(VALU_DEP_1)
	v_mul_hi_u32 v46, v45, v46
	v_add_nc_u32_e32 v15, v45, v46
	s_delay_alu instid0(VALU_DEP_1) | instskip(NEXT) | instid1(VALU_DEP_1)
	v_mul_hi_u32 v15, v47, v15
	v_add_nc_u32_e32 v46, 1, v15
	v_mul_lo_u32 v45, v15, s29
	s_delay_alu instid0(VALU_DEP_1) | instskip(NEXT) | instid1(VALU_DEP_1)
	v_sub_nc_u32_e32 v45, v47, v45
	v_subrev_nc_u32_e32 v48, s29, v45
	v_cmp_le_u32_e32 vcc_lo, s29, v45
	v_cndmask_b32_e32 v15, v15, v46, vcc_lo
	s_delay_alu instid0(VALU_DEP_1) | instskip(NEXT) | instid1(VALU_DEP_1)
	v_dual_cndmask_b32 v45, v45, v48 :: v_dual_add_nc_u32 v46, 1, v15
	v_cmp_le_u32_e32 vcc_lo, s29, v45
	s_delay_alu instid0(VALU_DEP_2) | instskip(NEXT) | instid1(VALU_DEP_1)
	v_cndmask_b32_e32 v15, v15, v46, vcc_lo
	v_mul_lo_u32 v45, v15, s29
	s_delay_alu instid0(VALU_DEP_1) | instskip(NEXT) | instid1(VALU_DEP_1)
	v_sub_nc_u32_e32 v47, v47, v45
	v_mad_u64_u32 v[45:46], null, s30, v47, v[7:8]
	s_delay_alu instid0(VALU_DEP_1)
	v_mov_b32_e32 v7, v45
	s_cbranch_scc1 .LBB20_42
.LBB20_43:                              ;   in Loop: Header=BB20_6 Depth=1
	s_set_inst_prefetch_distance 0x2
	v_cvt_f32_u32_e32 v0, v0
	s_delay_alu instid0(VALU_DEP_2) | instskip(SKIP_4) | instid1(VALU_DEP_3)
	v_mad_u64_u32 v[45:46], null, s23, v15, v[7:8]
	v_mov_b32_e32 v46, v23
	s_waitcnt vmcnt(0)
	v_cvt_f32_f16_e32 v7, v44
	v_fmaak_f32 v0, 0x2f800000, v0, 0x2f800000
	v_lshlrev_b64 v[46:47], 1, v[45:46]
	s_delay_alu instid0(VALU_DEP_2) | instskip(NEXT) | instid1(VALU_DEP_2)
	v_cmp_gt_f32_e32 vcc_lo, s5, v0
	v_add_co_u32 v46, s3, s10, v46
	v_cndmask_b32_e64 v0, 0, 1.0, vcc_lo
	s_delay_alu instid0(VALU_DEP_4) | instskip(NEXT) | instid1(VALU_DEP_2)
	v_add_co_ci_u32_e64 v47, s3, s11, v47, s3
	v_mul_f32_e32 v0, v0, v7
	v_cndmask_b32_e64 v7, 0, 1, vcc_lo
	s_delay_alu instid0(VALU_DEP_2)
	v_fma_mixlo_f16 v0, v38, v0, 0
	global_store_b16 v[46:47], v0, off
	global_store_b8 v45, v7, s[8:9]
	s_or_b32 exec_lo, exec_lo, s28
	s_and_saveexec_b32 s18, s2
	s_cbranch_execz .LBB20_34
.LBB20_44:                              ;   in Loop: Header=BB20_6 Depth=1
	v_mov_b32_e32 v0, 0
	s_and_not1_b32 vcc_lo, exec_lo, s26
	s_cbranch_vccnz .LBB20_47
; %bb.45:                               ;   in Loop: Header=BB20_6 Depth=1
	v_mov_b32_e32 v0, 0
	s_mov_b64 s[2:3], s[16:17]
	s_mov_b32 s19, s6
	s_set_inst_prefetch_distance 0x1
	.p2align	6
.LBB20_46:                              ;   Parent Loop BB20_6 Depth=1
                                        ; =>  This Inner Loop Header: Depth=2
	s_clause 0x1
	s_load_b32 s28, s[2:3], 0x0
	s_load_b32 s29, s[2:3], 0x64
	v_mov_b32_e32 v45, v10
	s_add_i32 s19, s19, -1
	s_waitcnt lgkmcnt(0)
	v_cvt_f32_u32_e32 v7, s28
	s_sub_i32 s30, 0, s28
	s_add_u32 s2, s2, -4
	s_addc_u32 s3, s3, -1
	s_cmp_gt_u32 s19, 2
	v_rcp_iflag_f32_e32 v7, v7
	s_waitcnt_depctr 0xfff
	v_mul_f32_e32 v7, 0x4f7ffffe, v7
	s_delay_alu instid0(VALU_DEP_1) | instskip(NEXT) | instid1(VALU_DEP_1)
	v_cvt_u32_f32_e32 v7, v7
	v_mul_lo_u32 v15, s30, v7
	s_delay_alu instid0(VALU_DEP_1) | instskip(NEXT) | instid1(VALU_DEP_1)
	v_mul_hi_u32 v15, v7, v15
	v_add_nc_u32_e32 v7, v7, v15
	s_delay_alu instid0(VALU_DEP_1) | instskip(NEXT) | instid1(VALU_DEP_1)
	v_mul_hi_u32 v7, v45, v7
	v_mul_lo_u32 v10, v7, s28
	v_add_nc_u32_e32 v15, 1, v7
	s_delay_alu instid0(VALU_DEP_2) | instskip(NEXT) | instid1(VALU_DEP_1)
	v_sub_nc_u32_e32 v10, v45, v10
	v_subrev_nc_u32_e32 v46, s28, v10
	v_cmp_le_u32_e32 vcc_lo, s28, v10
	s_delay_alu instid0(VALU_DEP_2) | instskip(NEXT) | instid1(VALU_DEP_1)
	v_dual_cndmask_b32 v7, v7, v15 :: v_dual_cndmask_b32 v10, v10, v46
	v_add_nc_u32_e32 v15, 1, v7
	s_delay_alu instid0(VALU_DEP_2) | instskip(NEXT) | instid1(VALU_DEP_2)
	v_cmp_le_u32_e32 vcc_lo, s28, v10
	v_cndmask_b32_e32 v10, v7, v15, vcc_lo
	s_delay_alu instid0(VALU_DEP_1) | instskip(NEXT) | instid1(VALU_DEP_1)
	v_mul_lo_u32 v7, v10, s28
	v_sub_nc_u32_e32 v7, v45, v7
	s_delay_alu instid0(VALU_DEP_1) | instskip(NEXT) | instid1(VALU_DEP_1)
	v_mad_u64_u32 v[45:46], null, s29, v7, v[0:1]
	v_mov_b32_e32 v0, v45
	s_cbranch_scc1 .LBB20_46
.LBB20_47:                              ;   in Loop: Header=BB20_6 Depth=1
	s_set_inst_prefetch_distance 0x2
	v_cvt_f32_u32_e32 v1, v1
	s_waitcnt vmcnt(0)
	v_cvt_f32_f16_e32 v7, v43
	s_delay_alu instid0(VALU_DEP_2) | instskip(SKIP_2) | instid1(VALU_DEP_2)
	v_mad_u64_u32 v[45:46], null, s23, v10, v[0:1]
	v_fmaak_f32 v0, 0x2f800000, v1, 0x2f800000
	v_mov_b32_e32 v46, v23
	v_cmp_gt_f32_e32 vcc_lo, s5, v0
	s_delay_alu instid0(VALU_DEP_2) | instskip(SKIP_1) | instid1(VALU_DEP_2)
	v_lshlrev_b64 v[0:1], 1, v[45:46]
	v_cndmask_b32_e64 v10, 0, 1.0, vcc_lo
	v_add_co_u32 v0, s2, s10, v0
	s_delay_alu instid0(VALU_DEP_1) | instskip(NEXT) | instid1(VALU_DEP_3)
	v_add_co_ci_u32_e64 v1, s2, s11, v1, s2
	v_mul_f32_e32 v7, v10, v7
	v_cndmask_b32_e64 v10, 0, 1, vcc_lo
	s_delay_alu instid0(VALU_DEP_2)
	v_fma_mixlo_f16 v7, v38, v7, 0
	global_store_b16 v[0:1], v7, off
	global_store_b8 v45, v10, s[8:9]
	s_or_b32 exec_lo, exec_lo, s18
	s_and_saveexec_b32 s18, s1
	s_cbranch_execz .LBB20_35
.LBB20_48:                              ;   in Loop: Header=BB20_6 Depth=1
	v_mov_b32_e32 v0, 0
	s_and_not1_b32 vcc_lo, exec_lo, s26
	s_cbranch_vccnz .LBB20_51
; %bb.49:                               ;   in Loop: Header=BB20_6 Depth=1
	v_mov_b32_e32 v0, 0
	s_mov_b64 s[2:3], s[16:17]
	s_mov_b32 s1, s6
	s_set_inst_prefetch_distance 0x1
	.p2align	6
.LBB20_50:                              ;   Parent Loop BB20_6 Depth=1
                                        ; =>  This Inner Loop Header: Depth=2
	s_clause 0x1
	s_load_b32 s19, s[2:3], 0x0
	s_load_b32 s28, s[2:3], 0x64
	s_add_i32 s1, s1, -1
	v_mov_b32_e32 v10, v9
	s_waitcnt lgkmcnt(0)
	v_cvt_f32_u32_e32 v1, s19
	s_sub_i32 s29, 0, s19
	s_add_u32 s2, s2, -4
	s_addc_u32 s3, s3, -1
	s_cmp_gt_u32 s1, 2
	v_rcp_iflag_f32_e32 v1, v1
	s_waitcnt_depctr 0xfff
	v_mul_f32_e32 v1, 0x4f7ffffe, v1
	s_delay_alu instid0(VALU_DEP_1) | instskip(NEXT) | instid1(VALU_DEP_1)
	v_cvt_u32_f32_e32 v1, v1
	v_mul_lo_u32 v7, s29, v1
	s_delay_alu instid0(VALU_DEP_1) | instskip(NEXT) | instid1(VALU_DEP_1)
	v_mul_hi_u32 v7, v1, v7
	v_add_nc_u32_e32 v1, v1, v7
	s_delay_alu instid0(VALU_DEP_1) | instskip(NEXT) | instid1(VALU_DEP_1)
	v_mul_hi_u32 v1, v10, v1
	v_mul_lo_u32 v7, v1, s19
	v_add_nc_u32_e32 v9, 1, v1
	s_delay_alu instid0(VALU_DEP_2) | instskip(NEXT) | instid1(VALU_DEP_1)
	v_sub_nc_u32_e32 v7, v10, v7
	v_subrev_nc_u32_e32 v15, s19, v7
	v_cmp_le_u32_e32 vcc_lo, s19, v7
	s_delay_alu instid0(VALU_DEP_4) | instskip(NEXT) | instid1(VALU_DEP_3)
	v_cndmask_b32_e32 v1, v1, v9, vcc_lo
	v_cndmask_b32_e32 v7, v7, v15, vcc_lo
	s_delay_alu instid0(VALU_DEP_2) | instskip(NEXT) | instid1(VALU_DEP_2)
	v_add_nc_u32_e32 v9, 1, v1
	v_cmp_le_u32_e32 vcc_lo, s19, v7
	s_delay_alu instid0(VALU_DEP_2) | instskip(NEXT) | instid1(VALU_DEP_1)
	v_cndmask_b32_e32 v9, v1, v9, vcc_lo
	v_mul_lo_u32 v1, v9, s19
	s_delay_alu instid0(VALU_DEP_1) | instskip(NEXT) | instid1(VALU_DEP_1)
	v_sub_nc_u32_e32 v1, v10, v1
	v_mad_u64_u32 v[45:46], null, s28, v1, v[0:1]
	s_delay_alu instid0(VALU_DEP_1)
	v_mov_b32_e32 v0, v45
	s_cbranch_scc1 .LBB20_50
.LBB20_51:                              ;   in Loop: Header=BB20_6 Depth=1
	s_set_inst_prefetch_distance 0x2
	v_cvt_f32_u32_e32 v7, v2
	s_delay_alu instid0(VALU_DEP_2) | instskip(SKIP_1) | instid1(VALU_DEP_3)
	v_mad_u64_u32 v[1:2], null, s23, v9, v[0:1]
	v_mov_b32_e32 v2, v23
	v_fmaak_f32 v0, 0x2f800000, v7, 0x2f800000
	s_waitcnt vmcnt(0)
	v_cvt_f32_f16_e32 v7, v42
	s_delay_alu instid0(VALU_DEP_3) | instskip(NEXT) | instid1(VALU_DEP_3)
	v_lshlrev_b64 v[9:10], 1, v[1:2]
	v_cmp_gt_f32_e32 vcc_lo, s5, v0
	s_delay_alu instid0(VALU_DEP_2) | instskip(SKIP_1) | instid1(VALU_DEP_4)
	v_add_co_u32 v9, s1, s10, v9
	v_cndmask_b32_e64 v0, 0, 1.0, vcc_lo
	v_add_co_ci_u32_e64 v10, s1, s11, v10, s1
	v_cndmask_b32_e64 v2, 0, 1, vcc_lo
	s_delay_alu instid0(VALU_DEP_3) | instskip(NEXT) | instid1(VALU_DEP_1)
	v_mul_f32_e32 v0, v0, v7
	v_fma_mixlo_f16 v0, v38, v0, 0
	global_store_b16 v[9:10], v0, off
	global_store_b8 v1, v2, s[8:9]
	s_or_b32 exec_lo, exec_lo, s18
	s_and_saveexec_b32 s2, s0
	s_cbranch_execz .LBB20_5
.LBB20_52:                              ;   in Loop: Header=BB20_6 Depth=1
	v_mov_b32_e32 v0, 0
	s_and_not1_b32 vcc_lo, exec_lo, s26
	s_cbranch_vccnz .LBB20_4
; %bb.53:                               ;   in Loop: Header=BB20_6 Depth=1
	v_mov_b32_e32 v0, 0
	s_mov_b64 s[0:1], s[16:17]
	s_mov_b32 s3, s6
	s_set_inst_prefetch_distance 0x1
	.p2align	6
.LBB20_54:                              ;   Parent Loop BB20_6 Depth=1
                                        ; =>  This Inner Loop Header: Depth=2
	s_clause 0x1
	s_load_b32 s18, s[0:1], 0x0
	s_load_b32 s19, s[0:1], 0x64
	v_mov_b32_e32 v7, v8
	s_add_i32 s3, s3, -1
	s_waitcnt lgkmcnt(0)
	v_cvt_f32_u32_e32 v1, s18
	s_sub_i32 s28, 0, s18
	s_add_u32 s0, s0, -4
	s_addc_u32 s1, s1, -1
	s_cmp_gt_u32 s3, 2
	v_rcp_iflag_f32_e32 v1, v1
	s_waitcnt_depctr 0xfff
	v_mul_f32_e32 v1, 0x4f7ffffe, v1
	s_delay_alu instid0(VALU_DEP_1) | instskip(NEXT) | instid1(VALU_DEP_1)
	v_cvt_u32_f32_e32 v1, v1
	v_mul_lo_u32 v2, s28, v1
	s_delay_alu instid0(VALU_DEP_1) | instskip(NEXT) | instid1(VALU_DEP_1)
	v_mul_hi_u32 v2, v1, v2
	v_add_nc_u32_e32 v1, v1, v2
	s_delay_alu instid0(VALU_DEP_1) | instskip(NEXT) | instid1(VALU_DEP_1)
	v_mul_hi_u32 v1, v7, v1
	v_mul_lo_u32 v2, v1, s18
	v_add_nc_u32_e32 v8, 1, v1
	s_delay_alu instid0(VALU_DEP_2) | instskip(NEXT) | instid1(VALU_DEP_1)
	v_sub_nc_u32_e32 v2, v7, v2
	v_subrev_nc_u32_e32 v9, s18, v2
	v_cmp_le_u32_e32 vcc_lo, s18, v2
	s_delay_alu instid0(VALU_DEP_2) | instskip(NEXT) | instid1(VALU_DEP_1)
	v_dual_cndmask_b32 v2, v2, v9 :: v_dual_cndmask_b32 v1, v1, v8
	v_cmp_le_u32_e32 vcc_lo, s18, v2
	s_delay_alu instid0(VALU_DEP_2) | instskip(NEXT) | instid1(VALU_DEP_1)
	v_add_nc_u32_e32 v8, 1, v1
	v_cndmask_b32_e32 v8, v1, v8, vcc_lo
	s_delay_alu instid0(VALU_DEP_1) | instskip(NEXT) | instid1(VALU_DEP_1)
	v_mul_lo_u32 v1, v8, s18
	v_sub_nc_u32_e32 v7, v7, v1
	s_delay_alu instid0(VALU_DEP_1) | instskip(NEXT) | instid1(VALU_DEP_1)
	v_mad_u64_u32 v[1:2], null, s19, v7, v[0:1]
	v_mov_b32_e32 v0, v1
	s_cbranch_scc1 .LBB20_54
	s_branch .LBB20_4
.LBB20_55:
	s_endpgm
	.section	.rodata,"a",@progbits
	.p2align	6, 0x0
	.amdhsa_kernel _ZN2at6native12_GLOBAL__N_120fused_dropout_kernelIN3c104HalfEfjLin1ELin1EbEEvNS_4cuda6detail10TensorInfoIKT_T1_EENS7_IS8_SA_EENS7_IT4_SA_EESA_T0_NS_15PhiloxCudaStateE
		.amdhsa_group_segment_fixed_size 0
		.amdhsa_private_segment_fixed_size 0
		.amdhsa_kernarg_size 944
		.amdhsa_user_sgpr_count 15
		.amdhsa_user_sgpr_dispatch_ptr 0
		.amdhsa_user_sgpr_queue_ptr 0
		.amdhsa_user_sgpr_kernarg_segment_ptr 1
		.amdhsa_user_sgpr_dispatch_id 0
		.amdhsa_user_sgpr_private_segment_size 0
		.amdhsa_wavefront_size32 1
		.amdhsa_uses_dynamic_stack 0
		.amdhsa_enable_private_segment 0
		.amdhsa_system_sgpr_workgroup_id_x 1
		.amdhsa_system_sgpr_workgroup_id_y 0
		.amdhsa_system_sgpr_workgroup_id_z 0
		.amdhsa_system_sgpr_workgroup_info 0
		.amdhsa_system_vgpr_workitem_id 0
		.amdhsa_next_free_vgpr 49
		.amdhsa_next_free_sgpr 34
		.amdhsa_reserve_vcc 1
		.amdhsa_float_round_mode_32 0
		.amdhsa_float_round_mode_16_64 0
		.amdhsa_float_denorm_mode_32 3
		.amdhsa_float_denorm_mode_16_64 3
		.amdhsa_dx10_clamp 1
		.amdhsa_ieee_mode 1
		.amdhsa_fp16_overflow 0
		.amdhsa_workgroup_processor_mode 1
		.amdhsa_memory_ordered 1
		.amdhsa_forward_progress 0
		.amdhsa_shared_vgpr_count 0
		.amdhsa_exception_fp_ieee_invalid_op 0
		.amdhsa_exception_fp_denorm_src 0
		.amdhsa_exception_fp_ieee_div_zero 0
		.amdhsa_exception_fp_ieee_overflow 0
		.amdhsa_exception_fp_ieee_underflow 0
		.amdhsa_exception_fp_ieee_inexact 0
		.amdhsa_exception_int_div_zero 0
	.end_amdhsa_kernel
	.section	.text._ZN2at6native12_GLOBAL__N_120fused_dropout_kernelIN3c104HalfEfjLin1ELin1EbEEvNS_4cuda6detail10TensorInfoIKT_T1_EENS7_IS8_SA_EENS7_IT4_SA_EESA_T0_NS_15PhiloxCudaStateE,"axG",@progbits,_ZN2at6native12_GLOBAL__N_120fused_dropout_kernelIN3c104HalfEfjLin1ELin1EbEEvNS_4cuda6detail10TensorInfoIKT_T1_EENS7_IS8_SA_EENS7_IT4_SA_EESA_T0_NS_15PhiloxCudaStateE,comdat
.Lfunc_end20:
	.size	_ZN2at6native12_GLOBAL__N_120fused_dropout_kernelIN3c104HalfEfjLin1ELin1EbEEvNS_4cuda6detail10TensorInfoIKT_T1_EENS7_IS8_SA_EENS7_IT4_SA_EESA_T0_NS_15PhiloxCudaStateE, .Lfunc_end20-_ZN2at6native12_GLOBAL__N_120fused_dropout_kernelIN3c104HalfEfjLin1ELin1EbEEvNS_4cuda6detail10TensorInfoIKT_T1_EENS7_IS8_SA_EENS7_IT4_SA_EESA_T0_NS_15PhiloxCudaStateE
                                        ; -- End function
	.section	.AMDGPU.csdata,"",@progbits
; Kernel info:
; codeLenInByte = 4836
; NumSgprs: 36
; NumVgprs: 49
; ScratchSize: 0
; MemoryBound: 0
; FloatMode: 240
; IeeeMode: 1
; LDSByteSize: 0 bytes/workgroup (compile time only)
; SGPRBlocks: 4
; VGPRBlocks: 6
; NumSGPRsForWavesPerEU: 36
; NumVGPRsForWavesPerEU: 49
; Occupancy: 16
; WaveLimiterHint : 1
; COMPUTE_PGM_RSRC2:SCRATCH_EN: 0
; COMPUTE_PGM_RSRC2:USER_SGPR: 15
; COMPUTE_PGM_RSRC2:TRAP_HANDLER: 0
; COMPUTE_PGM_RSRC2:TGID_X_EN: 1
; COMPUTE_PGM_RSRC2:TGID_Y_EN: 0
; COMPUTE_PGM_RSRC2:TGID_Z_EN: 0
; COMPUTE_PGM_RSRC2:TIDIG_COMP_CNT: 0
	.section	.text._ZN2at6native12_GLOBAL__N_124fused_dropout_kernel_vecIN3c108BFloat16EfjLi1ELi16EbEEvNS_4cuda6detail10TensorInfoIKT_T1_EENS7_IS8_SA_EENS7_IT4_SA_EESA_T0_NS_15PhiloxCudaStateE,"axG",@progbits,_ZN2at6native12_GLOBAL__N_124fused_dropout_kernel_vecIN3c108BFloat16EfjLi1ELi16EbEEvNS_4cuda6detail10TensorInfoIKT_T1_EENS7_IS8_SA_EENS7_IT4_SA_EESA_T0_NS_15PhiloxCudaStateE,comdat
	.globl	_ZN2at6native12_GLOBAL__N_124fused_dropout_kernel_vecIN3c108BFloat16EfjLi1ELi16EbEEvNS_4cuda6detail10TensorInfoIKT_T1_EENS7_IS8_SA_EENS7_IT4_SA_EESA_T0_NS_15PhiloxCudaStateE ; -- Begin function _ZN2at6native12_GLOBAL__N_124fused_dropout_kernel_vecIN3c108BFloat16EfjLi1ELi16EbEEvNS_4cuda6detail10TensorInfoIKT_T1_EENS7_IS8_SA_EENS7_IT4_SA_EESA_T0_NS_15PhiloxCudaStateE
	.p2align	8
	.type	_ZN2at6native12_GLOBAL__N_124fused_dropout_kernel_vecIN3c108BFloat16EfjLi1ELi16EbEEvNS_4cuda6detail10TensorInfoIKT_T1_EENS7_IS8_SA_EENS7_IT4_SA_EESA_T0_NS_15PhiloxCudaStateE,@function
_ZN2at6native12_GLOBAL__N_124fused_dropout_kernel_vecIN3c108BFloat16EfjLi1ELi16EbEEvNS_4cuda6detail10TensorInfoIKT_T1_EENS7_IS8_SA_EENS7_IT4_SA_EESA_T0_NS_15PhiloxCudaStateE: ; @_ZN2at6native12_GLOBAL__N_124fused_dropout_kernel_vecIN3c108BFloat16EfjLi1ELi16EbEEvNS_4cuda6detail10TensorInfoIKT_T1_EENS7_IS8_SA_EENS7_IT4_SA_EESA_T0_NS_15PhiloxCudaStateE
; %bb.0:
	s_clause 0x1
	s_load_b128 s[4:7], s[0:1], 0x290
	s_load_b32 s2, s[0:1], 0x2a8
	s_waitcnt lgkmcnt(0)
	v_dual_mov_b32 v3, s6 :: v_dual_mov_b32 v4, s7
	v_dual_mov_b32 v11, s5 :: v_dual_mov_b32 v10, s4
	s_bitcmp0_b32 s2, 0
	s_cbranch_scc1 .LBB21_2
; %bb.1:
	v_dual_mov_b32 v1, s6 :: v_dual_mov_b32 v2, s7
	v_dual_mov_b32 v3, s4 :: v_dual_mov_b32 v4, s5
	s_load_b64 s[2:3], s[0:1], 0x2a0
	flat_load_b64 v[1:2], v[1:2]
	flat_load_b64 v[10:11], v[3:4]
	s_waitcnt vmcnt(1) lgkmcnt(0)
	v_add_co_u32 v3, vcc_lo, v1, s2
	v_add_co_ci_u32_e32 v4, vcc_lo, s3, v2, vcc_lo
.LBB21_2:
	s_clause 0x1
	s_load_b32 s4, s[0:1], 0x2bc
	s_load_b64 s[16:17], s[0:1], 0x288
	s_add_u32 s2, s0, 0x2b0
	s_addc_u32 s3, s1, 0
	s_mov_b32 s5, exec_lo
	s_waitcnt lgkmcnt(0)
	s_and_b32 s4, s4, 0xffff
	s_delay_alu instid0(SALU_CYCLE_1) | instskip(NEXT) | instid1(VALU_DEP_1)
	v_mad_u64_u32 v[8:9], null, s15, s4, v[0:1]
	v_lshlrev_b32_e32 v12, 4, v8
	s_delay_alu instid0(VALU_DEP_1)
	v_cmpx_gt_u32_e64 s16, v12
	s_cbranch_execz .LBB21_45
; %bb.3:
	v_alignbit_b32 v22, v4, v3, 2
	v_mad_u64_u32 v[0:1], null, 0xcd9e8d57, v8, 0
	v_lshrrev_b32_e32 v9, 2, v4
	s_waitcnt vmcnt(0)
	v_mov_b32_e32 v16, v11
	v_mad_u64_u32 v[5:6], null, 0xd2511f53, v22, 0
	v_add_co_u32 v24, null, 0x9e3779b9, v10
	v_xor3_b32 v4, v10, v1, v9
	s_delay_alu instid0(VALU_DEP_4) | instskip(SKIP_2) | instid1(VALU_DEP_4)
	v_add_co_u32 v23, null, 0xbb67ae85, v16
	v_add_co_u32 v25, null, 0x3c6ef372, v10
	v_xor_b32_e32 v13, v6, v11
	v_mad_u64_u32 v[1:2], null, 0xd2511f53, v4, 0
	v_add_co_u32 v26, null, 0x76cf5d0a, v16
	s_delay_alu instid0(VALU_DEP_3) | instskip(SKIP_1) | instid1(VALU_DEP_4)
	v_mad_u64_u32 v[6:7], null, 0xcd9e8d57, v13, 0
	v_add_co_u32 v27, null, 0x32370b8f, v16
	v_xor3_b32 v2, v23, v2, v5
	v_add_co_u32 v28, null, 0xdaa66d2b, v10
	v_add_co_u32 v29, null, 0x78dde6e4, v10
	v_xor3_b32 v0, v7, v24, v0
	s_delay_alu instid0(VALU_DEP_4) | instskip(SKIP_1) | instid1(VALU_DEP_3)
	v_mad_u64_u32 v[4:5], null, 0xcd9e8d57, v2, 0
	v_add_co_u32 v30, null, 0xed9eba14, v16
	v_mad_u64_u32 v[13:14], null, 0xd2511f53, v0, 0
	v_add_co_u32 v31, null, 0xa9066899, v16
	s_delay_alu instid0(VALU_DEP_4) | instskip(SKIP_3) | instid1(VALU_DEP_4)
	v_xor3_b32 v2, v25, v5, v6
	v_div_scale_f32 v17, null, s17, s17, 1.0
	v_add_co_u32 v32, null, 0x1715609d, v10
	v_xor3_b32 v7, v14, v26, v1
	v_mad_u64_u32 v[0:1], null, 0xd2511f53, v2, 0
	s_delay_alu instid0(VALU_DEP_4) | instskip(SKIP_1) | instid1(VALU_DEP_3)
	v_rcp_f32_e32 v18, v17
	v_add_co_u32 v33, null, 0xb54cda56, v10
	v_mad_u64_u32 v[5:6], null, 0xcd9e8d57, v7, 0
	v_add_co_u32 v35, null, 0x5384540f, v10
	s_delay_alu instid0(VALU_DEP_4) | instskip(SKIP_3) | instid1(VALU_DEP_4)
	v_xor3_b32 v7, v27, v1, v13
	v_div_scale_f32 v19, vcc_lo, 1.0, s17, 1.0
	v_add_co_u32 v37, null, 0xf1bbcdc8, v10
	v_xor3_b32 v4, v6, v28, v4
	v_mad_u64_u32 v[1:2], null, 0xcd9e8d57, v7, 0
	s_clause 0x2
	s_load_b64 s[18:19], s[0:1], 0x0
	s_load_b64 s[20:21], s[0:1], 0xd8
	s_load_b64 s[22:23], s[0:1], 0x1b0
	s_load_b32 s0, s[2:3], 0x0
	v_mad_u64_u32 v[6:7], null, 0xd2511f53, v4, 0
	s_mov_b32 s15, 0
	s_mov_b32 s25, s17
	v_xor3_b32 v2, v29, v2, v5
	v_and_b32_e32 v39, 3, v3
	v_add_nc_u32_e32 v41, 0x96a522ad, v11
	s_delay_alu instid0(VALU_DEP_4) | instskip(NEXT) | instid1(VALU_DEP_4)
	v_xor3_b32 v0, v7, v30, v0
	v_mad_u64_u32 v[4:5], null, 0xd2511f53, v2, 0
	s_delay_alu instid0(VALU_DEP_2) | instskip(NEXT) | instid1(VALU_DEP_2)
	v_mad_u64_u32 v[13:14], null, 0xcd9e8d57, v0, 0
	v_xor3_b32 v2, v31, v5, v6
	s_waitcnt lgkmcnt(0)
	s_mul_i32 s0, s0, s4
	s_delay_alu instid0(VALU_DEP_2) | instskip(NEXT) | instid1(VALU_DEP_2)
	v_xor3_b32 v7, v14, v32, v1
	v_mad_u64_u32 v[0:1], null, 0xcd9e8d57, v2, 0
	v_fma_f32 v2, -v17, v18, 1.0
	s_lshl_b32 s24, s0, 4
	s_delay_alu instid0(VALU_DEP_3) | instskip(NEXT) | instid1(VALU_DEP_2)
	v_mad_u64_u32 v[5:6], null, 0xd2511f53, v7, 0
	v_fmac_f32_e32 v18, v2, v18
	s_delay_alu instid0(VALU_DEP_4) | instskip(SKIP_3) | instid1(VALU_DEP_4)
	v_xor3_b32 v7, v33, v1, v13
	v_mov_b32_e32 v13, 0
	v_add_co_u32 v34, null, 0x646e171e, v16
	v_add_co_u32 v36, null, 0x1fd5c5a3, v16
	v_mad_u64_u32 v[1:2], null, 0xd2511f53, v7, 0
	s_delay_alu instid0(VALU_DEP_3) | instskip(SKIP_3) | instid1(VALU_DEP_4)
	v_xor3_b32 v4, v6, v34, v4
	v_mul_f32_e32 v20, v19, v18
	v_add_co_u32 v38, null, 0xdb3d7428, v16
	v_add_nc_u32_e32 v40, 0x8ff34781, v10
	v_mad_u64_u32 v[6:7], null, 0xcd9e8d57, v4, 0
	v_xor3_b32 v2, v36, v2, v5
	s_delay_alu instid0(VALU_DEP_1) | instskip(NEXT) | instid1(VALU_DEP_3)
	v_mad_u64_u32 v[4:5], null, 0xcd9e8d57, v2, 0
	v_xor3_b32 v0, v7, v35, v0
	v_fma_f32 v7, -v17, v20, v19
	s_delay_alu instid0(VALU_DEP_2) | instskip(NEXT) | instid1(VALU_DEP_4)
	v_mad_u64_u32 v[14:15], null, 0xd2511f53, v0, 0
	v_xor3_b32 v0, v37, v5, v6
	s_delay_alu instid0(VALU_DEP_1) | instskip(NEXT) | instid1(VALU_DEP_4)
	v_mad_u64_u32 v[5:6], null, 0xd2511f53, v0, 0
	v_fmac_f32_e32 v20, v7, v18
	s_delay_alu instid0(VALU_DEP_4) | instskip(NEXT) | instid1(VALU_DEP_3)
	v_xor3_b32 v7, v15, v38, v1
	v_mov_b32_e32 v3, v5
	s_delay_alu instid0(VALU_DEP_3) | instskip(NEXT) | instid1(VALU_DEP_3)
	v_fma_f32 v15, -v17, v20, v19
	v_mad_u64_u32 v[1:2], null, 0xcd9e8d57, v7, 0
	v_mov_b32_e32 v19, v13
	s_delay_alu instid0(VALU_DEP_3) | instskip(NEXT) | instid1(VALU_DEP_1)
	v_div_fmas_f32 v0, v15, v18, v20
	v_div_fixup_f32 v42, v0, s17, 1.0
	s_delay_alu instid0(VALU_DEP_4)
	v_xor3_b32 v0, v4, v2, v40
	v_xor3_b32 v2, v6, v14, v41
	s_branch .LBB21_6
.LBB21_4:                               ;   in Loop: Header=BB21_6 Depth=1
	s_or_b32 exec_lo, exec_lo, s1
	s_delay_alu instid0(VALU_DEP_1)
	v_mov_b32_e32 v18, v50
.LBB21_5:                               ;   in Loop: Header=BB21_6 Depth=1
	s_or_b32 exec_lo, exec_lo, s0
	v_lshlrev_b64 v[58:59], 1, v[12:13]
	v_cvt_f32_u32_e32 v44, v44
	v_cvt_f32_u32_e32 v3, v3
	;; [unrolled: 1-line block ×5, first 2 shown]
	v_add_co_u32 v54, vcc_lo, s18, v58
	v_add_co_ci_u32_e32 v55, vcc_lo, s19, v59, vcc_lo
	v_cvt_f32_u32_e32 v6, v6
	v_cvt_f32_u32_e32 v17, v17
	v_cvt_f32_u32_e32 v21, v21
	s_clause 0x1
	global_load_b128 v[50:53], v[54:55], off
	global_load_b128 v[54:57], v[54:55], off offset:16
	v_cvt_f32_u32_e32 v14, v14
	v_cvt_f32_u32_e32 v43, v43
	v_dual_fmaak_f32 v44, 0x2f800000, v44, 0x2f800000 :: v_dual_fmaak_f32 v3, 0x2f800000, v3, 0x2f800000
	v_dual_fmaak_f32 v4, 0x2f800000, v4, 0x2f800000 :: v_dual_fmaak_f32 v5, 0x2f800000, v5, 0x2f800000
	;; [unrolled: 1-line block ×3, first 2 shown]
	v_cvt_f32_u32_e32 v20, v46
	v_cvt_f32_u32_e32 v46, v49
	;; [unrolled: 1-line block ×3, first 2 shown]
	v_dual_fmaak_f32 v48, 0x2f800000, v17, 0x2f800000 :: v_dual_fmaak_f32 v43, 0x2f800000, v43, 0x2f800000
	v_dual_fmaak_f32 v21, 0x2f800000, v21, 0x2f800000 :: v_dual_fmaak_f32 v14, 0x2f800000, v14, 0x2f800000
	v_cmp_gt_f32_e64 s0, s17, v5
	v_cmp_gt_f32_e64 s2, s17, v7
	;; [unrolled: 1-line block ×4, first 2 shown]
	v_dual_fmaak_f32 v46, 0x2f800000, v46, 0x2f800000 :: v_dual_fmaak_f32 v49, 0x2f800000, v16, 0x2f800000
	v_add_co_u32 v16, vcc_lo, s20, v58
	v_add_co_ci_u32_e32 v17, vcc_lo, s21, v59, vcc_lo
	v_cvt_f32_u32_e32 v45, v45
	v_cvt_f32_u32_e32 v18, v18
	v_fmaak_f32 v20, 0x2f800000, v20, 0x2f800000
	v_cmp_gt_f32_e32 vcc_lo, s25, v4
	v_cndmask_b32_e64 v5, 0, 1, s0
	v_fmaak_f32 v45, 0x2f800000, v45, 0x2f800000
	v_cmp_gt_f32_e64 s1, s25, v6
	v_cndmask_b32_e64 v7, 0, 1, s2
	v_cmp_gt_f32_e64 s3, s25, v14
	v_cndmask_b32_e64 v44, 0, 1, s4
	;; [unrolled: 2-line block ×3, first 2 shown]
	v_cvt_f32_u32_e32 v47, v47
	v_fmaak_f32 v18, 0x2f800000, v18, 0x2f800000
	v_cndmask_b32_e64 v4, 0, 1, vcc_lo
	v_cndmask_b32_e64 v6, 0, 1, s1
	v_cndmask_b32_e64 v14, 0, 1, s3
	v_fmaak_f32 v47, 0x2f800000, v47, 0x2f800000
	v_cndmask_b32_e64 v43, 0, 1, s5
	v_cmp_gt_f32_e64 s8, s17, v20
	v_cmp_gt_f32_e64 s10, s17, v21
	;; [unrolled: 1-line block ×3, first 2 shown]
	v_lshlrev_b16 v44, 8, v44
	v_lshlrev_b16 v3, 8, v3
	;; [unrolled: 1-line block ×4, first 2 shown]
	v_cmp_gt_f32_e64 s7, s25, v48
	v_cndmask_b32_e64 v20, 0, 1, s8
	v_cmp_gt_f32_e64 s9, s25, v45
	v_cndmask_b32_e64 v21, 0, 1, s10
	;; [unrolled: 2-line block ×3, first 2 shown]
	v_or_b32_e32 v14, v14, v44
	v_or_b32_e32 v3, v43, v3
	;; [unrolled: 1-line block ×4, first 2 shown]
	v_cndmask_b32_e64 v48, 0, 1, s7
	v_cndmask_b32_e64 v45, 0, 1, s9
	v_cmp_gt_f32_e64 s13, s25, v47
	v_cndmask_b32_e64 v58, 0, 1.0, vcc_lo
	v_cndmask_b32_e64 v60, 0, 1.0, s1
	v_cndmask_b32_e64 v65, 0, 1.0, s6
	v_cndmask_b32_e64 v66, 0, 1.0, s7
	v_cndmask_b32_e64 v70, 0, 1, s11
	v_lshlrev_b16 v20, 8, v20
	v_lshlrev_b16 v21, 8, v21
	;; [unrolled: 1-line block ×3, first 2 shown]
	v_and_b32_e32 v14, 0xffff, v14
	v_lshlrev_b32_e32 v3, 16, v3
	v_and_b32_e32 v43, 0xffff, v4
	v_lshlrev_b32_e32 v44, 16, v5
	v_cndmask_b32_e64 v47, 0, 1.0, s13
	v_cndmask_b32_e64 v61, 0, 1.0, s2
	;; [unrolled: 1-line block ×4, first 2 shown]
	v_or_b32_e32 v20, v48, v20
	v_or_b32_e32 v21, v45, v21
	;; [unrolled: 1-line block ×5, first 2 shown]
	v_cndmask_b32_e64 v59, 0, 1.0, s0
	v_lshlrev_b32_e32 v21, 16, v21
	v_cndmask_b32_e64 v46, 0, 1.0, s12
	v_cmp_gt_f32_e64 s14, s17, v49
	v_cndmask_b32_e64 v64, 0, 1.0, s5
	v_cndmask_b32_e64 v18, 0, 1.0, s11
	;; [unrolled: 1-line block ×5, first 2 shown]
	v_cndmask_b32_e64 v73, 0, 1, s14
	v_cndmask_b32_e64 v72, 0, 1, s13
	v_cndmask_b32_e64 v62, 0, 1.0, s3
	s_delay_alu instid0(VALU_DEP_3) | instskip(NEXT) | instid1(VALU_DEP_1)
	v_lshlrev_b16 v73, 8, v73
	v_or_b32_e32 v7, v72, v73
	s_waitcnt vmcnt(1)
	v_and_b32_e32 v45, 0xffff0000, v52
	s_waitcnt vmcnt(0)
	v_lshlrev_b32_e32 v70, 16, v57
	v_lshlrev_b32_e32 v44, 16, v52
	v_and_b32_e32 v52, 0xffff0000, v54
	v_and_b32_e32 v43, 0xffff0000, v51
	v_lshlrev_b32_e32 v14, 16, v50
	v_and_b32_e32 v57, 0xffff0000, v57
	v_mul_f32_e32 v47, v47, v70
	v_mul_f32_e32 v52, v67, v52
	v_dual_mul_f32 v43, v61, v43 :: v_dual_and_b32 v20, 0xffff, v20
	v_lshlrev_b32_e32 v48, 16, v53
	v_dual_mul_f32 v44, v62, v44 :: v_dual_lshlrev_b32 v7, 16, v7
	s_delay_alu instid0(VALU_DEP_3) | instskip(NEXT) | instid1(VALU_DEP_4)
	v_or_b32_e32 v5, v20, v21
	v_mul_f32_e32 v43, v42, v43
	s_delay_alu instid0(VALU_DEP_4) | instskip(SKIP_2) | instid1(VALU_DEP_3)
	v_dual_mul_f32 v48, v64, v48 :: v_dual_lshlrev_b32 v21, 16, v51
	v_lshlrev_b32_e32 v51, 16, v54
	v_and_b32_e32 v20, 0xffff0000, v50
	v_dual_mul_f32 v21, v60, v21 :: v_dual_and_b32 v54, 0xffff0000, v55
	v_mul_f32_e32 v47, v42, v47
	s_delay_alu instid0(VALU_DEP_4) | instskip(SKIP_1) | instid1(VALU_DEP_4)
	v_dual_mul_f32 v51, v66, v51 :: v_dual_and_b32 v50, 0xffff0000, v53
	v_lshlrev_b32_e32 v53, 16, v55
	v_dual_mul_f32 v21, v42, v21 :: v_dual_mul_f32 v54, v69, v54
	s_delay_alu instid0(VALU_DEP_3) | instskip(SKIP_1) | instid1(VALU_DEP_4)
	v_dual_mul_f32 v51, v42, v51 :: v_dual_mul_f32 v50, v65, v50
	v_lshlrev_b32_e32 v55, 16, v56
	v_dual_mul_f32 v53, v68, v53 :: v_dual_mul_f32 v14, v58, v14
	v_and_b32_e32 v56, 0xffff0000, v56
	s_delay_alu instid0(VALU_DEP_4) | instskip(NEXT) | instid1(VALU_DEP_4)
	v_mul_f32_e32 v50, v42, v50
	v_mul_f32_e32 v18, v18, v55
	s_delay_alu instid0(VALU_DEP_4)
	v_mul_f32_e32 v53, v42, v53
	v_mul_f32_e32 v49, v49, v57
	v_bfe_u32 v57, v43, 16, 1
	v_mul_f32_e32 v20, v59, v20
	v_mul_f32_e32 v14, v42, v14
	;; [unrolled: 1-line block ×3, first 2 shown]
	v_dual_mul_f32 v45, v63, v45 :: v_dual_and_b32 v6, 0xffff, v6
	v_add3_u32 v57, v43, v57, 0x7fff
	s_delay_alu instid0(VALU_DEP_4)
	v_bfe_u32 v56, v14, 16, 1
	v_bfe_u32 v58, v21, 16, 1
	;; [unrolled: 1-line block ×3, first 2 shown]
	v_mul_f32_e32 v45, v42, v45
	v_lshrrev_b32_e32 v57, 16, v57
	v_mul_f32_e32 v20, v42, v20
	v_add3_u32 v56, v14, v56, 0x7fff
	v_add3_u32 v58, v21, v58, 0x7fff
	v_bfe_u32 v59, v45, 16, 1
	v_bfe_u32 v61, v50, 16, 1
	;; [unrolled: 1-line block ×3, first 2 shown]
	v_cmp_o_f32_e32 vcc_lo, v20, v20
	v_lshrrev_b32_e32 v56, 16, v56
	v_lshrrev_b32_e32 v58, 16, v58
	v_add3_u32 v59, v45, v59, 0x7fff
	v_add3_u32 v55, v20, v55, 0x7fff
	;; [unrolled: 1-line block ×4, first 2 shown]
	v_bfe_u32 v64, v51, 16, 1
	v_lshrrev_b32_e32 v59, 16, v59
	v_lshrrev_b32_e32 v55, 16, v55
	v_mul_f32_e32 v49, v42, v49
	v_lshrrev_b32_e32 v66, 16, v66
	v_mul_f32_e32 v52, v42, v52
	v_lshrrev_b32_e32 v61, 16, v61
	v_cndmask_b32_e32 v20, 0x7fc0, v55, vcc_lo
	v_cmp_o_f32_e32 vcc_lo, v14, v14
	v_add3_u32 v64, v51, v64, 0x7fff
	v_bfe_u32 v63, v52, 16, 1
	v_bfe_u32 v69, v49, 16, 1
	v_bfe_u32 v70, v47, 16, 1
	v_cndmask_b32_e32 v14, 0x7fc0, v56, vcc_lo
	v_cmp_o_f32_e32 vcc_lo, v43, v43
	v_add3_u32 v63, v52, v63, 0x7fff
	v_lshrrev_b32_e32 v64, 16, v64
	v_add3_u32 v69, v49, v69, 0x7fff
	v_add3_u32 v70, v47, v70, 0x7fff
	v_cndmask_b32_e32 v43, 0x7fc0, v57, vcc_lo
	v_cmp_o_f32_e32 vcc_lo, v21, v21
	v_mul_f32_e32 v44, v42, v44
	v_lshrrev_b32_e32 v63, 16, v63
	v_lshrrev_b32_e32 v69, 16, v69
	v_mul_f32_e32 v46, v42, v46
	v_cndmask_b32_e32 v21, 0x7fc0, v58, vcc_lo
	v_bfe_u32 v60, v44, 16, 1
	v_cmp_o_f32_e32 vcc_lo, v45, v45
	v_mul_f32_e32 v48, v42, v48
	v_bfe_u32 v67, v46, 16, 1
	v_lshrrev_b32_e32 v70, 16, v70
	v_add3_u32 v60, v44, v60, 0x7fff
	v_cndmask_b32_e32 v45, 0x7fc0, v59, vcc_lo
	v_bfe_u32 v62, v48, 16, 1
	v_cmp_o_f32_e32 vcc_lo, v44, v44
	v_add3_u32 v67, v46, v67, 0x7fff
	v_lshrrev_b32_e32 v60, 16, v60
	v_or_b32_e32 v6, v6, v7
	v_add3_u32 v62, v48, v62, 0x7fff
	s_delay_alu instid0(VALU_DEP_4) | instskip(NEXT) | instid1(VALU_DEP_4)
	v_lshrrev_b32_e32 v67, 16, v67
	v_cndmask_b32_e32 v44, 0x7fc0, v60, vcc_lo
	v_cmp_o_f32_e32 vcc_lo, v50, v50
	s_delay_alu instid0(VALU_DEP_4) | instskip(NEXT) | instid1(VALU_DEP_3)
	v_lshrrev_b32_e32 v62, 16, v62
	v_perm_b32 v45, v45, v44, 0x5040100
	v_cndmask_b32_e32 v50, 0x7fc0, v61, vcc_lo
	v_cmp_o_f32_e32 vcc_lo, v48, v48
	v_perm_b32 v44, v43, v21, 0x5040100
	v_perm_b32 v43, v20, v14, 0x5040100
	v_cndmask_b32_e32 v48, 0x7fc0, v62, vcc_lo
	v_cmp_o_f32_e32 vcc_lo, v52, v52
	v_cndmask_b32_e32 v52, 0x7fc0, v63, vcc_lo
	v_cmp_o_f32_e32 vcc_lo, v51, v51
	v_dual_mul_f32 v54, v42, v54 :: v_dual_cndmask_b32 v51, 0x7fc0, v64
	s_delay_alu instid0(VALU_DEP_1) | instskip(SKIP_1) | instid1(VALU_DEP_2)
	v_bfe_u32 v65, v54, 16, 1
	v_cmp_o_f32_e32 vcc_lo, v54, v54
	v_add3_u32 v65, v54, v65, 0x7fff
	s_delay_alu instid0(VALU_DEP_1) | instskip(NEXT) | instid1(VALU_DEP_1)
	v_lshrrev_b32_e32 v65, 16, v65
	v_cndmask_b32_e32 v54, 0x7fc0, v65, vcc_lo
	v_cmp_o_f32_e32 vcc_lo, v53, v53
	v_cndmask_b32_e32 v53, 0x7fc0, v66, vcc_lo
	v_cmp_o_f32_e32 vcc_lo, v46, v46
	v_mul_f32_e32 v18, v42, v18
	v_perm_b32 v46, v50, v48, 0x5040100
	s_delay_alu instid0(VALU_DEP_4) | instskip(SKIP_1) | instid1(VALU_DEP_4)
	v_perm_b32 v48, v54, v53, 0x5040100
	v_cndmask_b32_e32 v55, 0x7fc0, v67, vcc_lo
	v_bfe_u32 v68, v18, 16, 1
	v_cmp_o_f32_e32 vcc_lo, v18, v18
	s_delay_alu instid0(VALU_DEP_2) | instskip(NEXT) | instid1(VALU_DEP_1)
	v_add3_u32 v68, v18, v68, 0x7fff
	v_lshrrev_b32_e32 v68, 16, v68
	s_delay_alu instid0(VALU_DEP_1) | instskip(SKIP_4) | instid1(VALU_DEP_1)
	v_cndmask_b32_e32 v18, 0x7fc0, v68, vcc_lo
	v_cmp_o_f32_e32 vcc_lo, v49, v49
	v_cndmask_b32_e32 v49, 0x7fc0, v69, vcc_lo
	v_cmp_o_f32_e32 vcc_lo, v47, v47
	v_cndmask_b32_e32 v47, 0x7fc0, v70, vcc_lo
	v_perm_b32 v50, v49, v47, 0x5040100
	v_perm_b32 v49, v55, v18, 0x5040100
	;; [unrolled: 1-line block ×3, first 2 shown]
	s_clause 0x1
	global_store_b128 v[16:17], v[43:46], off
	global_store_b128 v[16:17], v[47:50], off offset:16
	global_store_b128 v12, v[3:6], s[22:23]
	v_dual_mov_b32 v3, v15 :: v_dual_add_nc_u32 v12, s24, v12
	s_waitcnt_vscnt null, 0x0
	s_barrier
	buffer_gl0_inv
	v_cmp_le_u32_e32 vcc_lo, s16, v12
	s_or_b32 s15, vcc_lo, s15
	s_delay_alu instid0(SALU_CYCLE_1)
	s_and_not1_b32 exec_lo, exec_lo, s15
	s_cbranch_execz .LBB21_45
.LBB21_6:                               ; =>This Inner Loop Header: Depth=1
	v_add_co_u32 v6, vcc_lo, v22, 1
	s_delay_alu instid0(VALU_DEP_1) | instskip(SKIP_2) | instid1(VALU_DEP_1)
	v_cndmask_b32_e64 v4, 0, 1, vcc_lo
	v_add_co_ci_u32_e32 v17, vcc_lo, 0, v9, vcc_lo
	s_mov_b32 s0, exec_lo
	v_cmp_eq_u32_e32 vcc_lo, 0, v17
	s_delay_alu instid0(VALU_DEP_3) | instskip(SKIP_1) | instid1(VALU_DEP_2)
	v_cndmask_b32_e32 v7, 0, v4, vcc_lo
	v_mad_u64_u32 v[4:5], null, 0xd2511f53, v6, 0
	v_add_nc_u32_e32 v20, v7, v8
	s_delay_alu instid0(VALU_DEP_2) | instskip(NEXT) | instid1(VALU_DEP_2)
	v_xor_b32_e32 v8, v5, v11
	v_cmp_eq_u32_e32 vcc_lo, 0, v20
	v_cndmask_b32_e32 v7, 0, v7, vcc_lo
	v_mad_u64_u32 v[5:6], null, 0xcd9e8d57, v20, 0
	s_delay_alu instid0(VALU_DEP_2) | instskip(NEXT) | instid1(VALU_DEP_2)
	v_add_nc_u32_e32 v18, v7, v19
	v_xor3_b32 v14, v6, v10, v17
	s_delay_alu instid0(VALU_DEP_2) | instskip(NEXT) | instid1(VALU_DEP_1)
	v_xor_b32_e32 v8, v18, v8
	v_mad_u64_u32 v[6:7], null, 0xcd9e8d57, v8, 0
	s_delay_alu instid0(VALU_DEP_3) | instskip(NEXT) | instid1(VALU_DEP_2)
	v_mad_u64_u32 v[8:9], null, 0xd2511f53, v14, 0
	v_xor3_b32 v7, v24, v7, v5
	s_delay_alu instid0(VALU_DEP_2) | instskip(NEXT) | instid1(VALU_DEP_2)
	v_xor3_b32 v9, v23, v9, v4
	v_mad_u64_u32 v[4:5], null, 0xd2511f53, v7, 0
	s_delay_alu instid0(VALU_DEP_2) | instskip(NEXT) | instid1(VALU_DEP_2)
	v_mad_u64_u32 v[14:15], null, 0xcd9e8d57, v9, 0
	v_xor3_b32 v7, v26, v5, v8
	s_delay_alu instid0(VALU_DEP_2) | instskip(NEXT) | instid1(VALU_DEP_2)
	v_xor3_b32 v9, v25, v15, v6
	v_mad_u64_u32 v[5:6], null, 0xcd9e8d57, v7, 0
	s_delay_alu instid0(VALU_DEP_2) | instskip(NEXT) | instid1(VALU_DEP_2)
	;; [unrolled: 6-line block ×8, first 2 shown]
	v_mad_u64_u32 v[14:15], null, 0xd2511f53, v4, 0
	v_xor3_b32 v16, v9, v43, v40
	s_delay_alu instid0(VALU_DEP_2)
	v_xor3_b32 v9, v15, v5, v41
                                        ; implicit-def: $vgpr4_vgpr5_vgpr6_vgpr7
	v_cmpx_lt_i32_e32 1, v39
	s_xor_b32 s0, exec_lo, s0
	s_cbranch_execz .LBB21_12
; %bb.7:                                ;   in Loop: Header=BB21_6 Depth=1
	s_mov_b32 s1, exec_lo
                                        ; implicit-def: $vgpr4_vgpr5_vgpr6_vgpr7
	v_cmpx_lt_i32_e32 2, v39
	s_xor_b32 s1, exec_lo, s1
; %bb.8:                                ;   in Loop: Header=BB21_6 Depth=1
	v_dual_mov_b32 v6, v3 :: v_dual_mov_b32 v7, v16
                                        ; implicit-def: $vgpr0_vgpr1_vgpr2_vgpr3
	s_delay_alu instid0(VALU_DEP_1) | instskip(NEXT) | instid1(VALU_DEP_2)
	v_mov_b32_e32 v4, v6
	v_dual_mov_b32 v5, v7 :: v_dual_mov_b32 v6, v8
	v_mov_b32_e32 v7, v9
; %bb.9:                                ;   in Loop: Header=BB21_6 Depth=1
	s_and_not1_saveexec_b32 s1, s1
; %bb.10:                               ;   in Loop: Header=BB21_6 Depth=1
	v_dual_mov_b32 v4, v2 :: v_dual_mov_b32 v5, v3
	v_mov_b32_e32 v6, v16
	v_mov_b32_e32 v7, v8
; %bb.11:                               ;   in Loop: Header=BB21_6 Depth=1
	s_or_b32 exec_lo, exec_lo, s1
                                        ; implicit-def: $vgpr0_vgpr1_vgpr2_vgpr3
.LBB21_12:                              ;   in Loop: Header=BB21_6 Depth=1
	s_and_not1_saveexec_b32 s0, s0
	s_cbranch_execz .LBB21_16
; %bb.13:                               ;   in Loop: Header=BB21_6 Depth=1
	s_mov_b32 s1, exec_lo
	v_cmpx_eq_u32_e32 1, v39
; %bb.14:                               ;   in Loop: Header=BB21_6 Depth=1
	v_dual_mov_b32 v0, v1 :: v_dual_mov_b32 v1, v2
	v_dual_mov_b32 v2, v3 :: v_dual_mov_b32 v3, v16
; %bb.15:                               ;   in Loop: Header=BB21_6 Depth=1
	s_or_b32 exec_lo, exec_lo, s1
	s_delay_alu instid0(VALU_DEP_1) | instskip(NEXT) | instid1(VALU_DEP_3)
	v_dual_mov_b32 v7, v3 :: v_dual_mov_b32 v6, v2
	v_dual_mov_b32 v5, v1 :: v_dual_mov_b32 v4, v0
.LBB21_16:                              ;   in Loop: Header=BB21_6 Depth=1
	s_or_b32 exec_lo, exec_lo, s0
	v_add_nc_u32_e32 v2, 2, v22
	s_mov_b32 s0, exec_lo
	s_delay_alu instid0(VALU_DEP_1) | instskip(SKIP_2) | instid1(VALU_DEP_1)
	v_cmp_eq_u32_e32 vcc_lo, 0, v2
	v_cndmask_b32_e64 v0, 0, 1, vcc_lo
	v_add_co_ci_u32_e32 v15, vcc_lo, 0, v17, vcc_lo
	v_cmp_eq_u32_e32 vcc_lo, 0, v15
	s_delay_alu instid0(VALU_DEP_3) | instskip(SKIP_1) | instid1(VALU_DEP_2)
	v_cndmask_b32_e32 v3, 0, v0, vcc_lo
	v_mad_u64_u32 v[0:1], null, 0xd2511f53, v2, 0
	v_add_nc_u32_e32 v19, v3, v20
	s_delay_alu instid0(VALU_DEP_2) | instskip(NEXT) | instid1(VALU_DEP_2)
	v_xor_b32_e32 v1, v1, v11
	v_cmp_eq_u32_e32 vcc_lo, 0, v19
	v_cndmask_b32_e32 v17, 0, v3, vcc_lo
	v_mad_u64_u32 v[2:3], null, 0xcd9e8d57, v19, 0
	s_delay_alu instid0(VALU_DEP_2) | instskip(NEXT) | instid1(VALU_DEP_2)
	v_add_nc_u32_e32 v20, v17, v18
	v_xor3_b32 v3, v3, v10, v15
	s_delay_alu instid0(VALU_DEP_2) | instskip(NEXT) | instid1(VALU_DEP_2)
	v_xor_b32_e32 v1, v20, v1
	v_mad_u64_u32 v[17:18], null, 0xd2511f53, v3, 0
	s_delay_alu instid0(VALU_DEP_2) | instskip(NEXT) | instid1(VALU_DEP_2)
	v_mad_u64_u32 v[43:44], null, 0xcd9e8d57, v1, 0
	v_xor3_b32 v3, v23, v18, v0
	s_delay_alu instid0(VALU_DEP_2) | instskip(NEXT) | instid1(VALU_DEP_2)
	v_xor3_b32 v18, v24, v44, v2
	v_mad_u64_u32 v[0:1], null, 0xcd9e8d57, v3, 0
	s_delay_alu instid0(VALU_DEP_2) | instskip(NEXT) | instid1(VALU_DEP_2)
	v_mad_u64_u32 v[2:3], null, 0xd2511f53, v18, 0
	v_xor3_b32 v1, v25, v1, v43
	s_delay_alu instid0(VALU_DEP_2) | instskip(NEXT) | instid1(VALU_DEP_2)
	v_xor3_b32 v3, v26, v3, v17
	;; [unrolled: 6-line block ×7, first 2 shown]
	v_mad_u64_u32 v[44:45], null, 0xcd9e8d57, v1, 0
	s_delay_alu instid0(VALU_DEP_2) | instskip(NEXT) | instid1(VALU_DEP_2)
	v_mad_u64_u32 v[2:3], null, 0xd2511f53, v0, 0
	v_xor3_b32 v0, v37, v45, v43
                                        ; implicit-def: $vgpr43
	s_delay_alu instid0(VALU_DEP_2) | instskip(NEXT) | instid1(VALU_DEP_2)
	v_xor3_b32 v3, v38, v3, v17
	v_mad_u64_u32 v[17:18], null, 0xd2511f53, v0, 0
	s_delay_alu instid0(VALU_DEP_2) | instskip(NEXT) | instid1(VALU_DEP_2)
	v_mad_u64_u32 v[0:1], null, 0xcd9e8d57, v3, 0
                                        ; implicit-def: $vgpr3
	v_xor3_b32 v2, v18, v2, v41
	s_delay_alu instid0(VALU_DEP_2)
	v_xor3_b32 v1, v1, v44, v40
                                        ; implicit-def: $vgpr44
	v_cmpx_lt_i32_e32 1, v39
	s_xor_b32 s0, exec_lo, s0
	s_cbranch_execz .LBB21_22
; %bb.17:                               ;   in Loop: Header=BB21_6 Depth=1
	s_mov_b32 s1, exec_lo
	v_cmpx_lt_i32_e32 2, v39
	s_xor_b32 s1, exec_lo, s1
; %bb.18:                               ;   in Loop: Header=BB21_6 Depth=1
                                        ; implicit-def: $vgpr9
; %bb.19:                               ;   in Loop: Header=BB21_6 Depth=1
	s_delay_alu instid0(SALU_CYCLE_1)
	s_or_saveexec_b32 s1, s1
	v_dual_mov_b32 v3, v2 :: v_dual_mov_b32 v44, v1
	v_mov_b32_e32 v43, v0
	s_xor_b32 exec_lo, exec_lo, s1
; %bb.20:                               ;   in Loop: Header=BB21_6 Depth=1
	v_dual_mov_b32 v3, v0 :: v_dual_mov_b32 v44, v14
	v_mov_b32_e32 v43, v1
	v_mov_b32_e32 v14, v9
; %bb.21:                               ;   in Loop: Header=BB21_6 Depth=1
	s_or_b32 exec_lo, exec_lo, s1
                                        ; implicit-def: $vgpr9
                                        ; implicit-def: $vgpr16
.LBB21_22:                              ;   in Loop: Header=BB21_6 Depth=1
	s_and_not1_saveexec_b32 s0, s0
	s_cbranch_execz .LBB21_26
; %bb.23:                               ;   in Loop: Header=BB21_6 Depth=1
	s_delay_alu instid0(VALU_DEP_1)
	v_dual_mov_b32 v3, v14 :: v_dual_mov_b32 v44, v8
	v_mov_b32_e32 v43, v9
	s_mov_b32 s1, exec_lo
	v_cmpx_eq_u32_e32 1, v39
; %bb.24:                               ;   in Loop: Header=BB21_6 Depth=1
	v_dual_mov_b32 v3, v1 :: v_dual_mov_b32 v16, v8
	v_dual_mov_b32 v43, v14 :: v_dual_mov_b32 v44, v9
; %bb.25:                               ;   in Loop: Header=BB21_6 Depth=1
	s_or_b32 exec_lo, exec_lo, s1
	s_delay_alu instid0(VALU_DEP_2)
	v_mov_b32_e32 v14, v16
.LBB21_26:                              ;   in Loop: Header=BB21_6 Depth=1
	s_or_b32 exec_lo, exec_lo, s0
	v_add_nc_u32_e32 v9, 3, v22
	s_mov_b32 s0, exec_lo
	s_delay_alu instid0(VALU_DEP_1) | instskip(SKIP_2) | instid1(VALU_DEP_1)
	v_cmp_eq_u32_e32 vcc_lo, 0, v9
	v_cndmask_b32_e64 v16, 0, 1, vcc_lo
	v_add_co_ci_u32_e32 v8, vcc_lo, 0, v15, vcc_lo
	v_cmp_eq_u32_e32 vcc_lo, 0, v8
	s_delay_alu instid0(VALU_DEP_3) | instskip(NEXT) | instid1(VALU_DEP_1)
	v_cndmask_b32_e32 v16, 0, v16, vcc_lo
	v_add_nc_u32_e32 v15, v16, v19
	v_mad_u64_u32 v[18:19], null, 0xd2511f53, v9, 0
	s_delay_alu instid0(VALU_DEP_2) | instskip(SKIP_1) | instid1(VALU_DEP_3)
	v_cmp_eq_u32_e32 vcc_lo, 0, v15
	v_mad_u64_u32 v[45:46], null, 0xcd9e8d57, v15, 0
	v_xor_b32_e32 v19, v19, v11
	v_cndmask_b32_e32 v9, 0, v16, vcc_lo
	s_delay_alu instid0(VALU_DEP_1) | instskip(NEXT) | instid1(VALU_DEP_4)
	v_add_nc_u32_e32 v16, v9, v20
	v_xor3_b32 v9, v46, v10, v8
	s_delay_alu instid0(VALU_DEP_2) | instskip(NEXT) | instid1(VALU_DEP_2)
	v_xor_b32_e32 v21, v16, v19
	v_mad_u64_u32 v[19:20], null, 0xd2511f53, v9, 0
	s_delay_alu instid0(VALU_DEP_2) | instskip(NEXT) | instid1(VALU_DEP_2)
	v_mad_u64_u32 v[46:47], null, 0xcd9e8d57, v21, 0
	v_xor3_b32 v9, v23, v20, v18
	s_delay_alu instid0(VALU_DEP_2) | instskip(NEXT) | instid1(VALU_DEP_2)
	v_xor3_b32 v18, v24, v47, v45
	v_mad_u64_u32 v[20:21], null, 0xcd9e8d57, v9, 0
	s_delay_alu instid0(VALU_DEP_2) | instskip(NEXT) | instid1(VALU_DEP_2)
	v_mad_u64_u32 v[47:48], null, 0xd2511f53, v18, 0
	v_xor3_b32 v9, v25, v21, v46
	s_delay_alu instid0(VALU_DEP_2) | instskip(NEXT) | instid1(VALU_DEP_2)
	v_xor3_b32 v21, v26, v48, v19
	;; [unrolled: 6-line block ×7, first 2 shown]
	v_mad_u64_u32 v[47:48], null, 0xcd9e8d57, v9, 0
	s_delay_alu instid0(VALU_DEP_2) | instskip(NEXT) | instid1(VALU_DEP_2)
	v_mad_u64_u32 v[49:50], null, 0xd2511f53, v18, 0
	v_xor3_b32 v9, v37, v48, v46
                                        ; implicit-def: $vgpr46
	s_delay_alu instid0(VALU_DEP_2) | instskip(NEXT) | instid1(VALU_DEP_2)
	v_xor3_b32 v45, v38, v50, v19
	v_mad_u64_u32 v[18:19], null, 0xd2511f53, v9, 0
	s_delay_alu instid0(VALU_DEP_2) | instskip(NEXT) | instid1(VALU_DEP_2)
	v_mad_u64_u32 v[20:21], null, 0xcd9e8d57, v45, 0
                                        ; implicit-def: $vgpr45
	v_xor3_b32 v48, v19, v49, v41
	s_delay_alu instid0(VALU_DEP_2)
	v_xor3_b32 v50, v21, v47, v40
                                        ; implicit-def: $vgpr21
	v_cmpx_lt_i32_e32 1, v39
	s_xor_b32 s0, exec_lo, s0
	s_cbranch_execz .LBB21_32
; %bb.27:                               ;   in Loop: Header=BB21_6 Depth=1
	s_mov_b32 s1, exec_lo
	v_cmpx_lt_i32_e32 2, v39
	s_xor_b32 s1, exec_lo, s1
; %bb.28:                               ;   in Loop: Header=BB21_6 Depth=1
                                        ; implicit-def: $vgpr2
; %bb.29:                               ;   in Loop: Header=BB21_6 Depth=1
	s_delay_alu instid0(SALU_CYCLE_1)
	s_or_saveexec_b32 s1, s1
	v_dual_mov_b32 v21, v48 :: v_dual_mov_b32 v46, v50
	v_mov_b32_e32 v45, v20
	s_xor_b32 exec_lo, exec_lo, s1
; %bb.30:                               ;   in Loop: Header=BB21_6 Depth=1
	v_dual_mov_b32 v21, v20 :: v_dual_mov_b32 v46, v17
	v_mov_b32_e32 v45, v50
	v_mov_b32_e32 v17, v2
; %bb.31:                               ;   in Loop: Header=BB21_6 Depth=1
	s_or_b32 exec_lo, exec_lo, s1
                                        ; implicit-def: $vgpr2
                                        ; implicit-def: $vgpr0
                                        ; implicit-def: $vgpr1
.LBB21_32:                              ;   in Loop: Header=BB21_6 Depth=1
	s_and_not1_saveexec_b32 s0, s0
	s_cbranch_execz .LBB21_36
; %bb.33:                               ;   in Loop: Header=BB21_6 Depth=1
	s_delay_alu instid0(VALU_DEP_1)
	v_dual_mov_b32 v21, v17 :: v_dual_mov_b32 v46, v0
	v_mov_b32_e32 v45, v2
	s_mov_b32 s1, exec_lo
	v_cmpx_eq_u32_e32 1, v39
; %bb.34:                               ;   in Loop: Header=BB21_6 Depth=1
	v_mov_b32_e32 v21, v50
	v_dual_mov_b32 v45, v17 :: v_dual_mov_b32 v46, v2
	v_mov_b32_e32 v1, v0
; %bb.35:                               ;   in Loop: Header=BB21_6 Depth=1
	s_or_b32 exec_lo, exec_lo, s1
	s_delay_alu instid0(VALU_DEP_1)
	v_mov_b32_e32 v17, v1
.LBB21_36:                              ;   in Loop: Header=BB21_6 Depth=1
	s_or_b32 exec_lo, exec_lo, s0
	v_add_nc_u32_e32 v22, 4, v22
	s_mov_b32 s0, exec_lo
                                        ; implicit-def: $vgpr49
	s_delay_alu instid0(VALU_DEP_1) | instskip(SKIP_2) | instid1(VALU_DEP_1)
	v_cmp_eq_u32_e32 vcc_lo, 0, v22
	v_cndmask_b32_e64 v0, 0, 1, vcc_lo
	v_add_co_ci_u32_e32 v9, vcc_lo, 0, v8, vcc_lo
	v_cmp_eq_u32_e32 vcc_lo, 0, v9
	s_delay_alu instid0(VALU_DEP_3) | instskip(NEXT) | instid1(VALU_DEP_1)
	v_cndmask_b32_e32 v0, 0, v0, vcc_lo
	v_add_nc_u32_e32 v8, v0, v15
	s_delay_alu instid0(VALU_DEP_1) | instskip(SKIP_1) | instid1(VALU_DEP_1)
	v_cmp_eq_u32_e32 vcc_lo, 0, v8
	v_cndmask_b32_e32 v0, 0, v0, vcc_lo
	v_add_nc_u32_e32 v19, v0, v16
	v_mad_u64_u32 v[0:1], null, 0xd2511f53, v22, 0
	v_mad_u64_u32 v[15:16], null, 0xcd9e8d57, v8, 0
	s_delay_alu instid0(VALU_DEP_2) | instskip(NEXT) | instid1(VALU_DEP_2)
	v_xor_b32_e32 v1, v1, v11
	v_xor3_b32 v16, v16, v10, v9
	s_delay_alu instid0(VALU_DEP_2) | instskip(NEXT) | instid1(VALU_DEP_2)
	v_xor_b32_e32 v47, v19, v1
	v_mad_u64_u32 v[51:52], null, 0xd2511f53, v16, 0
	s_delay_alu instid0(VALU_DEP_2) | instskip(NEXT) | instid1(VALU_DEP_2)
	v_mad_u64_u32 v[1:2], null, 0xcd9e8d57, v47, 0
	v_xor3_b32 v0, v23, v52, v0
	s_delay_alu instid0(VALU_DEP_2) | instskip(NEXT) | instid1(VALU_DEP_2)
	v_xor3_b32 v2, v24, v2, v15
	v_mad_u64_u32 v[52:53], null, 0xcd9e8d57, v0, 0
	s_delay_alu instid0(VALU_DEP_2) | instskip(NEXT) | instid1(VALU_DEP_1)
	v_mad_u64_u32 v[15:16], null, 0xd2511f53, v2, 0
	v_xor3_b32 v2, v26, v16, v51
	s_delay_alu instid0(VALU_DEP_3) | instskip(NEXT) | instid1(VALU_DEP_2)
	v_xor3_b32 v16, v25, v53, v1
	v_mad_u64_u32 v[0:1], null, 0xcd9e8d57, v2, 0
	s_delay_alu instid0(VALU_DEP_2) | instskip(NEXT) | instid1(VALU_DEP_2)
	v_mad_u64_u32 v[53:54], null, 0xd2511f53, v16, 0
	v_xor3_b32 v16, v28, v1, v52
	s_delay_alu instid0(VALU_DEP_2) | instskip(NEXT) | instid1(VALU_DEP_2)
	v_xor3_b32 v47, v27, v54, v15
	v_mad_u64_u32 v[1:2], null, 0xd2511f53, v16, 0
	s_delay_alu instid0(VALU_DEP_2) | instskip(NEXT) | instid1(VALU_DEP_2)
	v_mad_u64_u32 v[15:16], null, 0xcd9e8d57, v47, 0
	v_xor3_b32 v2, v30, v2, v53
	s_delay_alu instid0(VALU_DEP_2) | instskip(NEXT) | instid1(VALU_DEP_2)
	;; [unrolled: 6-line block ×6, first 2 shown]
	v_xor3_b32 v47, v37, v55, v1
	v_mad_u64_u32 v[1:2], null, 0xcd9e8d57, v0, 0
	s_delay_alu instid0(VALU_DEP_2) | instskip(NEXT) | instid1(VALU_DEP_2)
	v_mad_u64_u32 v[15:16], null, 0xd2511f53, v47, 0
                                        ; implicit-def: $vgpr47
	v_xor3_b32 v0, v2, v54, v40
	s_delay_alu instid0(VALU_DEP_2)
	v_xor3_b32 v2, v16, v52, v41
                                        ; implicit-def: $vgpr16
	v_cmpx_lt_i32_e32 1, v39
	s_xor_b32 s0, exec_lo, s0
	s_cbranch_execz .LBB21_42
; %bb.37:                               ;   in Loop: Header=BB21_6 Depth=1
	s_mov_b32 s1, exec_lo
	v_cmpx_lt_i32_e32 2, v39
	s_xor_b32 s1, exec_lo, s1
; %bb.38:                               ;   in Loop: Header=BB21_6 Depth=1
                                        ; implicit-def: $vgpr48
; %bb.39:                               ;   in Loop: Header=BB21_6 Depth=1
	s_delay_alu instid0(SALU_CYCLE_1)
	s_or_saveexec_b32 s1, s1
	v_dual_mov_b32 v16, v2 :: v_dual_mov_b32 v47, v1
	v_mov_b32_e32 v49, v0
	s_xor_b32 exec_lo, exec_lo, s1
; %bb.40:                               ;   in Loop: Header=BB21_6 Depth=1
	v_dual_mov_b32 v16, v1 :: v_dual_mov_b32 v47, v0
	v_dual_mov_b32 v49, v18 :: v_dual_mov_b32 v18, v48
; %bb.41:                               ;   in Loop: Header=BB21_6 Depth=1
	s_or_b32 exec_lo, exec_lo, s1
                                        ; implicit-def: $vgpr48
                                        ; implicit-def: $vgpr20
                                        ; implicit-def: $vgpr50
.LBB21_42:                              ;   in Loop: Header=BB21_6 Depth=1
	s_and_not1_saveexec_b32 s0, s0
	s_cbranch_execz .LBB21_5
; %bb.43:                               ;   in Loop: Header=BB21_6 Depth=1
	s_delay_alu instid0(VALU_DEP_1)
	v_dual_mov_b32 v16, v18 :: v_dual_mov_b32 v47, v48
	v_mov_b32_e32 v49, v20
	s_mov_b32 s1, exec_lo
	v_cmpx_eq_u32_e32 1, v39
	s_cbranch_execz .LBB21_4
; %bb.44:                               ;   in Loop: Header=BB21_6 Depth=1
	v_dual_mov_b32 v16, v0 :: v_dual_mov_b32 v47, v18
	v_mov_b32_e32 v49, v48
	v_mov_b32_e32 v50, v20
	s_branch .LBB21_4
.LBB21_45:
	s_endpgm
	.section	.rodata,"a",@progbits
	.p2align	6, 0x0
	.amdhsa_kernel _ZN2at6native12_GLOBAL__N_124fused_dropout_kernel_vecIN3c108BFloat16EfjLi1ELi16EbEEvNS_4cuda6detail10TensorInfoIKT_T1_EENS7_IS8_SA_EENS7_IT4_SA_EESA_T0_NS_15PhiloxCudaStateE
		.amdhsa_group_segment_fixed_size 0
		.amdhsa_private_segment_fixed_size 0
		.amdhsa_kernarg_size 944
		.amdhsa_user_sgpr_count 15
		.amdhsa_user_sgpr_dispatch_ptr 0
		.amdhsa_user_sgpr_queue_ptr 0
		.amdhsa_user_sgpr_kernarg_segment_ptr 1
		.amdhsa_user_sgpr_dispatch_id 0
		.amdhsa_user_sgpr_private_segment_size 0
		.amdhsa_wavefront_size32 1
		.amdhsa_uses_dynamic_stack 0
		.amdhsa_enable_private_segment 0
		.amdhsa_system_sgpr_workgroup_id_x 1
		.amdhsa_system_sgpr_workgroup_id_y 0
		.amdhsa_system_sgpr_workgroup_id_z 0
		.amdhsa_system_sgpr_workgroup_info 0
		.amdhsa_system_vgpr_workitem_id 0
		.amdhsa_next_free_vgpr 74
		.amdhsa_next_free_sgpr 26
		.amdhsa_reserve_vcc 1
		.amdhsa_float_round_mode_32 0
		.amdhsa_float_round_mode_16_64 0
		.amdhsa_float_denorm_mode_32 3
		.amdhsa_float_denorm_mode_16_64 3
		.amdhsa_dx10_clamp 1
		.amdhsa_ieee_mode 1
		.amdhsa_fp16_overflow 0
		.amdhsa_workgroup_processor_mode 1
		.amdhsa_memory_ordered 1
		.amdhsa_forward_progress 0
		.amdhsa_shared_vgpr_count 0
		.amdhsa_exception_fp_ieee_invalid_op 0
		.amdhsa_exception_fp_denorm_src 0
		.amdhsa_exception_fp_ieee_div_zero 0
		.amdhsa_exception_fp_ieee_overflow 0
		.amdhsa_exception_fp_ieee_underflow 0
		.amdhsa_exception_fp_ieee_inexact 0
		.amdhsa_exception_int_div_zero 0
	.end_amdhsa_kernel
	.section	.text._ZN2at6native12_GLOBAL__N_124fused_dropout_kernel_vecIN3c108BFloat16EfjLi1ELi16EbEEvNS_4cuda6detail10TensorInfoIKT_T1_EENS7_IS8_SA_EENS7_IT4_SA_EESA_T0_NS_15PhiloxCudaStateE,"axG",@progbits,_ZN2at6native12_GLOBAL__N_124fused_dropout_kernel_vecIN3c108BFloat16EfjLi1ELi16EbEEvNS_4cuda6detail10TensorInfoIKT_T1_EENS7_IS8_SA_EENS7_IT4_SA_EESA_T0_NS_15PhiloxCudaStateE,comdat
.Lfunc_end21:
	.size	_ZN2at6native12_GLOBAL__N_124fused_dropout_kernel_vecIN3c108BFloat16EfjLi1ELi16EbEEvNS_4cuda6detail10TensorInfoIKT_T1_EENS7_IS8_SA_EENS7_IT4_SA_EESA_T0_NS_15PhiloxCudaStateE, .Lfunc_end21-_ZN2at6native12_GLOBAL__N_124fused_dropout_kernel_vecIN3c108BFloat16EfjLi1ELi16EbEEvNS_4cuda6detail10TensorInfoIKT_T1_EENS7_IS8_SA_EENS7_IT4_SA_EESA_T0_NS_15PhiloxCudaStateE
                                        ; -- End function
	.section	.AMDGPU.csdata,"",@progbits
; Kernel info:
; codeLenInByte = 5532
; NumSgprs: 28
; NumVgprs: 74
; ScratchSize: 0
; MemoryBound: 0
; FloatMode: 240
; IeeeMode: 1
; LDSByteSize: 0 bytes/workgroup (compile time only)
; SGPRBlocks: 3
; VGPRBlocks: 9
; NumSGPRsForWavesPerEU: 28
; NumVGPRsForWavesPerEU: 74
; Occupancy: 16
; WaveLimiterHint : 1
; COMPUTE_PGM_RSRC2:SCRATCH_EN: 0
; COMPUTE_PGM_RSRC2:USER_SGPR: 15
; COMPUTE_PGM_RSRC2:TRAP_HANDLER: 0
; COMPUTE_PGM_RSRC2:TGID_X_EN: 1
; COMPUTE_PGM_RSRC2:TGID_Y_EN: 0
; COMPUTE_PGM_RSRC2:TGID_Z_EN: 0
; COMPUTE_PGM_RSRC2:TIDIG_COMP_CNT: 0
	.section	.text._ZN2at6native12_GLOBAL__N_124fused_dropout_kernel_vecIN3c108BFloat16EfjLi1ELi8EbEEvNS_4cuda6detail10TensorInfoIKT_T1_EENS7_IS8_SA_EENS7_IT4_SA_EESA_T0_NS_15PhiloxCudaStateE,"axG",@progbits,_ZN2at6native12_GLOBAL__N_124fused_dropout_kernel_vecIN3c108BFloat16EfjLi1ELi8EbEEvNS_4cuda6detail10TensorInfoIKT_T1_EENS7_IS8_SA_EENS7_IT4_SA_EESA_T0_NS_15PhiloxCudaStateE,comdat
	.globl	_ZN2at6native12_GLOBAL__N_124fused_dropout_kernel_vecIN3c108BFloat16EfjLi1ELi8EbEEvNS_4cuda6detail10TensorInfoIKT_T1_EENS7_IS8_SA_EENS7_IT4_SA_EESA_T0_NS_15PhiloxCudaStateE ; -- Begin function _ZN2at6native12_GLOBAL__N_124fused_dropout_kernel_vecIN3c108BFloat16EfjLi1ELi8EbEEvNS_4cuda6detail10TensorInfoIKT_T1_EENS7_IS8_SA_EENS7_IT4_SA_EESA_T0_NS_15PhiloxCudaStateE
	.p2align	8
	.type	_ZN2at6native12_GLOBAL__N_124fused_dropout_kernel_vecIN3c108BFloat16EfjLi1ELi8EbEEvNS_4cuda6detail10TensorInfoIKT_T1_EENS7_IS8_SA_EENS7_IT4_SA_EESA_T0_NS_15PhiloxCudaStateE,@function
_ZN2at6native12_GLOBAL__N_124fused_dropout_kernel_vecIN3c108BFloat16EfjLi1ELi8EbEEvNS_4cuda6detail10TensorInfoIKT_T1_EENS7_IS8_SA_EENS7_IT4_SA_EESA_T0_NS_15PhiloxCudaStateE: ; @_ZN2at6native12_GLOBAL__N_124fused_dropout_kernel_vecIN3c108BFloat16EfjLi1ELi8EbEEvNS_4cuda6detail10TensorInfoIKT_T1_EENS7_IS8_SA_EENS7_IT4_SA_EESA_T0_NS_15PhiloxCudaStateE
; %bb.0:
	s_clause 0x1
	s_load_b128 s[4:7], s[0:1], 0x290
	s_load_b32 s2, s[0:1], 0x2a8
	s_waitcnt lgkmcnt(0)
	v_dual_mov_b32 v3, s6 :: v_dual_mov_b32 v4, s7
	v_dual_mov_b32 v11, s5 :: v_dual_mov_b32 v10, s4
	s_bitcmp0_b32 s2, 0
	s_cbranch_scc1 .LBB22_2
; %bb.1:
	v_dual_mov_b32 v1, s6 :: v_dual_mov_b32 v2, s7
	v_dual_mov_b32 v3, s4 :: v_dual_mov_b32 v4, s5
	s_load_b64 s[2:3], s[0:1], 0x2a0
	flat_load_b64 v[1:2], v[1:2]
	flat_load_b64 v[10:11], v[3:4]
	s_waitcnt vmcnt(1) lgkmcnt(0)
	v_add_co_u32 v3, vcc_lo, v1, s2
	v_add_co_ci_u32_e32 v4, vcc_lo, s3, v2, vcc_lo
.LBB22_2:
	s_clause 0x1
	s_load_b32 s4, s[0:1], 0x2bc
	s_load_b64 s[8:9], s[0:1], 0x288
	s_add_u32 s2, s0, 0x2b0
	s_addc_u32 s3, s1, 0
	s_mov_b32 s5, exec_lo
	s_waitcnt lgkmcnt(0)
	s_and_b32 s4, s4, 0xffff
	s_delay_alu instid0(SALU_CYCLE_1) | instskip(NEXT) | instid1(VALU_DEP_1)
	v_mad_u64_u32 v[14:15], null, s15, s4, v[0:1]
	v_lshlrev_b32_e32 v12, 3, v14
	s_delay_alu instid0(VALU_DEP_1)
	v_cmpx_gt_u32_e64 s8, v12
	s_cbranch_execz .LBB22_25
; %bb.3:
	v_alignbit_b32 v19, v4, v3, 2
	v_mad_u64_u32 v[0:1], null, 0xcd9e8d57, v14, 0
	v_lshrrev_b32_e32 v18, 2, v4
	v_div_scale_f32 v15, null, s9, s9, 1.0
	s_delay_alu instid0(VALU_DEP_4)
	v_mad_u64_u32 v[5:6], null, 0xd2511f53, v19, 0
	s_waitcnt vmcnt(0)
	v_add_co_u32 v21, null, 0x9e3779b9, v10
	v_xor3_b32 v4, v10, v1, v18
	v_rcp_f32_e32 v16, v15
	v_mov_b32_e32 v9, v11
	v_add_co_u32 v22, null, 0x3c6ef372, v10
	v_xor_b32_e32 v8, v6, v11
	v_mad_u64_u32 v[1:2], null, 0xd2511f53, v4, 0
	s_delay_alu instid0(VALU_DEP_4) | instskip(NEXT) | instid1(VALU_DEP_3)
	v_add_co_u32 v20, null, 0xbb67ae85, v9
	v_mad_u64_u32 v[6:7], null, 0xcd9e8d57, v8, 0
	v_add_co_u32 v23, null, 0x76cf5d0a, v9
	s_delay_alu instid0(VALU_DEP_3) | instskip(SKIP_3) | instid1(VALU_DEP_4)
	v_xor3_b32 v2, v20, v2, v5
	v_add_co_u32 v24, null, 0x32370b8f, v9
	v_add_co_u32 v25, null, 0xdaa66d2b, v10
	v_xor3_b32 v0, v7, v21, v0
	v_mad_u64_u32 v[4:5], null, 0xcd9e8d57, v2, 0
	v_add_co_u32 v26, null, 0x78dde6e4, v10
	s_delay_alu instid0(VALU_DEP_3) | instskip(SKIP_1) | instid1(VALU_DEP_4)
	v_mad_u64_u32 v[7:8], null, 0xd2511f53, v0, 0
	v_add_co_u32 v27, null, 0xed9eba14, v9
	v_xor3_b32 v2, v22, v5, v6
	v_add_co_u32 v28, null, 0xa9066899, v9
	v_add_co_u32 v29, null, 0x1715609d, v10
	v_xor3_b32 v8, v8, v23, v1
	s_delay_alu instid0(VALU_DEP_4) | instskip(SKIP_1) | instid1(VALU_DEP_3)
	v_mad_u64_u32 v[0:1], null, 0xd2511f53, v2, 0
	v_add_co_u32 v30, null, 0xb54cda56, v10
	v_mad_u64_u32 v[5:6], null, 0xcd9e8d57, v8, 0
	v_add_co_u32 v32, null, 0x5384540f, v10
	s_delay_alu instid0(VALU_DEP_4)
	v_xor3_b32 v7, v24, v1, v7
	v_div_scale_f32 v17, vcc_lo, 1.0, s9, 1.0
	s_clause 0x2
	s_load_b64 s[10:11], s[0:1], 0x0
	s_load_b64 s[12:13], s[0:1], 0xd8
	;; [unrolled: 1-line block ×3, first 2 shown]
	v_xor3_b32 v4, v6, v25, v4
	v_mad_u64_u32 v[1:2], null, 0xcd9e8d57, v7, 0
	s_load_b32 s0, s[2:3], 0x0
	v_add_co_u32 v34, null, 0xf1bbcdc8, v10
	s_delay_alu instid0(VALU_DEP_3) | instskip(SKIP_1) | instid1(VALU_DEP_4)
	v_mad_u64_u32 v[6:7], null, 0xd2511f53, v4, 0
	v_add_nc_u32_e32 v38, 0x96a522ad, v11
	v_xor3_b32 v2, v26, v2, v5
	s_mov_b32 s7, 0
	s_mov_b32 s17, s9
	v_add_nc_u32_e32 v37, 0x8ff34781, v10
	s_delay_alu instid0(VALU_DEP_4) | instskip(SKIP_1) | instid1(VALU_DEP_2)
	v_xor3_b32 v0, v7, v27, v0
	v_mad_u64_u32 v[4:5], null, 0xd2511f53, v2, 0
	v_mad_u64_u32 v[7:8], null, 0xcd9e8d57, v0, 0
	s_delay_alu instid0(VALU_DEP_2) | instskip(SKIP_2) | instid1(SALU_CYCLE_1)
	v_xor3_b32 v2, v28, v5, v6
	s_waitcnt lgkmcnt(0)
	s_mul_i32 s0, s0, s4
	s_lshl_b32 s16, s0, 3
	s_delay_alu instid0(VALU_DEP_2) | instskip(SKIP_2) | instid1(VALU_DEP_3)
	v_xor3_b32 v8, v8, v29, v1
	v_mad_u64_u32 v[0:1], null, 0xcd9e8d57, v2, 0
	v_fma_f32 v2, -v15, v16, 1.0
	v_mad_u64_u32 v[5:6], null, 0xd2511f53, v8, 0
	s_delay_alu instid0(VALU_DEP_2) | instskip(SKIP_3) | instid1(VALU_DEP_3)
	v_fmac_f32_e32 v16, v2, v16
	v_add_co_u32 v31, null, 0x646e171e, v9
	v_xor3_b32 v7, v30, v1, v7
	v_add_co_u32 v33, null, 0x1fd5c5a3, v9
	v_xor3_b32 v4, v6, v31, v4
	v_mul_f32_e32 v36, v17, v16
	s_delay_alu instid0(VALU_DEP_4) | instskip(SKIP_1) | instid1(VALU_DEP_4)
	v_mad_u64_u32 v[1:2], null, 0xd2511f53, v7, 0
	v_add_co_u32 v35, null, 0xdb3d7428, v9
	v_mad_u64_u32 v[6:7], null, 0xcd9e8d57, v4, 0
	s_delay_alu instid0(VALU_DEP_4) | instskip(NEXT) | instid1(VALU_DEP_4)
	v_fma_f32 v13, -v15, v36, v17
	v_xor3_b32 v2, v33, v2, v5
	s_delay_alu instid0(VALU_DEP_2) | instskip(NEXT) | instid1(VALU_DEP_4)
	v_fmac_f32_e32 v36, v13, v16
	v_xor3_b32 v0, v7, v32, v0
	s_delay_alu instid0(VALU_DEP_3) | instskip(SKIP_1) | instid1(VALU_DEP_4)
	v_mad_u64_u32 v[4:5], null, 0xcd9e8d57, v2, 0
	v_mov_b32_e32 v13, 0
	v_fma_f32 v9, -v15, v36, v17
	s_delay_alu instid0(VALU_DEP_4) | instskip(NEXT) | instid1(VALU_DEP_3)
	v_mad_u64_u32 v[7:8], null, 0xd2511f53, v0, 0
	v_mov_b32_e32 v40, v13
	v_xor3_b32 v0, v34, v5, v6
	s_delay_alu instid0(VALU_DEP_3) | instskip(NEXT) | instid1(VALU_DEP_2)
	v_xor3_b32 v8, v8, v35, v1
	v_mad_u64_u32 v[5:6], null, 0xd2511f53, v0, 0
	v_div_fmas_f32 v0, v9, v16, v36
	v_and_b32_e32 v36, 3, v3
	s_delay_alu instid0(VALU_DEP_4) | instskip(NEXT) | instid1(VALU_DEP_3)
	v_mad_u64_u32 v[1:2], null, 0xcd9e8d57, v8, 0
	v_div_fixup_f32 v39, v0, s9, 1.0
	v_mov_b32_e32 v3, v5
	s_delay_alu instid0(VALU_DEP_3)
	v_xor3_b32 v0, v4, v2, v37
	v_xor3_b32 v2, v6, v7, v38
	s_branch .LBB22_6
.LBB22_4:                               ;   in Loop: Header=BB22_6 Depth=1
	s_or_b32 exec_lo, exec_lo, s1
	s_delay_alu instid0(VALU_DEP_1)
	v_mov_b32_e32 v17, v41
.LBB22_5:                               ;   in Loop: Header=BB22_6 Depth=1
	s_or_b32 exec_lo, exec_lo, s0
	v_lshlrev_b64 v[8:9], 1, v[12:13]
	v_cvt_f32_u32_e32 v5, v5
	v_cvt_f32_u32_e32 v4, v4
	;; [unrolled: 1-line block ×5, first 2 shown]
	v_add_co_u32 v43, vcc_lo, s10, v8
	v_add_co_ci_u32_e32 v44, vcc_lo, s11, v9, vcc_lo
	v_cvt_f32_u32_e32 v17, v17
	v_cvt_f32_u32_e32 v3, v3
	;; [unrolled: 1-line block ×3, first 2 shown]
	global_load_b128 v[43:46], v[43:44], off
	v_dual_fmaak_f32 v4, 0x2f800000, v4, 0x2f800000 :: v_dual_fmaak_f32 v5, 0x2f800000, v5, 0x2f800000
	v_dual_fmaak_f32 v42, 0x2f800000, v7, 0x2f800000 :: v_dual_fmaak_f32 v41, 0x2f800000, v41, 0x2f800000
	;; [unrolled: 1-line block ×4, first 2 shown]
	s_delay_alu instid0(VALU_DEP_4) | instskip(NEXT) | instid1(VALU_DEP_4)
	v_cmp_gt_f32_e64 s0, s9, v5
	v_cmp_gt_f32_e64 s2, s9, v42
	;; [unrolled: 1-line block ×3, first 2 shown]
	v_add_co_u32 v7, vcc_lo, s12, v8
	v_add_co_ci_u32_e32 v8, vcc_lo, s13, v9, vcc_lo
	v_cmp_gt_f32_e32 vcc_lo, s17, v4
	v_cndmask_b32_e64 v5, 0, 1, s0
	v_cmp_gt_f32_e64 s1, s17, v6
	v_cndmask_b32_e64 v9, 0, 1, s2
	v_cmp_gt_f32_e64 s3, s17, v17
	v_cmp_gt_f32_e64 s6, s9, v3
	v_cndmask_b32_e64 v49, 0, 1, s4
	v_cndmask_b32_e64 v4, 0, 1, vcc_lo
	v_cndmask_b32_e64 v6, 0, 1, s1
	v_cmp_gt_f32_e64 s5, s17, v16
	v_cndmask_b32_e64 v48, 0, 1, s3
	v_cndmask_b32_e64 v50, 0, 1, s6
	v_lshlrev_b16 v5, 8, v5
	v_lshlrev_b16 v9, 8, v9
	;; [unrolled: 1-line block ×3, first 2 shown]
	v_cndmask_b32_e64 v3, 0, 1.0, s6
	v_cndmask_b32_e64 v51, 0, 1, s5
	v_lshlrev_b16 v50, 8, v50
	v_or_b32_e32 v4, v4, v5
	v_or_b32_e32 v5, v6, v9
	;; [unrolled: 1-line block ×3, first 2 shown]
	v_cndmask_b32_e64 v17, 0, 1.0, s3
	v_cndmask_b32_e64 v41, 0, 1.0, s4
	v_cndmask_b32_e64 v16, 0, 1.0, s5
	v_cndmask_b32_e64 v47, 0, 1.0, s0
	v_or_b32_e32 v9, v51, v50
	v_cndmask_b32_e64 v48, 0, 1.0, s2
	v_cndmask_b32_e64 v42, 0, 1.0, vcc_lo
	v_cndmask_b32_e64 v52, 0, 1.0, s1
	s_waitcnt vmcnt(0)
	v_lshlrev_b32_e32 v53, 16, v46
	v_and_b32_e32 v46, 0xffff0000, v46
	v_lshlrev_b32_e32 v51, 16, v45
	v_lshlrev_b32_e32 v50, 16, v44
	v_and_b32_e32 v44, 0xffff0000, v44
	v_and_b32_e32 v45, 0xffff0000, v45
	v_mul_f32_e32 v3, v3, v46
	v_and_b32_e32 v49, 0xffff, v6
	v_lshlrev_b32_e32 v6, 16, v43
	v_dual_mul_f32 v16, v16, v53 :: v_dual_and_b32 v43, 0xffff0000, v43
	v_dual_mul_f32 v41, v41, v45 :: v_dual_and_b32 v4, 0xffff, v4
	s_delay_alu instid0(VALU_DEP_3) | instskip(NEXT) | instid1(VALU_DEP_3)
	v_dual_mul_f32 v6, v42, v6 :: v_dual_lshlrev_b32 v5, 16, v5
	v_dual_mul_f32 v43, v47, v43 :: v_dual_mul_f32 v42, v48, v44
	s_delay_alu instid0(VALU_DEP_4) | instskip(NEXT) | instid1(VALU_DEP_3)
	v_mul_f32_e32 v16, v39, v16
	v_mul_f32_e32 v6, v39, v6
	s_delay_alu instid0(VALU_DEP_3) | instskip(SKIP_2) | instid1(VALU_DEP_4)
	v_mul_f32_e32 v43, v39, v43
	v_mul_f32_e32 v17, v17, v51
	v_dual_mul_f32 v44, v52, v50 :: v_dual_lshlrev_b32 v9, 16, v9
	v_bfe_u32 v46, v6, 16, 1
	s_delay_alu instid0(VALU_DEP_4)
	v_bfe_u32 v45, v43, 16, 1
	v_cmp_o_f32_e32 vcc_lo, v43, v43
	v_bfe_u32 v53, v16, 16, 1
	v_mul_f32_e32 v44, v39, v44
	v_add3_u32 v46, v6, v46, 0x7fff
	v_add3_u32 v45, v43, v45, 0x7fff
	s_delay_alu instid0(VALU_DEP_4) | instskip(NEXT) | instid1(VALU_DEP_4)
	v_add3_u32 v53, v16, v53, 0x7fff
	v_bfe_u32 v48, v44, 16, 1
	s_delay_alu instid0(VALU_DEP_4) | instskip(NEXT) | instid1(VALU_DEP_4)
	v_lshrrev_b32_e32 v46, 16, v46
	v_lshrrev_b32_e32 v45, 16, v45
	v_mul_f32_e32 v42, v39, v42
	v_mul_f32_e32 v3, v39, v3
	v_add3_u32 v48, v44, v48, 0x7fff
	v_lshrrev_b32_e32 v53, 16, v53
	v_cndmask_b32_e32 v43, 0x7fc0, v45, vcc_lo
	v_bfe_u32 v47, v42, 16, 1
	v_cmp_o_f32_e32 vcc_lo, v42, v42
	v_lshrrev_b32_e32 v48, 16, v48
	v_bfe_u32 v52, v3, 16, 1
	s_delay_alu instid0(VALU_DEP_4) | instskip(NEXT) | instid1(VALU_DEP_2)
	v_add3_u32 v47, v42, v47, 0x7fff
	v_add3_u32 v52, v3, v52, 0x7fff
	s_delay_alu instid0(VALU_DEP_2) | instskip(SKIP_1) | instid1(VALU_DEP_3)
	v_lshrrev_b32_e32 v47, 16, v47
	v_mul_f32_e32 v17, v39, v17
	v_lshrrev_b32_e32 v52, 16, v52
	s_delay_alu instid0(VALU_DEP_3) | instskip(SKIP_4) | instid1(VALU_DEP_3)
	v_cndmask_b32_e32 v42, 0x7fc0, v47, vcc_lo
	v_cmp_o_f32_e32 vcc_lo, v44, v44
	v_mul_f32_e32 v41, v39, v41
	v_bfe_u32 v51, v17, 16, 1
	v_cndmask_b32_e32 v44, 0x7fc0, v48, vcc_lo
	v_bfe_u32 v50, v41, 16, 1
	v_cmp_o_f32_e32 vcc_lo, v41, v41
	s_delay_alu instid0(VALU_DEP_4) | instskip(NEXT) | instid1(VALU_DEP_3)
	v_add3_u32 v51, v17, v51, 0x7fff
	v_add3_u32 v50, v41, v50, 0x7fff
	s_delay_alu instid0(VALU_DEP_2) | instskip(NEXT) | instid1(VALU_DEP_2)
	v_lshrrev_b32_e32 v51, 16, v51
	v_lshrrev_b32_e32 v50, 16, v50
	s_delay_alu instid0(VALU_DEP_1)
	v_cndmask_b32_e32 v41, 0x7fc0, v50, vcc_lo
	v_cmp_o_f32_e32 vcc_lo, v3, v3
	v_cndmask_b32_e32 v3, 0x7fc0, v52, vcc_lo
	v_cmp_o_f32_e32 vcc_lo, v16, v16
	v_or_b32_e32 v16, v4, v5
	v_perm_b32 v4, v42, v44, 0x5040100
	v_cndmask_b32_e32 v45, 0x7fc0, v53, vcc_lo
	v_cmp_o_f32_e32 vcc_lo, v17, v17
	v_cndmask_b32_e32 v17, 0x7fc0, v51, vcc_lo
	v_cmp_o_f32_e32 vcc_lo, v6, v6
	s_delay_alu instid0(VALU_DEP_4) | instskip(NEXT) | instid1(VALU_DEP_3)
	v_perm_b32 v6, v3, v45, 0x5040100
	v_perm_b32 v5, v41, v17, 0x5040100
	v_cndmask_b32_e32 v46, 0x7fc0, v46, vcc_lo
	v_or_b32_e32 v17, v49, v9
	s_delay_alu instid0(VALU_DEP_2)
	v_perm_b32 v3, v43, v46, 0x5040100
	global_store_b128 v[7:8], v[3:6], off
	global_store_b64 v12, v[16:17], s[14:15]
	v_dual_mov_b32 v3, v15 :: v_dual_add_nc_u32 v12, s16, v12
	s_waitcnt_vscnt null, 0x0
	s_barrier
	buffer_gl0_inv
	v_cmp_le_u32_e32 vcc_lo, s8, v12
	s_or_b32 s7, vcc_lo, s7
	s_delay_alu instid0(SALU_CYCLE_1)
	s_and_not1_b32 exec_lo, exec_lo, s7
	s_cbranch_execz .LBB22_25
.LBB22_6:                               ; =>This Inner Loop Header: Depth=1
	v_add_co_u32 v6, vcc_lo, v19, 1
	s_delay_alu instid0(VALU_DEP_1) | instskip(SKIP_2) | instid1(VALU_DEP_1)
	v_cndmask_b32_e64 v4, 0, 1, vcc_lo
	v_add_co_ci_u32_e32 v15, vcc_lo, 0, v18, vcc_lo
	s_mov_b32 s0, exec_lo
	v_cmp_eq_u32_e32 vcc_lo, 0, v15
	s_delay_alu instid0(VALU_DEP_3) | instskip(SKIP_1) | instid1(VALU_DEP_2)
	v_cndmask_b32_e32 v7, 0, v4, vcc_lo
	v_mad_u64_u32 v[4:5], null, 0xd2511f53, v6, 0
	v_add_nc_u32_e32 v14, v7, v14
	s_delay_alu instid0(VALU_DEP_2) | instskip(NEXT) | instid1(VALU_DEP_2)
	v_xor_b32_e32 v8, v5, v11
	v_cmp_eq_u32_e32 vcc_lo, 0, v14
	v_cndmask_b32_e32 v7, 0, v7, vcc_lo
	v_mad_u64_u32 v[5:6], null, 0xcd9e8d57, v14, 0
	s_delay_alu instid0(VALU_DEP_2) | instskip(NEXT) | instid1(VALU_DEP_2)
	v_add_nc_u32_e32 v16, v7, v40
	v_xor3_b32 v17, v6, v10, v15
	s_delay_alu instid0(VALU_DEP_2) | instskip(NEXT) | instid1(VALU_DEP_1)
	v_xor_b32_e32 v8, v16, v8
	v_mad_u64_u32 v[6:7], null, 0xcd9e8d57, v8, 0
	s_delay_alu instid0(VALU_DEP_3) | instskip(NEXT) | instid1(VALU_DEP_2)
	v_mad_u64_u32 v[8:9], null, 0xd2511f53, v17, 0
	v_xor3_b32 v7, v21, v7, v5
	s_delay_alu instid0(VALU_DEP_2) | instskip(NEXT) | instid1(VALU_DEP_2)
	v_xor3_b32 v9, v20, v9, v4
	v_mad_u64_u32 v[4:5], null, 0xd2511f53, v7, 0
	s_delay_alu instid0(VALU_DEP_2) | instskip(NEXT) | instid1(VALU_DEP_2)
	v_mad_u64_u32 v[17:18], null, 0xcd9e8d57, v9, 0
	v_xor3_b32 v7, v23, v5, v8
	s_delay_alu instid0(VALU_DEP_2) | instskip(NEXT) | instid1(VALU_DEP_2)
	v_xor3_b32 v9, v22, v18, v6
	v_mad_u64_u32 v[5:6], null, 0xcd9e8d57, v7, 0
	s_delay_alu instid0(VALU_DEP_2) | instskip(NEXT) | instid1(VALU_DEP_2)
	;; [unrolled: 6-line block ×8, first 2 shown]
	v_mad_u64_u32 v[17:18], null, 0xd2511f53, v4, 0
	v_xor3_b32 v41, v9, v40, v37
	s_delay_alu instid0(VALU_DEP_2)
	v_xor3_b32 v9, v18, v5, v38
                                        ; implicit-def: $vgpr4_vgpr5_vgpr6_vgpr7
	v_cmpx_lt_i32_e32 1, v36
	s_xor_b32 s0, exec_lo, s0
	s_cbranch_execz .LBB22_12
; %bb.7:                                ;   in Loop: Header=BB22_6 Depth=1
	s_mov_b32 s1, exec_lo
                                        ; implicit-def: $vgpr4_vgpr5_vgpr6_vgpr7
	v_cmpx_lt_i32_e32 2, v36
	s_xor_b32 s1, exec_lo, s1
; %bb.8:                                ;   in Loop: Header=BB22_6 Depth=1
	v_dual_mov_b32 v6, v3 :: v_dual_mov_b32 v7, v41
                                        ; implicit-def: $vgpr0_vgpr1_vgpr2_vgpr3
	s_delay_alu instid0(VALU_DEP_1) | instskip(NEXT) | instid1(VALU_DEP_2)
	v_mov_b32_e32 v4, v6
	v_dual_mov_b32 v5, v7 :: v_dual_mov_b32 v6, v8
	v_mov_b32_e32 v7, v9
; %bb.9:                                ;   in Loop: Header=BB22_6 Depth=1
	s_and_not1_saveexec_b32 s1, s1
; %bb.10:                               ;   in Loop: Header=BB22_6 Depth=1
	v_dual_mov_b32 v4, v2 :: v_dual_mov_b32 v5, v3
	v_dual_mov_b32 v6, v41 :: v_dual_mov_b32 v7, v8
; %bb.11:                               ;   in Loop: Header=BB22_6 Depth=1
	s_or_b32 exec_lo, exec_lo, s1
                                        ; implicit-def: $vgpr0_vgpr1_vgpr2_vgpr3
.LBB22_12:                              ;   in Loop: Header=BB22_6 Depth=1
	s_and_not1_saveexec_b32 s0, s0
	s_cbranch_execz .LBB22_16
; %bb.13:                               ;   in Loop: Header=BB22_6 Depth=1
	s_mov_b32 s1, exec_lo
	v_cmpx_eq_u32_e32 1, v36
; %bb.14:                               ;   in Loop: Header=BB22_6 Depth=1
	v_dual_mov_b32 v0, v1 :: v_dual_mov_b32 v1, v2
	v_dual_mov_b32 v2, v3 :: v_dual_mov_b32 v3, v41
; %bb.15:                               ;   in Loop: Header=BB22_6 Depth=1
	s_or_b32 exec_lo, exec_lo, s1
	s_delay_alu instid0(VALU_DEP_1) | instskip(NEXT) | instid1(VALU_DEP_3)
	v_dual_mov_b32 v7, v3 :: v_dual_mov_b32 v6, v2
	v_dual_mov_b32 v5, v1 :: v_dual_mov_b32 v4, v0
.LBB22_16:                              ;   in Loop: Header=BB22_6 Depth=1
	s_or_b32 exec_lo, exec_lo, s0
	v_add_nc_u32_e32 v19, 2, v19
	s_mov_b32 s0, exec_lo
	s_delay_alu instid0(VALU_DEP_1) | instskip(SKIP_2) | instid1(VALU_DEP_1)
	v_cmp_eq_u32_e32 vcc_lo, 0, v19
	v_cndmask_b32_e64 v0, 0, 1, vcc_lo
	v_add_co_ci_u32_e32 v18, vcc_lo, 0, v15, vcc_lo
	v_cmp_eq_u32_e32 vcc_lo, 0, v18
	s_delay_alu instid0(VALU_DEP_3) | instskip(NEXT) | instid1(VALU_DEP_1)
	v_cndmask_b32_e32 v0, 0, v0, vcc_lo
	v_add_nc_u32_e32 v14, v0, v14
	s_delay_alu instid0(VALU_DEP_1) | instskip(SKIP_2) | instid1(VALU_DEP_2)
	v_cmp_eq_u32_e32 vcc_lo, 0, v14
	v_mad_u64_u32 v[2:3], null, 0xcd9e8d57, v14, 0
	v_cndmask_b32_e32 v0, 0, v0, vcc_lo
	v_xor3_b32 v3, v3, v10, v18
	s_delay_alu instid0(VALU_DEP_2) | instskip(SKIP_1) | instid1(VALU_DEP_3)
	v_add_nc_u32_e32 v40, v0, v16
	v_mad_u64_u32 v[0:1], null, 0xd2511f53, v19, 0
	v_mad_u64_u32 v[42:43], null, 0xd2511f53, v3, 0
	s_delay_alu instid0(VALU_DEP_2) | instskip(NEXT) | instid1(VALU_DEP_1)
	v_xor_b32_e32 v1, v1, v11
	v_xor_b32_e32 v1, v40, v1
	s_delay_alu instid0(VALU_DEP_1) | instskip(NEXT) | instid1(VALU_DEP_1)
	v_mad_u64_u32 v[15:16], null, 0xcd9e8d57, v1, 0
	v_xor3_b32 v2, v21, v16, v2
	v_xor3_b32 v16, v20, v43, v0
	s_delay_alu instid0(VALU_DEP_2) | instskip(NEXT) | instid1(VALU_DEP_2)
	v_mad_u64_u32 v[0:1], null, 0xd2511f53, v2, 0
	v_mad_u64_u32 v[2:3], null, 0xcd9e8d57, v16, 0
	s_delay_alu instid0(VALU_DEP_2) | instskip(NEXT) | instid1(VALU_DEP_2)
	v_xor3_b32 v1, v23, v1, v42
	v_xor3_b32 v3, v22, v3, v15
	s_delay_alu instid0(VALU_DEP_2) | instskip(NEXT) | instid1(VALU_DEP_2)
	v_mad_u64_u32 v[15:16], null, 0xcd9e8d57, v1, 0
	v_mad_u64_u32 v[42:43], null, 0xd2511f53, v3, 0
	s_delay_alu instid0(VALU_DEP_2) | instskip(NEXT) | instid1(VALU_DEP_2)
	;; [unrolled: 6-line block ×7, first 2 shown]
	v_xor3_b32 v3, v35, v44, v42
	v_xor3_b32 v42, v34, v1, v15
	s_delay_alu instid0(VALU_DEP_2) | instskip(NEXT) | instid1(VALU_DEP_2)
	v_mad_u64_u32 v[1:2], null, 0xcd9e8d57, v3, 0
	v_mad_u64_u32 v[15:16], null, 0xd2511f53, v42, 0
                                        ; implicit-def: $vgpr3
                                        ; implicit-def: $vgpr42
	s_delay_alu instid0(VALU_DEP_2) | instskip(NEXT) | instid1(VALU_DEP_2)
	v_xor3_b32 v0, v2, v0, v37
	v_xor3_b32 v2, v16, v43, v38
                                        ; implicit-def: $vgpr16
	v_cmpx_lt_i32_e32 1, v36
	s_xor_b32 s0, exec_lo, s0
	s_cbranch_execz .LBB22_22
; %bb.17:                               ;   in Loop: Header=BB22_6 Depth=1
	s_mov_b32 s1, exec_lo
	v_cmpx_lt_i32_e32 2, v36
	s_xor_b32 s1, exec_lo, s1
; %bb.18:                               ;   in Loop: Header=BB22_6 Depth=1
                                        ; implicit-def: $vgpr9
; %bb.19:                               ;   in Loop: Header=BB22_6 Depth=1
	s_delay_alu instid0(SALU_CYCLE_1)
	s_or_saveexec_b32 s1, s1
	v_dual_mov_b32 v3, v2 :: v_dual_mov_b32 v16, v1
	v_mov_b32_e32 v42, v0
	s_xor_b32 exec_lo, exec_lo, s1
; %bb.20:                               ;   in Loop: Header=BB22_6 Depth=1
	v_dual_mov_b32 v3, v1 :: v_dual_mov_b32 v16, v0
	v_mov_b32_e32 v42, v17
	v_mov_b32_e32 v17, v9
; %bb.21:                               ;   in Loop: Header=BB22_6 Depth=1
	s_or_b32 exec_lo, exec_lo, s1
                                        ; implicit-def: $vgpr9
                                        ; implicit-def: $vgpr41
.LBB22_22:                              ;   in Loop: Header=BB22_6 Depth=1
	s_and_not1_saveexec_b32 s0, s0
	s_cbranch_execz .LBB22_5
; %bb.23:                               ;   in Loop: Header=BB22_6 Depth=1
	s_delay_alu instid0(VALU_DEP_1)
	v_dual_mov_b32 v3, v17 :: v_dual_mov_b32 v42, v8
	v_mov_b32_e32 v16, v9
	s_mov_b32 s1, exec_lo
	v_cmpx_eq_u32_e32 1, v36
	s_cbranch_execz .LBB22_4
; %bb.24:                               ;   in Loop: Header=BB22_6 Depth=1
	v_dual_mov_b32 v3, v0 :: v_dual_mov_b32 v16, v17
	v_dual_mov_b32 v42, v9 :: v_dual_mov_b32 v41, v8
	s_branch .LBB22_4
.LBB22_25:
	s_endpgm
	.section	.rodata,"a",@progbits
	.p2align	6, 0x0
	.amdhsa_kernel _ZN2at6native12_GLOBAL__N_124fused_dropout_kernel_vecIN3c108BFloat16EfjLi1ELi8EbEEvNS_4cuda6detail10TensorInfoIKT_T1_EENS7_IS8_SA_EENS7_IT4_SA_EESA_T0_NS_15PhiloxCudaStateE
		.amdhsa_group_segment_fixed_size 0
		.amdhsa_private_segment_fixed_size 0
		.amdhsa_kernarg_size 944
		.amdhsa_user_sgpr_count 15
		.amdhsa_user_sgpr_dispatch_ptr 0
		.amdhsa_user_sgpr_queue_ptr 0
		.amdhsa_user_sgpr_kernarg_segment_ptr 1
		.amdhsa_user_sgpr_dispatch_id 0
		.amdhsa_user_sgpr_private_segment_size 0
		.amdhsa_wavefront_size32 1
		.amdhsa_uses_dynamic_stack 0
		.amdhsa_enable_private_segment 0
		.amdhsa_system_sgpr_workgroup_id_x 1
		.amdhsa_system_sgpr_workgroup_id_y 0
		.amdhsa_system_sgpr_workgroup_id_z 0
		.amdhsa_system_sgpr_workgroup_info 0
		.amdhsa_system_vgpr_workitem_id 0
		.amdhsa_next_free_vgpr 54
		.amdhsa_next_free_sgpr 18
		.amdhsa_reserve_vcc 1
		.amdhsa_float_round_mode_32 0
		.amdhsa_float_round_mode_16_64 0
		.amdhsa_float_denorm_mode_32 3
		.amdhsa_float_denorm_mode_16_64 3
		.amdhsa_dx10_clamp 1
		.amdhsa_ieee_mode 1
		.amdhsa_fp16_overflow 0
		.amdhsa_workgroup_processor_mode 1
		.amdhsa_memory_ordered 1
		.amdhsa_forward_progress 0
		.amdhsa_shared_vgpr_count 0
		.amdhsa_exception_fp_ieee_invalid_op 0
		.amdhsa_exception_fp_denorm_src 0
		.amdhsa_exception_fp_ieee_div_zero 0
		.amdhsa_exception_fp_ieee_overflow 0
		.amdhsa_exception_fp_ieee_underflow 0
		.amdhsa_exception_fp_ieee_inexact 0
		.amdhsa_exception_int_div_zero 0
	.end_amdhsa_kernel
	.section	.text._ZN2at6native12_GLOBAL__N_124fused_dropout_kernel_vecIN3c108BFloat16EfjLi1ELi8EbEEvNS_4cuda6detail10TensorInfoIKT_T1_EENS7_IS8_SA_EENS7_IT4_SA_EESA_T0_NS_15PhiloxCudaStateE,"axG",@progbits,_ZN2at6native12_GLOBAL__N_124fused_dropout_kernel_vecIN3c108BFloat16EfjLi1ELi8EbEEvNS_4cuda6detail10TensorInfoIKT_T1_EENS7_IS8_SA_EENS7_IT4_SA_EESA_T0_NS_15PhiloxCudaStateE,comdat
.Lfunc_end22:
	.size	_ZN2at6native12_GLOBAL__N_124fused_dropout_kernel_vecIN3c108BFloat16EfjLi1ELi8EbEEvNS_4cuda6detail10TensorInfoIKT_T1_EENS7_IS8_SA_EENS7_IT4_SA_EESA_T0_NS_15PhiloxCudaStateE, .Lfunc_end22-_ZN2at6native12_GLOBAL__N_124fused_dropout_kernel_vecIN3c108BFloat16EfjLi1ELi8EbEEvNS_4cuda6detail10TensorInfoIKT_T1_EENS7_IS8_SA_EENS7_IT4_SA_EESA_T0_NS_15PhiloxCudaStateE
                                        ; -- End function
	.section	.AMDGPU.csdata,"",@progbits
; Kernel info:
; codeLenInByte = 3348
; NumSgprs: 20
; NumVgprs: 54
; ScratchSize: 0
; MemoryBound: 0
; FloatMode: 240
; IeeeMode: 1
; LDSByteSize: 0 bytes/workgroup (compile time only)
; SGPRBlocks: 2
; VGPRBlocks: 6
; NumSGPRsForWavesPerEU: 20
; NumVGPRsForWavesPerEU: 54
; Occupancy: 16
; WaveLimiterHint : 1
; COMPUTE_PGM_RSRC2:SCRATCH_EN: 0
; COMPUTE_PGM_RSRC2:USER_SGPR: 15
; COMPUTE_PGM_RSRC2:TRAP_HANDLER: 0
; COMPUTE_PGM_RSRC2:TGID_X_EN: 1
; COMPUTE_PGM_RSRC2:TGID_Y_EN: 0
; COMPUTE_PGM_RSRC2:TGID_Z_EN: 0
; COMPUTE_PGM_RSRC2:TIDIG_COMP_CNT: 0
	.section	.text._ZN2at6native12_GLOBAL__N_124fused_dropout_kernel_vecIN3c108BFloat16EfjLi1ELi4EbEEvNS_4cuda6detail10TensorInfoIKT_T1_EENS7_IS8_SA_EENS7_IT4_SA_EESA_T0_NS_15PhiloxCudaStateE,"axG",@progbits,_ZN2at6native12_GLOBAL__N_124fused_dropout_kernel_vecIN3c108BFloat16EfjLi1ELi4EbEEvNS_4cuda6detail10TensorInfoIKT_T1_EENS7_IS8_SA_EENS7_IT4_SA_EESA_T0_NS_15PhiloxCudaStateE,comdat
	.globl	_ZN2at6native12_GLOBAL__N_124fused_dropout_kernel_vecIN3c108BFloat16EfjLi1ELi4EbEEvNS_4cuda6detail10TensorInfoIKT_T1_EENS7_IS8_SA_EENS7_IT4_SA_EESA_T0_NS_15PhiloxCudaStateE ; -- Begin function _ZN2at6native12_GLOBAL__N_124fused_dropout_kernel_vecIN3c108BFloat16EfjLi1ELi4EbEEvNS_4cuda6detail10TensorInfoIKT_T1_EENS7_IS8_SA_EENS7_IT4_SA_EESA_T0_NS_15PhiloxCudaStateE
	.p2align	8
	.type	_ZN2at6native12_GLOBAL__N_124fused_dropout_kernel_vecIN3c108BFloat16EfjLi1ELi4EbEEvNS_4cuda6detail10TensorInfoIKT_T1_EENS7_IS8_SA_EENS7_IT4_SA_EESA_T0_NS_15PhiloxCudaStateE,@function
_ZN2at6native12_GLOBAL__N_124fused_dropout_kernel_vecIN3c108BFloat16EfjLi1ELi4EbEEvNS_4cuda6detail10TensorInfoIKT_T1_EENS7_IS8_SA_EENS7_IT4_SA_EESA_T0_NS_15PhiloxCudaStateE: ; @_ZN2at6native12_GLOBAL__N_124fused_dropout_kernel_vecIN3c108BFloat16EfjLi1ELi4EbEEvNS_4cuda6detail10TensorInfoIKT_T1_EENS7_IS8_SA_EENS7_IT4_SA_EESA_T0_NS_15PhiloxCudaStateE
; %bb.0:
	s_clause 0x1
	s_load_b128 s[4:7], s[0:1], 0x290
	s_load_b32 s2, s[0:1], 0x2a8
	s_waitcnt lgkmcnt(0)
	v_dual_mov_b32 v1, s6 :: v_dual_mov_b32 v2, s7
	v_dual_mov_b32 v9, s5 :: v_dual_mov_b32 v8, s4
	s_bitcmp0_b32 s2, 0
	s_cbranch_scc1 .LBB23_2
; %bb.1:
	v_dual_mov_b32 v1, s6 :: v_dual_mov_b32 v2, s7
	v_dual_mov_b32 v3, s4 :: v_dual_mov_b32 v4, s5
	s_load_b64 s[2:3], s[0:1], 0x2a0
	flat_load_b64 v[1:2], v[1:2]
	flat_load_b64 v[8:9], v[3:4]
	s_waitcnt vmcnt(1) lgkmcnt(0)
	v_add_co_u32 v1, vcc_lo, v1, s2
	v_add_co_ci_u32_e32 v2, vcc_lo, s3, v2, vcc_lo
.LBB23_2:
	s_clause 0x1
	s_load_b32 s6, s[0:1], 0x2bc
	s_load_b64 s[4:5], s[0:1], 0x288
	s_add_u32 s2, s0, 0x2b0
	s_addc_u32 s3, s1, 0
	s_waitcnt lgkmcnt(0)
	s_and_b32 s12, s6, 0xffff
	s_mov_b32 s6, exec_lo
	v_mad_u64_u32 v[10:11], null, s15, s12, v[0:1]
	s_delay_alu instid0(VALU_DEP_1) | instskip(NEXT) | instid1(VALU_DEP_1)
	v_lshlrev_b32_e32 v11, 2, v10
	v_cmpx_gt_u32_e64 s4, v11
	s_cbranch_execz .LBB23_15
; %bb.3:
	v_mad_u64_u32 v[3:4], null, 0xcd9e8d57, v10, 0
	v_alignbit_b32 v15, v2, v1, 2
	v_lshrrev_b32_e32 v16, 2, v2
	s_waitcnt vmcnt(0)
	v_mov_b32_e32 v32, v9
	v_add_co_u32 v18, null, 0x9e3779b9, v8
	v_mad_u64_u32 v[5:6], null, 0xd2511f53, v15, 0
	v_xor3_b32 v0, v8, v4, v16
	s_delay_alu instid0(VALU_DEP_4) | instskip(SKIP_1) | instid1(VALU_DEP_3)
	v_add_co_u32 v17, null, 0xbb67ae85, v32
	v_add_co_u32 v19, null, 0x3c6ef372, v8
	v_mad_u64_u32 v[12:13], null, 0xd2511f53, v0, 0
	v_xor_b32_e32 v0, v6, v9
	v_add_co_u32 v20, null, 0x76cf5d0a, v32
	v_add_co_u32 v21, null, 0x32370b8f, v32
	s_delay_alu instid0(VALU_DEP_3) | instskip(SKIP_3) | instid1(VALU_DEP_3)
	v_mad_u64_u32 v[6:7], null, 0xcd9e8d57, v0, 0
	v_xor3_b32 v0, v17, v13, v5
	v_add_co_u32 v22, null, 0xdaa66d2b, v8
	v_add_co_u32 v23, null, 0x78dde6e4, v8
	v_mad_u64_u32 v[4:5], null, 0xcd9e8d57, v0, 0
	v_xor3_b32 v0, v7, v18, v3
	v_add_co_u32 v24, null, 0xed9eba14, v32
	v_add_co_u32 v25, null, 0xa9066899, v32
	s_delay_alu instid0(VALU_DEP_3) | instskip(SKIP_3) | instid1(VALU_DEP_3)
	v_mad_u64_u32 v[2:3], null, 0xd2511f53, v0, 0
	v_xor3_b32 v0, v19, v5, v6
	v_add_co_u32 v26, null, 0x1715609d, v8
	v_div_scale_f32 v33, null, s5, s5, 1.0
	v_mad_u64_u32 v[5:6], null, 0xd2511f53, v0, 0
	v_xor3_b32 v0, v3, v20, v12
	s_delay_alu instid0(VALU_DEP_3) | instskip(SKIP_2) | instid1(VALU_DEP_3)
	v_rcp_f32_e32 v34, v33
	v_add_co_u32 v27, null, 0xb54cda56, v8
	v_add_co_u32 v28, null, 0x646e171e, v32
	v_mad_u64_u32 v[12:13], null, 0xcd9e8d57, v0, 0
	v_xor3_b32 v0, v21, v6, v2
	v_add_co_u32 v29, null, 0x1fd5c5a3, v32
	v_add_co_u32 v30, null, 0x5384540f, v8
	s_delay_alu instid0(VALU_DEP_3)
	v_mad_u64_u32 v[2:3], null, 0xcd9e8d57, v0, 0
	v_xor3_b32 v0, v13, v22, v4
	s_load_b32 s2, s[2:3], 0x0
	v_add_co_u32 v31, null, 0xf1bbcdc8, v8
	s_clause 0x2
	s_load_b64 s[6:7], s[0:1], 0x0
	s_load_b64 s[8:9], s[0:1], 0xd8
	;; [unrolled: 1-line block ×3, first 2 shown]
	v_mad_u64_u32 v[6:7], null, 0xd2511f53, v0, 0
	v_xor3_b32 v0, v23, v3, v12
	s_mov_b32 s3, 0
	s_delay_alu instid0(VALU_DEP_1) | instskip(NEXT) | instid1(VALU_DEP_3)
	v_mad_u64_u32 v[3:4], null, 0xd2511f53, v0, 0
	v_xor3_b32 v0, v7, v24, v5
	s_delay_alu instid0(VALU_DEP_1) | instskip(NEXT) | instid1(VALU_DEP_3)
	v_mad_u64_u32 v[12:13], null, 0xcd9e8d57, v0, 0
	v_xor3_b32 v0, v25, v4, v6
	s_waitcnt lgkmcnt(0)
	s_mul_i32 s2, s2, s12
	s_delay_alu instid0(SALU_CYCLE_1) | instskip(NEXT) | instid1(VALU_DEP_1)
	s_lshl_b32 s12, s2, 2
	v_mad_u64_u32 v[4:5], null, 0xcd9e8d57, v0, 0
	s_delay_alu instid0(VALU_DEP_3) | instskip(SKIP_1) | instid1(VALU_DEP_2)
	v_xor3_b32 v0, v13, v26, v2
	v_fma_f32 v2, -v33, v34, 1.0
	v_mad_u64_u32 v[6:7], null, 0xd2511f53, v0, 0
	s_delay_alu instid0(VALU_DEP_4) | instskip(NEXT) | instid1(VALU_DEP_3)
	v_xor3_b32 v0, v27, v5, v12
	v_fmac_f32_e32 v34, v2, v34
	v_div_scale_f32 v5, vcc_lo, 1.0, s5, 1.0
	s_delay_alu instid0(VALU_DEP_3) | instskip(SKIP_1) | instid1(VALU_DEP_3)
	v_mad_u64_u32 v[12:13], null, 0xd2511f53, v0, 0
	v_xor3_b32 v0, v7, v28, v3
	v_mul_f32_e32 v35, v5, v34
	s_delay_alu instid0(VALU_DEP_2) | instskip(NEXT) | instid1(VALU_DEP_4)
	v_mad_u64_u32 v[2:3], null, 0xcd9e8d57, v0, 0
	v_xor3_b32 v0, v29, v13, v6
	s_delay_alu instid0(VALU_DEP_1) | instskip(NEXT) | instid1(VALU_DEP_3)
	v_mad_u64_u32 v[13:14], null, 0xcd9e8d57, v0, 0
	v_xor3_b32 v0, v3, v30, v4
	v_fma_f32 v3, -v33, v35, v5
	s_delay_alu instid0(VALU_DEP_2) | instskip(NEXT) | instid1(VALU_DEP_2)
	v_mad_u64_u32 v[37:38], null, 0xd2511f53, v0, 0
	v_fmac_f32_e32 v35, v3, v34
	v_add_co_u32 v32, null, 0xdb3d7428, v32
	v_xor3_b32 v0, v31, v14, v2
	s_delay_alu instid0(VALU_DEP_3) | instskip(NEXT) | instid1(VALU_DEP_3)
	v_fma_f32 v3, -v33, v35, v5
	v_xor3_b32 v2, v38, v32, v12
	v_mov_b32_e32 v12, 0
	s_delay_alu instid0(VALU_DEP_4) | instskip(SKIP_1) | instid1(VALU_DEP_4)
	v_mad_u64_u32 v[6:7], null, 0xd2511f53, v0, 0
	v_add_nc_u32_e32 v33, 0x8ff34781, v8
	v_mad_u64_u32 v[4:5], null, 0xcd9e8d57, v2, 0
	v_div_fmas_f32 v0, v3, v34, v35
	v_add_nc_u32_e32 v34, 0x96a522ad, v9
	v_and_b32_e32 v35, 3, v1
	s_delay_alu instid0(VALU_DEP_3) | instskip(SKIP_1) | instid1(VALU_DEP_4)
	v_div_fixup_f32 v36, v0, s5, 1.0
	v_xor3_b32 v3, v13, v5, v33
	v_xor3_b32 v5, v7, v37, v34
	v_mov_b32_e32 v37, v12
	s_branch .LBB23_6
.LBB23_4:                               ;   in Loop: Header=BB23_6 Depth=1
	s_or_b32 exec_lo, exec_lo, s1
.LBB23_5:                               ;   in Loop: Header=BB23_6 Depth=1
	s_delay_alu instid0(SALU_CYCLE_1)
	s_or_b32 exec_lo, exec_lo, s0
	v_lshlrev_b64 v[38:39], 1, v[11:12]
	v_cvt_f32_u32_e32 v3, v3
	v_cvt_f32_u32_e32 v4, v4
	;; [unrolled: 1-line block ×4, first 2 shown]
	s_delay_alu instid0(VALU_DEP_3) | instskip(SKIP_2) | instid1(VALU_DEP_4)
	v_dual_fmaak_f32 v3, 0x2f800000, v3, 0x2f800000 :: v_dual_fmaak_f32 v4, 0x2f800000, v4, 0x2f800000
	v_add_co_u32 v40, vcc_lo, s6, v38
	v_add_co_ci_u32_e32 v41, vcc_lo, s7, v39, vcc_lo
	v_dual_fmaak_f32 v5, 0x2f800000, v5, 0x2f800000 :: v_dual_fmaak_f32 v6, 0x2f800000, v6, 0x2f800000
	s_delay_alu instid0(VALU_DEP_4)
	v_cmp_gt_f32_e32 vcc_lo, s5, v3
	global_load_b64 v[40:41], v[40:41], off
	v_cmp_gt_f32_e64 s0, s5, v4
	v_cmp_gt_f32_e64 s1, s5, v5
	;; [unrolled: 1-line block ×3, first 2 shown]
	v_cndmask_b32_e64 v3, 0, 1.0, vcc_lo
	v_cndmask_b32_e64 v14, 0, 1, vcc_lo
	v_cndmask_b32_e64 v4, 0, 1.0, s0
	v_cndmask_b32_e64 v5, 0, 1.0, s1
	;; [unrolled: 1-line block ×3, first 2 shown]
	v_cndmask_b32_e64 v7, 0, 1, s0
	v_cndmask_b32_e64 v44, 0, 1, s2
	;; [unrolled: 1-line block ×3, first 2 shown]
	s_delay_alu instid0(VALU_DEP_3) | instskip(NEXT) | instid1(VALU_DEP_3)
	v_lshlrev_b16 v7, 8, v7
	v_lshlrev_b16 v44, 8, v44
	s_delay_alu instid0(VALU_DEP_2) | instskip(NEXT) | instid1(VALU_DEP_2)
	v_or_b32_e32 v7, v14, v7
	v_or_b32_e32 v14, v42, v44
	s_delay_alu instid0(VALU_DEP_2) | instskip(NEXT) | instid1(VALU_DEP_2)
	v_and_b32_e32 v7, 0xffff, v7
	v_lshlrev_b32_e32 v14, 16, v14
	s_delay_alu instid0(VALU_DEP_1) | instskip(SKIP_4) | instid1(VALU_DEP_1)
	v_or_b32_e32 v7, v7, v14
	s_waitcnt vmcnt(0)
	v_alignbit_b32 v43, v41, v40, 16
	v_lshlrev_b32_e32 v45, 16, v40
	v_and_b32_e32 v40, 0xffff0000, v40
	v_dual_mul_f32 v4, v4, v40 :: v_dual_and_b32 v41, 0xffff0000, v41
	s_delay_alu instid0(VALU_DEP_1) | instskip(NEXT) | instid1(VALU_DEP_2)
	v_dual_mul_f32 v6, v6, v41 :: v_dual_and_b32 v43, 0xffff0000, v43
	v_dual_mul_f32 v3, v3, v45 :: v_dual_mul_f32 v4, v36, v4
	s_delay_alu instid0(VALU_DEP_2) | instskip(NEXT) | instid1(VALU_DEP_2)
	v_dual_mul_f32 v6, v36, v6 :: v_dual_mul_f32 v5, v5, v43
	v_mul_f32_e32 v3, v36, v3
	s_delay_alu instid0(VALU_DEP_3) | instskip(NEXT) | instid1(VALU_DEP_3)
	v_bfe_u32 v43, v4, 16, 1
	v_bfe_u32 v40, v6, 16, 1
	v_cmp_o_f32_e32 vcc_lo, v6, v6
	s_delay_alu instid0(VALU_DEP_4) | instskip(NEXT) | instid1(VALU_DEP_4)
	v_bfe_u32 v41, v3, 16, 1
	v_add3_u32 v43, v4, v43, 0x7fff
	s_delay_alu instid0(VALU_DEP_4) | instskip(SKIP_1) | instid1(VALU_DEP_4)
	v_add3_u32 v40, v6, v40, 0x7fff
	v_mul_f32_e32 v5, v36, v5
	v_add3_u32 v41, v3, v41, 0x7fff
	s_delay_alu instid0(VALU_DEP_4) | instskip(NEXT) | instid1(VALU_DEP_4)
	v_and_b32_e32 v43, 0xffff0000, v43
	v_and_b32_e32 v40, 0xffff0000, v40
	s_delay_alu instid0(VALU_DEP_4) | instskip(NEXT) | instid1(VALU_DEP_4)
	v_bfe_u32 v42, v5, 16, 1
	v_lshrrev_b32_e32 v41, 16, v41
	s_delay_alu instid0(VALU_DEP_3) | instskip(NEXT) | instid1(VALU_DEP_3)
	v_cndmask_b32_e32 v6, 0x7fc00000, v40, vcc_lo
	v_add3_u32 v42, v5, v42, 0x7fff
	v_cmp_o_f32_e32 vcc_lo, v5, v5
	s_delay_alu instid0(VALU_DEP_2) | instskip(NEXT) | instid1(VALU_DEP_1)
	v_lshrrev_b32_e32 v42, 16, v42
	v_cndmask_b32_e32 v5, 0x7fc0, v42, vcc_lo
	v_cmp_o_f32_e32 vcc_lo, v4, v4
	s_delay_alu instid0(VALU_DEP_2) | instskip(SKIP_2) | instid1(VALU_DEP_3)
	v_or_b32_e32 v6, v6, v5
	v_cndmask_b32_e32 v40, 0x7fc00000, v43, vcc_lo
	v_cmp_o_f32_e32 vcc_lo, v3, v3
	v_or3_b32 v6, v6, 0, 0
	v_cndmask_b32_e32 v41, 0x7fc0, v41, vcc_lo
	v_add_co_u32 v3, vcc_lo, s8, v38
	v_add_co_ci_u32_e32 v4, vcc_lo, s9, v39, vcc_lo
	s_delay_alu instid0(VALU_DEP_3)
	v_or3_b32 v5, 0, v40, v41
	global_store_b64 v[3:4], v[5:6], off
	global_store_b32 v11, v7, s[10:11]
	v_add_nc_u32_e32 v11, s12, v11
	v_mov_b32_e32 v3, v13
	s_waitcnt_vscnt null, 0x0
	s_barrier
	buffer_gl0_inv
	v_cmp_le_u32_e32 vcc_lo, s4, v11
	v_mov_b32_e32 v6, v3
	v_dual_mov_b32 v5, v2 :: v_dual_mov_b32 v4, v1
	v_mov_b32_e32 v3, v0
	s_or_b32 s3, vcc_lo, s3
	s_delay_alu instid0(SALU_CYCLE_1)
	s_and_not1_b32 exec_lo, exec_lo, s3
	s_cbranch_execz .LBB23_15
.LBB23_6:                               ; =>This Inner Loop Header: Depth=1
	v_add_co_u32 v15, vcc_lo, v15, 1
	s_delay_alu instid0(VALU_DEP_1) | instskip(SKIP_2) | instid1(VALU_DEP_1)
	v_cndmask_b32_e64 v0, 0, 1, vcc_lo
	v_add_co_ci_u32_e32 v16, vcc_lo, 0, v16, vcc_lo
	s_mov_b32 s0, exec_lo
	v_cmp_eq_u32_e32 vcc_lo, 0, v16
	s_delay_alu instid0(VALU_DEP_3) | instskip(NEXT) | instid1(VALU_DEP_1)
	v_cndmask_b32_e32 v0, 0, v0, vcc_lo
	v_add_nc_u32_e32 v10, v0, v10
	s_delay_alu instid0(VALU_DEP_1) | instskip(SKIP_2) | instid1(VALU_DEP_2)
	v_cmp_eq_u32_e32 vcc_lo, 0, v10
	v_mad_u64_u32 v[13:14], null, 0xcd9e8d57, v10, 0
	v_cndmask_b32_e32 v0, 0, v0, vcc_lo
	v_xor3_b32 v7, v14, v8, v16
	s_delay_alu instid0(VALU_DEP_2) | instskip(SKIP_1) | instid1(VALU_DEP_1)
	v_add_nc_u32_e32 v37, v0, v37
	v_mad_u64_u32 v[0:1], null, 0xd2511f53, v15, 0
	v_xor_b32_e32 v1, v1, v9
	s_delay_alu instid0(VALU_DEP_1) | instskip(SKIP_1) | instid1(VALU_DEP_2)
	v_xor_b32_e32 v14, v37, v1
	v_mad_u64_u32 v[1:2], null, 0xd2511f53, v7, 0
	v_mad_u64_u32 v[38:39], null, 0xcd9e8d57, v14, 0
	s_delay_alu instid0(VALU_DEP_2) | instskip(NEXT) | instid1(VALU_DEP_2)
	v_xor3_b32 v0, v17, v2, v0
	v_xor3_b32 v2, v18, v39, v13
	s_delay_alu instid0(VALU_DEP_2) | instskip(NEXT) | instid1(VALU_DEP_2)
	v_mad_u64_u32 v[13:14], null, 0xcd9e8d57, v0, 0
	v_mad_u64_u32 v[39:40], null, 0xd2511f53, v2, 0
	s_delay_alu instid0(VALU_DEP_2) | instskip(NEXT) | instid1(VALU_DEP_2)
	v_xor3_b32 v2, v19, v14, v38
	v_xor3_b32 v7, v20, v40, v1
	s_delay_alu instid0(VALU_DEP_2) | instskip(NEXT) | instid1(VALU_DEP_2)
	;; [unrolled: 6-line block ×8, first 2 shown]
	v_mad_u64_u32 v[13:14], null, 0xd2511f53, v0, 0
	v_mad_u64_u32 v[1:2], null, 0xcd9e8d57, v7, 0
	s_delay_alu instid0(VALU_DEP_2) | instskip(NEXT) | instid1(VALU_DEP_2)
	v_xor3_b32 v7, v14, v41, v34
	v_xor3_b32 v0, v2, v39, v33
	s_delay_alu instid0(VALU_DEP_2)
	v_mov_b32_e32 v2, v7
	v_cmpx_lt_i32_e32 1, v35
	s_xor_b32 s0, exec_lo, s0
	s_cbranch_execz .LBB23_12
; %bb.7:                                ;   in Loop: Header=BB23_6 Depth=1
	s_mov_b32 s1, exec_lo
	v_cmpx_lt_i32_e32 2, v35
	s_xor_b32 s1, exec_lo, s1
; %bb.8:                                ;   in Loop: Header=BB23_6 Depth=1
	v_dual_mov_b32 v4, v6 :: v_dual_mov_b32 v5, v0
	v_mov_b32_e32 v6, v1
	s_delay_alu instid0(VALU_DEP_2) | instskip(NEXT) | instid1(VALU_DEP_3)
	v_mov_b32_e32 v3, v4
	v_mov_b32_e32 v4, v5
	s_delay_alu instid0(VALU_DEP_3)
	v_mov_b32_e32 v5, v6
	v_mov_b32_e32 v6, v7
; %bb.9:                                ;   in Loop: Header=BB23_6 Depth=1
	s_and_not1_saveexec_b32 s1, s1
; %bb.10:                               ;   in Loop: Header=BB23_6 Depth=1
	s_delay_alu instid0(VALU_DEP_1)
	v_dual_mov_b32 v3, v5 :: v_dual_mov_b32 v4, v6
	v_dual_mov_b32 v5, v0 :: v_dual_mov_b32 v6, v1
; %bb.11:                               ;   in Loop: Header=BB23_6 Depth=1
	s_or_b32 exec_lo, exec_lo, s1
.LBB23_12:                              ;   in Loop: Header=BB23_6 Depth=1
	s_and_not1_saveexec_b32 s0, s0
	s_cbranch_execz .LBB23_5
; %bb.13:                               ;   in Loop: Header=BB23_6 Depth=1
	s_mov_b32 s1, exec_lo
	v_cmpx_eq_u32_e32 1, v35
	s_cbranch_execz .LBB23_4
; %bb.14:                               ;   in Loop: Header=BB23_6 Depth=1
	v_dual_mov_b32 v3, v4 :: v_dual_mov_b32 v4, v5
	v_dual_mov_b32 v5, v6 :: v_dual_mov_b32 v6, v0
	s_branch .LBB23_4
.LBB23_15:
	s_endpgm
	.section	.rodata,"a",@progbits
	.p2align	6, 0x0
	.amdhsa_kernel _ZN2at6native12_GLOBAL__N_124fused_dropout_kernel_vecIN3c108BFloat16EfjLi1ELi4EbEEvNS_4cuda6detail10TensorInfoIKT_T1_EENS7_IS8_SA_EENS7_IT4_SA_EESA_T0_NS_15PhiloxCudaStateE
		.amdhsa_group_segment_fixed_size 0
		.amdhsa_private_segment_fixed_size 0
		.amdhsa_kernarg_size 944
		.amdhsa_user_sgpr_count 15
		.amdhsa_user_sgpr_dispatch_ptr 0
		.amdhsa_user_sgpr_queue_ptr 0
		.amdhsa_user_sgpr_kernarg_segment_ptr 1
		.amdhsa_user_sgpr_dispatch_id 0
		.amdhsa_user_sgpr_private_segment_size 0
		.amdhsa_wavefront_size32 1
		.amdhsa_uses_dynamic_stack 0
		.amdhsa_enable_private_segment 0
		.amdhsa_system_sgpr_workgroup_id_x 1
		.amdhsa_system_sgpr_workgroup_id_y 0
		.amdhsa_system_sgpr_workgroup_id_z 0
		.amdhsa_system_sgpr_workgroup_info 0
		.amdhsa_system_vgpr_workitem_id 0
		.amdhsa_next_free_vgpr 46
		.amdhsa_next_free_sgpr 16
		.amdhsa_reserve_vcc 1
		.amdhsa_float_round_mode_32 0
		.amdhsa_float_round_mode_16_64 0
		.amdhsa_float_denorm_mode_32 3
		.amdhsa_float_denorm_mode_16_64 3
		.amdhsa_dx10_clamp 1
		.amdhsa_ieee_mode 1
		.amdhsa_fp16_overflow 0
		.amdhsa_workgroup_processor_mode 1
		.amdhsa_memory_ordered 1
		.amdhsa_forward_progress 0
		.amdhsa_shared_vgpr_count 0
		.amdhsa_exception_fp_ieee_invalid_op 0
		.amdhsa_exception_fp_denorm_src 0
		.amdhsa_exception_fp_ieee_div_zero 0
		.amdhsa_exception_fp_ieee_overflow 0
		.amdhsa_exception_fp_ieee_underflow 0
		.amdhsa_exception_fp_ieee_inexact 0
		.amdhsa_exception_int_div_zero 0
	.end_amdhsa_kernel
	.section	.text._ZN2at6native12_GLOBAL__N_124fused_dropout_kernel_vecIN3c108BFloat16EfjLi1ELi4EbEEvNS_4cuda6detail10TensorInfoIKT_T1_EENS7_IS8_SA_EENS7_IT4_SA_EESA_T0_NS_15PhiloxCudaStateE,"axG",@progbits,_ZN2at6native12_GLOBAL__N_124fused_dropout_kernel_vecIN3c108BFloat16EfjLi1ELi4EbEEvNS_4cuda6detail10TensorInfoIKT_T1_EENS7_IS8_SA_EENS7_IT4_SA_EESA_T0_NS_15PhiloxCudaStateE,comdat
.Lfunc_end23:
	.size	_ZN2at6native12_GLOBAL__N_124fused_dropout_kernel_vecIN3c108BFloat16EfjLi1ELi4EbEEvNS_4cuda6detail10TensorInfoIKT_T1_EENS7_IS8_SA_EENS7_IT4_SA_EESA_T0_NS_15PhiloxCudaStateE, .Lfunc_end23-_ZN2at6native12_GLOBAL__N_124fused_dropout_kernel_vecIN3c108BFloat16EfjLi1ELi4EbEEvNS_4cuda6detail10TensorInfoIKT_T1_EENS7_IS8_SA_EENS7_IT4_SA_EESA_T0_NS_15PhiloxCudaStateE
                                        ; -- End function
	.section	.AMDGPU.csdata,"",@progbits
; Kernel info:
; codeLenInByte = 2300
; NumSgprs: 18
; NumVgprs: 46
; ScratchSize: 0
; MemoryBound: 0
; FloatMode: 240
; IeeeMode: 1
; LDSByteSize: 0 bytes/workgroup (compile time only)
; SGPRBlocks: 2
; VGPRBlocks: 5
; NumSGPRsForWavesPerEU: 18
; NumVGPRsForWavesPerEU: 46
; Occupancy: 16
; WaveLimiterHint : 1
; COMPUTE_PGM_RSRC2:SCRATCH_EN: 0
; COMPUTE_PGM_RSRC2:USER_SGPR: 15
; COMPUTE_PGM_RSRC2:TRAP_HANDLER: 0
; COMPUTE_PGM_RSRC2:TGID_X_EN: 1
; COMPUTE_PGM_RSRC2:TGID_Y_EN: 0
; COMPUTE_PGM_RSRC2:TGID_Z_EN: 0
; COMPUTE_PGM_RSRC2:TIDIG_COMP_CNT: 0
	.section	.text._ZN2at6native12_GLOBAL__N_124fused_dropout_kernel_vecIN3c108BFloat16EfjLi1ELi2EbEEvNS_4cuda6detail10TensorInfoIKT_T1_EENS7_IS8_SA_EENS7_IT4_SA_EESA_T0_NS_15PhiloxCudaStateE,"axG",@progbits,_ZN2at6native12_GLOBAL__N_124fused_dropout_kernel_vecIN3c108BFloat16EfjLi1ELi2EbEEvNS_4cuda6detail10TensorInfoIKT_T1_EENS7_IS8_SA_EENS7_IT4_SA_EESA_T0_NS_15PhiloxCudaStateE,comdat
	.globl	_ZN2at6native12_GLOBAL__N_124fused_dropout_kernel_vecIN3c108BFloat16EfjLi1ELi2EbEEvNS_4cuda6detail10TensorInfoIKT_T1_EENS7_IS8_SA_EENS7_IT4_SA_EESA_T0_NS_15PhiloxCudaStateE ; -- Begin function _ZN2at6native12_GLOBAL__N_124fused_dropout_kernel_vecIN3c108BFloat16EfjLi1ELi2EbEEvNS_4cuda6detail10TensorInfoIKT_T1_EENS7_IS8_SA_EENS7_IT4_SA_EESA_T0_NS_15PhiloxCudaStateE
	.p2align	8
	.type	_ZN2at6native12_GLOBAL__N_124fused_dropout_kernel_vecIN3c108BFloat16EfjLi1ELi2EbEEvNS_4cuda6detail10TensorInfoIKT_T1_EENS7_IS8_SA_EENS7_IT4_SA_EESA_T0_NS_15PhiloxCudaStateE,@function
_ZN2at6native12_GLOBAL__N_124fused_dropout_kernel_vecIN3c108BFloat16EfjLi1ELi2EbEEvNS_4cuda6detail10TensorInfoIKT_T1_EENS7_IS8_SA_EENS7_IT4_SA_EESA_T0_NS_15PhiloxCudaStateE: ; @_ZN2at6native12_GLOBAL__N_124fused_dropout_kernel_vecIN3c108BFloat16EfjLi1ELi2EbEEvNS_4cuda6detail10TensorInfoIKT_T1_EENS7_IS8_SA_EENS7_IT4_SA_EESA_T0_NS_15PhiloxCudaStateE
; %bb.0:
	s_clause 0x1
	s_load_b128 s[4:7], s[0:1], 0x290
	s_load_b32 s2, s[0:1], 0x2a8
	s_waitcnt lgkmcnt(0)
	v_dual_mov_b32 v3, s6 :: v_dual_mov_b32 v4, s7
	v_dual_mov_b32 v9, s5 :: v_dual_mov_b32 v8, s4
	s_bitcmp0_b32 s2, 0
	s_cbranch_scc1 .LBB24_2
; %bb.1:
	v_dual_mov_b32 v1, s6 :: v_dual_mov_b32 v2, s7
	v_dual_mov_b32 v3, s4 :: v_dual_mov_b32 v4, s5
	s_load_b64 s[2:3], s[0:1], 0x2a0
	flat_load_b64 v[1:2], v[1:2]
	flat_load_b64 v[8:9], v[3:4]
	s_waitcnt vmcnt(1) lgkmcnt(0)
	v_add_co_u32 v3, vcc_lo, v1, s2
	v_add_co_ci_u32_e32 v4, vcc_lo, s3, v2, vcc_lo
.LBB24_2:
	s_clause 0x1
	s_load_b32 s6, s[0:1], 0x2bc
	s_load_b64 s[2:3], s[0:1], 0x288
	s_add_u32 s4, s0, 0x2b0
	s_addc_u32 s5, s1, 0
	s_waitcnt lgkmcnt(0)
	s_and_b32 s10, s6, 0xffff
	s_mov_b32 s6, exec_lo
	v_mad_u64_u32 v[10:11], null, s15, s10, v[0:1]
	s_delay_alu instid0(VALU_DEP_1) | instskip(NEXT) | instid1(VALU_DEP_1)
	v_lshlrev_b32_e32 v11, 1, v10
	v_cmpx_gt_u32_e64 s2, v11
	s_cbranch_execz .LBB24_15
; %bb.3:
	v_mad_u64_u32 v[0:1], null, 0xcd9e8d57, v10, 0
	v_alignbit_b32 v15, v4, v3, 2
	v_lshrrev_b32_e32 v16, 2, v4
	s_waitcnt vmcnt(0)
	v_mov_b32_e32 v32, v9
	v_add_co_u32 v18, null, 0x9e3779b9, v8
	v_mad_u64_u32 v[4:5], null, 0xd2511f53, v15, 0
	v_xor3_b32 v6, v8, v1, v16
	s_delay_alu instid0(VALU_DEP_4) | instskip(SKIP_1) | instid1(VALU_DEP_3)
	v_add_co_u32 v17, null, 0xbb67ae85, v32
	v_add_co_u32 v19, null, 0x3c6ef372, v8
	v_mad_u64_u32 v[1:2], null, 0xd2511f53, v6, 0
	v_xor_b32_e32 v7, v5, v9
	v_add_co_u32 v20, null, 0x76cf5d0a, v32
	v_add_co_u32 v21, null, 0x32370b8f, v32
	s_delay_alu instid0(VALU_DEP_3) | instskip(SKIP_3) | instid1(VALU_DEP_3)
	v_mad_u64_u32 v[5:6], null, 0xcd9e8d57, v7, 0
	v_xor3_b32 v2, v17, v2, v4
	v_add_co_u32 v22, null, 0xdaa66d2b, v8
	v_add_co_u32 v23, null, 0x78dde6e4, v8
	v_mad_u64_u32 v[12:13], null, 0xcd9e8d57, v2, 0
	v_xor3_b32 v0, v6, v18, v0
	v_add_co_u32 v24, null, 0xed9eba14, v32
	v_add_co_u32 v25, null, 0xa9066899, v32
	s_delay_alu instid0(VALU_DEP_3) | instskip(SKIP_3) | instid1(VALU_DEP_3)
	v_mad_u64_u32 v[6:7], null, 0xd2511f53, v0, 0
	v_xor3_b32 v0, v19, v13, v5
	v_add_co_u32 v26, null, 0x1715609d, v8
	v_add_co_u32 v27, null, 0xb54cda56, v8
	v_mad_u64_u32 v[4:5], null, 0xd2511f53, v0, 0
	v_xor3_b32 v2, v7, v20, v1
	v_add_co_u32 v28, null, 0x646e171e, v32
	v_div_scale_f32 v33, null, s3, s3, 1.0
	s_delay_alu instid0(VALU_DEP_3) | instskip(SKIP_2) | instid1(VALU_DEP_4)
	v_mad_u64_u32 v[0:1], null, 0xcd9e8d57, v2, 0
	v_xor3_b32 v2, v21, v5, v6
	v_add_co_u32 v29, null, 0x1fd5c5a3, v32
	v_rcp_f32_e32 v34, v33
	v_add_co_u32 v30, null, 0x5384540f, v8
	s_delay_alu instid0(VALU_DEP_3) | instskip(SKIP_3) | instid1(VALU_DEP_3)
	v_mad_u64_u32 v[5:6], null, 0xcd9e8d57, v2, 0
	v_xor3_b32 v7, v1, v22, v12
	v_add_co_u32 v31, null, 0xf1bbcdc8, v8
	v_div_scale_f32 v35, vcc_lo, 1.0, s3, 1.0
	v_mad_u64_u32 v[1:2], null, 0xd2511f53, v7, 0
	v_xor3_b32 v0, v23, v6, v0
	s_load_b32 s11, s[4:5], 0x0
	s_clause 0x2
	s_load_b64 s[4:5], s[0:1], 0x0
	s_load_b64 s[6:7], s[0:1], 0xd8
	s_load_b64 s[8:9], s[0:1], 0x1b0
	s_mov_b32 s1, 0
	v_mad_u64_u32 v[6:7], null, 0xd2511f53, v0, 0
	v_xor3_b32 v0, v2, v24, v4
	s_delay_alu instid0(VALU_DEP_1) | instskip(NEXT) | instid1(VALU_DEP_3)
	v_mad_u64_u32 v[12:13], null, 0xcd9e8d57, v0, 0
	v_xor3_b32 v2, v25, v7, v1
	s_delay_alu instid0(VALU_DEP_1) | instskip(NEXT) | instid1(VALU_DEP_3)
	v_mad_u64_u32 v[0:1], null, 0xcd9e8d57, v2, 0
	v_xor3_b32 v2, v13, v26, v5
	s_waitcnt lgkmcnt(0)
	s_mul_i32 s11, s11, s10
	s_delay_alu instid0(SALU_CYCLE_1) | instskip(NEXT) | instid1(VALU_DEP_1)
	s_lshl_b32 s10, s11, 1
	v_mad_u64_u32 v[4:5], null, 0xd2511f53, v2, 0
	s_delay_alu instid0(VALU_DEP_3) | instskip(SKIP_1) | instid1(VALU_DEP_2)
	v_xor3_b32 v7, v27, v1, v12
	v_fma_f32 v12, -v33, v34, 1.0
	v_mad_u64_u32 v[1:2], null, 0xd2511f53, v7, 0
	s_delay_alu instid0(VALU_DEP_4) | instskip(NEXT) | instid1(VALU_DEP_3)
	v_xor3_b32 v7, v5, v28, v6
	v_fmac_f32_e32 v34, v12, v34
	s_delay_alu instid0(VALU_DEP_2) | instskip(NEXT) | instid1(VALU_DEP_4)
	v_mad_u64_u32 v[5:6], null, 0xcd9e8d57, v7, 0
	v_xor3_b32 v2, v29, v2, v4
	s_delay_alu instid0(VALU_DEP_1) | instskip(NEXT) | instid1(VALU_DEP_3)
	v_mad_u64_u32 v[13:14], null, 0xcd9e8d57, v2, 0
	v_xor3_b32 v0, v6, v30, v0
	s_delay_alu instid0(VALU_DEP_1) | instskip(NEXT) | instid1(VALU_DEP_3)
	v_mad_u64_u32 v[6:7], null, 0xd2511f53, v0, 0
	v_xor3_b32 v0, v31, v14, v5
	s_delay_alu instid0(VALU_DEP_1) | instskip(SKIP_1) | instid1(VALU_DEP_1)
	v_mad_u64_u32 v[4:5], null, 0xd2511f53, v0, 0
	v_mul_f32_e32 v12, v35, v34
	v_fma_f32 v2, -v33, v12, v35
	s_delay_alu instid0(VALU_DEP_1) | instskip(NEXT) | instid1(VALU_DEP_1)
	v_fmac_f32_e32 v12, v2, v34
	v_fma_f32 v14, -v33, v12, v35
	v_add_nc_u32_e32 v33, 0x8ff34781, v8
	v_add_co_u32 v32, null, 0xdb3d7428, v32
	v_and_b32_e32 v35, 3, v3
	v_mov_b32_e32 v3, v4
	v_div_fmas_f32 v0, v14, v34, v12
	s_delay_alu instid0(VALU_DEP_4) | instskip(SKIP_2) | instid1(VALU_DEP_4)
	v_xor3_b32 v7, v7, v32, v1
	v_mov_b32_e32 v12, 0
	v_add_nc_u32_e32 v34, 0x96a522ad, v9
	v_div_fixup_f32 v36, v0, s3, 1.0
	s_delay_alu instid0(VALU_DEP_4) | instskip(NEXT) | instid1(VALU_DEP_4)
	v_mad_u64_u32 v[1:2], null, 0xcd9e8d57, v7, 0
	v_mov_b32_e32 v37, v12
	s_delay_alu instid0(VALU_DEP_2)
	v_xor3_b32 v0, v13, v2, v33
	v_xor3_b32 v2, v5, v6, v34
	s_branch .LBB24_6
.LBB24_4:                               ;   in Loop: Header=BB24_6 Depth=1
	s_or_b32 exec_lo, exec_lo, s11
.LBB24_5:                               ;   in Loop: Header=BB24_6 Depth=1
	s_delay_alu instid0(SALU_CYCLE_1) | instskip(SKIP_3) | instid1(VALU_DEP_1)
	s_or_b32 exec_lo, exec_lo, s0
	v_lshlrev_b64 v[2:3], 1, v[11:12]
	v_cvt_f32_u32_e32 v1, v1
	v_cvt_f32_u32_e32 v0, v0
	v_dual_fmaak_f32 v1, 0x2f800000, v1, 0x2f800000 :: v_dual_fmaak_f32 v0, 0x2f800000, v0, 0x2f800000
	s_delay_alu instid0(VALU_DEP_4) | instskip(SKIP_1) | instid1(VALU_DEP_3)
	v_add_co_u32 v38, vcc_lo, s4, v2
	v_add_co_ci_u32_e32 v39, vcc_lo, s5, v3, vcc_lo
	v_cmp_gt_f32_e32 vcc_lo, s3, v1
	s_delay_alu instid0(VALU_DEP_4)
	v_cmp_gt_f32_e64 s0, s3, v0
	global_load_b32 v7, v[38:39], off
	v_cndmask_b32_e64 v1, 0, 1.0, vcc_lo
	v_cndmask_b32_e64 v0, 0, 1.0, s0
	v_cndmask_b32_e64 v38, 0, 1, vcc_lo
	v_cndmask_b32_e64 v39, 0, 1, s0
	s_delay_alu instid0(VALU_DEP_2) | instskip(SKIP_3) | instid1(VALU_DEP_1)
	v_lshlrev_b16 v38, 8, v38
	s_waitcnt vmcnt(0)
	v_and_b32_e32 v14, 0xffff0000, v7
	v_lshlrev_b32_e32 v7, 16, v7
	v_dual_mul_f32 v1, v1, v14 :: v_dual_mul_f32 v0, v0, v7
	s_delay_alu instid0(VALU_DEP_1) | instskip(NEXT) | instid1(VALU_DEP_2)
	v_mul_f32_e32 v1, v36, v1
	v_mul_f32_e32 v0, v36, v0
	s_delay_alu instid0(VALU_DEP_2) | instskip(NEXT) | instid1(VALU_DEP_2)
	v_bfe_u32 v7, v1, 16, 1
	v_bfe_u32 v14, v0, 16, 1
	v_cmp_o_f32_e32 vcc_lo, v1, v1
	s_delay_alu instid0(VALU_DEP_3) | instskip(NEXT) | instid1(VALU_DEP_3)
	v_add3_u32 v7, v1, v7, 0x7fff
	v_add3_u32 v14, v0, v14, 0x7fff
	s_delay_alu instid0(VALU_DEP_2) | instskip(NEXT) | instid1(VALU_DEP_2)
	v_and_b32_e32 v7, 0xffff0000, v7
	v_lshrrev_b32_e32 v14, 16, v14
	s_delay_alu instid0(VALU_DEP_2) | instskip(SKIP_1) | instid1(VALU_DEP_3)
	v_cndmask_b32_e32 v7, 0x7fc00000, v7, vcc_lo
	v_cmp_o_f32_e32 vcc_lo, v0, v0
	v_cndmask_b32_e32 v14, 0x7fc0, v14, vcc_lo
	v_add_co_u32 v0, vcc_lo, s6, v2
	v_add_co_ci_u32_e32 v1, vcc_lo, s7, v3, vcc_lo
	s_delay_alu instid0(VALU_DEP_3)
	v_or_b32_e32 v2, v7, v14
	v_mov_b32_e32 v7, v13
	v_or_b32_e32 v3, v39, v38
	global_store_b32 v[0:1], v2, off
	global_store_b16 v11, v3, s[8:9]
	v_dual_mov_b32 v0, v4 :: v_dual_add_nc_u32 v11, s10, v11
	v_dual_mov_b32 v1, v5 :: v_dual_mov_b32 v2, v6
	v_mov_b32_e32 v3, v7
	s_delay_alu instid0(VALU_DEP_3) | instskip(SKIP_4) | instid1(SALU_CYCLE_1)
	v_cmp_le_u32_e32 vcc_lo, s2, v11
	s_waitcnt_vscnt null, 0x0
	s_barrier
	buffer_gl0_inv
	s_or_b32 s1, vcc_lo, s1
	s_and_not1_b32 exec_lo, exec_lo, s1
	s_cbranch_execz .LBB24_15
.LBB24_6:                               ; =>This Inner Loop Header: Depth=1
	v_add_co_u32 v15, vcc_lo, v15, 1
	s_delay_alu instid0(VALU_DEP_1) | instskip(SKIP_2) | instid1(VALU_DEP_1)
	v_cndmask_b32_e64 v4, 0, 1, vcc_lo
	v_add_co_ci_u32_e32 v16, vcc_lo, 0, v16, vcc_lo
	s_mov_b32 s0, exec_lo
	v_cmp_eq_u32_e32 vcc_lo, 0, v16
	s_delay_alu instid0(VALU_DEP_3) | instskip(NEXT) | instid1(VALU_DEP_1)
	v_cndmask_b32_e32 v4, 0, v4, vcc_lo
	v_add_nc_u32_e32 v10, v4, v10
	s_delay_alu instid0(VALU_DEP_1) | instskip(SKIP_2) | instid1(VALU_DEP_2)
	v_cmp_eq_u32_e32 vcc_lo, 0, v10
	v_mad_u64_u32 v[6:7], null, 0xcd9e8d57, v10, 0
	v_cndmask_b32_e32 v4, 0, v4, vcc_lo
	v_xor3_b32 v7, v7, v8, v16
	s_delay_alu instid0(VALU_DEP_2) | instskip(SKIP_1) | instid1(VALU_DEP_3)
	v_add_nc_u32_e32 v37, v4, v37
	v_mad_u64_u32 v[4:5], null, 0xd2511f53, v15, 0
	v_mad_u64_u32 v[38:39], null, 0xd2511f53, v7, 0
	s_delay_alu instid0(VALU_DEP_2) | instskip(NEXT) | instid1(VALU_DEP_1)
	v_xor_b32_e32 v5, v5, v9
	v_xor_b32_e32 v5, v37, v5
	s_delay_alu instid0(VALU_DEP_1) | instskip(NEXT) | instid1(VALU_DEP_1)
	v_mad_u64_u32 v[13:14], null, 0xcd9e8d57, v5, 0
	v_xor3_b32 v6, v18, v14, v6
	v_xor3_b32 v14, v17, v39, v4
	s_delay_alu instid0(VALU_DEP_2) | instskip(NEXT) | instid1(VALU_DEP_2)
	v_mad_u64_u32 v[4:5], null, 0xd2511f53, v6, 0
	v_mad_u64_u32 v[6:7], null, 0xcd9e8d57, v14, 0
	s_delay_alu instid0(VALU_DEP_2) | instskip(NEXT) | instid1(VALU_DEP_2)
	v_xor3_b32 v5, v20, v5, v38
	v_xor3_b32 v7, v19, v7, v13
	s_delay_alu instid0(VALU_DEP_2) | instskip(NEXT) | instid1(VALU_DEP_2)
	v_mad_u64_u32 v[13:14], null, 0xcd9e8d57, v5, 0
	v_mad_u64_u32 v[38:39], null, 0xd2511f53, v7, 0
	s_delay_alu instid0(VALU_DEP_2) | instskip(NEXT) | instid1(VALU_DEP_2)
	;; [unrolled: 6-line block ×8, first 2 shown]
	v_xor3_b32 v4, v6, v4, v33
	v_xor3_b32 v6, v14, v39, v34
	v_cmpx_lt_i32_e32 1, v35
	s_xor_b32 s0, exec_lo, s0
	s_cbranch_execz .LBB24_12
; %bb.7:                                ;   in Loop: Header=BB24_6 Depth=1
	s_mov_b32 s11, exec_lo
	v_cmpx_lt_i32_e32 2, v35
	s_xor_b32 s11, exec_lo, s11
; %bb.8:                                ;   in Loop: Header=BB24_6 Depth=1
	v_dual_mov_b32 v0, v3 :: v_dual_mov_b32 v1, v4
; %bb.9:                                ;   in Loop: Header=BB24_6 Depth=1
	s_and_not1_saveexec_b32 s11, s11
; %bb.10:                               ;   in Loop: Header=BB24_6 Depth=1
	v_dual_mov_b32 v0, v2 :: v_dual_mov_b32 v1, v3
; %bb.11:                               ;   in Loop: Header=BB24_6 Depth=1
	s_or_b32 exec_lo, exec_lo, s11
.LBB24_12:                              ;   in Loop: Header=BB24_6 Depth=1
	s_and_not1_saveexec_b32 s0, s0
	s_cbranch_execz .LBB24_5
; %bb.13:                               ;   in Loop: Header=BB24_6 Depth=1
	s_mov_b32 s11, exec_lo
	v_cmpx_eq_u32_e32 1, v35
	s_cbranch_execz .LBB24_4
; %bb.14:                               ;   in Loop: Header=BB24_6 Depth=1
	v_dual_mov_b32 v0, v1 :: v_dual_mov_b32 v1, v2
	s_branch .LBB24_4
.LBB24_15:
	s_endpgm
	.section	.rodata,"a",@progbits
	.p2align	6, 0x0
	.amdhsa_kernel _ZN2at6native12_GLOBAL__N_124fused_dropout_kernel_vecIN3c108BFloat16EfjLi1ELi2EbEEvNS_4cuda6detail10TensorInfoIKT_T1_EENS7_IS8_SA_EENS7_IT4_SA_EESA_T0_NS_15PhiloxCudaStateE
		.amdhsa_group_segment_fixed_size 0
		.amdhsa_private_segment_fixed_size 0
		.amdhsa_kernarg_size 944
		.amdhsa_user_sgpr_count 15
		.amdhsa_user_sgpr_dispatch_ptr 0
		.amdhsa_user_sgpr_queue_ptr 0
		.amdhsa_user_sgpr_kernarg_segment_ptr 1
		.amdhsa_user_sgpr_dispatch_id 0
		.amdhsa_user_sgpr_private_segment_size 0
		.amdhsa_wavefront_size32 1
		.amdhsa_uses_dynamic_stack 0
		.amdhsa_enable_private_segment 0
		.amdhsa_system_sgpr_workgroup_id_x 1
		.amdhsa_system_sgpr_workgroup_id_y 0
		.amdhsa_system_sgpr_workgroup_id_z 0
		.amdhsa_system_sgpr_workgroup_info 0
		.amdhsa_system_vgpr_workitem_id 0
		.amdhsa_next_free_vgpr 41
		.amdhsa_next_free_sgpr 16
		.amdhsa_reserve_vcc 1
		.amdhsa_float_round_mode_32 0
		.amdhsa_float_round_mode_16_64 0
		.amdhsa_float_denorm_mode_32 3
		.amdhsa_float_denorm_mode_16_64 3
		.amdhsa_dx10_clamp 1
		.amdhsa_ieee_mode 1
		.amdhsa_fp16_overflow 0
		.amdhsa_workgroup_processor_mode 1
		.amdhsa_memory_ordered 1
		.amdhsa_forward_progress 0
		.amdhsa_shared_vgpr_count 0
		.amdhsa_exception_fp_ieee_invalid_op 0
		.amdhsa_exception_fp_denorm_src 0
		.amdhsa_exception_fp_ieee_div_zero 0
		.amdhsa_exception_fp_ieee_overflow 0
		.amdhsa_exception_fp_ieee_underflow 0
		.amdhsa_exception_fp_ieee_inexact 0
		.amdhsa_exception_int_div_zero 0
	.end_amdhsa_kernel
	.section	.text._ZN2at6native12_GLOBAL__N_124fused_dropout_kernel_vecIN3c108BFloat16EfjLi1ELi2EbEEvNS_4cuda6detail10TensorInfoIKT_T1_EENS7_IS8_SA_EENS7_IT4_SA_EESA_T0_NS_15PhiloxCudaStateE,"axG",@progbits,_ZN2at6native12_GLOBAL__N_124fused_dropout_kernel_vecIN3c108BFloat16EfjLi1ELi2EbEEvNS_4cuda6detail10TensorInfoIKT_T1_EENS7_IS8_SA_EENS7_IT4_SA_EESA_T0_NS_15PhiloxCudaStateE,comdat
.Lfunc_end24:
	.size	_ZN2at6native12_GLOBAL__N_124fused_dropout_kernel_vecIN3c108BFloat16EfjLi1ELi2EbEEvNS_4cuda6detail10TensorInfoIKT_T1_EENS7_IS8_SA_EENS7_IT4_SA_EESA_T0_NS_15PhiloxCudaStateE, .Lfunc_end24-_ZN2at6native12_GLOBAL__N_124fused_dropout_kernel_vecIN3c108BFloat16EfjLi1ELi2EbEEvNS_4cuda6detail10TensorInfoIKT_T1_EENS7_IS8_SA_EENS7_IT4_SA_EESA_T0_NS_15PhiloxCudaStateE
                                        ; -- End function
	.section	.AMDGPU.csdata,"",@progbits
; Kernel info:
; codeLenInByte = 1992
; NumSgprs: 18
; NumVgprs: 41
; ScratchSize: 0
; MemoryBound: 0
; FloatMode: 240
; IeeeMode: 1
; LDSByteSize: 0 bytes/workgroup (compile time only)
; SGPRBlocks: 2
; VGPRBlocks: 5
; NumSGPRsForWavesPerEU: 18
; NumVGPRsForWavesPerEU: 41
; Occupancy: 16
; WaveLimiterHint : 1
; COMPUTE_PGM_RSRC2:SCRATCH_EN: 0
; COMPUTE_PGM_RSRC2:USER_SGPR: 15
; COMPUTE_PGM_RSRC2:TRAP_HANDLER: 0
; COMPUTE_PGM_RSRC2:TGID_X_EN: 1
; COMPUTE_PGM_RSRC2:TGID_Y_EN: 0
; COMPUTE_PGM_RSRC2:TGID_Z_EN: 0
; COMPUTE_PGM_RSRC2:TIDIG_COMP_CNT: 0
	.section	.text._ZN2at6native12_GLOBAL__N_120fused_dropout_kernelIN3c108BFloat16EfjLi1ELi1EbEEvNS_4cuda6detail10TensorInfoIKT_T1_EENS7_IS8_SA_EENS7_IT4_SA_EESA_T0_NS_15PhiloxCudaStateE,"axG",@progbits,_ZN2at6native12_GLOBAL__N_120fused_dropout_kernelIN3c108BFloat16EfjLi1ELi1EbEEvNS_4cuda6detail10TensorInfoIKT_T1_EENS7_IS8_SA_EENS7_IT4_SA_EESA_T0_NS_15PhiloxCudaStateE,comdat
	.globl	_ZN2at6native12_GLOBAL__N_120fused_dropout_kernelIN3c108BFloat16EfjLi1ELi1EbEEvNS_4cuda6detail10TensorInfoIKT_T1_EENS7_IS8_SA_EENS7_IT4_SA_EESA_T0_NS_15PhiloxCudaStateE ; -- Begin function _ZN2at6native12_GLOBAL__N_120fused_dropout_kernelIN3c108BFloat16EfjLi1ELi1EbEEvNS_4cuda6detail10TensorInfoIKT_T1_EENS7_IS8_SA_EENS7_IT4_SA_EESA_T0_NS_15PhiloxCudaStateE
	.p2align	8
	.type	_ZN2at6native12_GLOBAL__N_120fused_dropout_kernelIN3c108BFloat16EfjLi1ELi1EbEEvNS_4cuda6detail10TensorInfoIKT_T1_EENS7_IS8_SA_EENS7_IT4_SA_EESA_T0_NS_15PhiloxCudaStateE,@function
_ZN2at6native12_GLOBAL__N_120fused_dropout_kernelIN3c108BFloat16EfjLi1ELi1EbEEvNS_4cuda6detail10TensorInfoIKT_T1_EENS7_IS8_SA_EENS7_IT4_SA_EESA_T0_NS_15PhiloxCudaStateE: ; @_ZN2at6native12_GLOBAL__N_120fused_dropout_kernelIN3c108BFloat16EfjLi1ELi1EbEEvNS_4cuda6detail10TensorInfoIKT_T1_EENS7_IS8_SA_EENS7_IT4_SA_EESA_T0_NS_15PhiloxCudaStateE
; %bb.0:
	s_clause 0x1
	s_load_b128 s[4:7], s[0:1], 0x290
	s_load_b32 s2, s[0:1], 0x2a8
	s_waitcnt lgkmcnt(0)
	v_dual_mov_b32 v1, s6 :: v_dual_mov_b32 v2, s7
	v_dual_mov_b32 v13, s5 :: v_dual_mov_b32 v12, s4
	s_bitcmp0_b32 s2, 0
	s_cbranch_scc1 .LBB25_2
; %bb.1:
	v_dual_mov_b32 v1, s6 :: v_dual_mov_b32 v2, s7
	v_dual_mov_b32 v3, s4 :: v_dual_mov_b32 v4, s5
	s_load_b64 s[2:3], s[0:1], 0x2a0
	flat_load_b64 v[1:2], v[1:2]
	flat_load_b64 v[12:13], v[3:4]
	s_waitcnt vmcnt(1) lgkmcnt(0)
	v_add_co_u32 v1, vcc_lo, v1, s2
	v_add_co_ci_u32_e32 v2, vcc_lo, s3, v2, vcc_lo
.LBB25_2:
	s_clause 0x1
	s_load_b32 s2, s[0:1], 0x2bc
	s_load_b32 s3, s[0:1], 0x2b0
	s_waitcnt lgkmcnt(0)
	s_and_b32 s2, s2, 0xffff
	s_delay_alu instid0(SALU_CYCLE_1)
	s_mul_i32 s4, s3, s2
	s_mul_i32 s13, s15, s2
	s_lshl_b32 s12, s4, 2
	s_load_b64 s[4:5], s[0:1], 0x288
	v_cvt_f32_u32_e32 v3, s12
	s_sub_i32 s7, 0, s12
	v_add_nc_u32_e32 v18, s13, v0
	s_delay_alu instid0(VALU_DEP_2) | instskip(SKIP_4) | instid1(VALU_DEP_1)
	v_rcp_iflag_f32_e32 v3, v3
	s_waitcnt_depctr 0xfff
	v_mul_f32_e32 v3, 0x4f7ffffe, v3
	s_waitcnt lgkmcnt(0)
	s_add_i32 s8, s4, -1
	v_cvt_u32_f32_e32 v3, v3
	s_delay_alu instid0(VALU_DEP_1) | instskip(NEXT) | instid1(VALU_DEP_1)
	v_readfirstlane_b32 s6, v3
	s_mul_i32 s7, s7, s6
	s_delay_alu instid0(SALU_CYCLE_1) | instskip(NEXT) | instid1(SALU_CYCLE_1)
	s_mul_hi_u32 s7, s6, s7
	s_add_i32 s6, s6, s7
	s_delay_alu instid0(SALU_CYCLE_1) | instskip(NEXT) | instid1(SALU_CYCLE_1)
	s_mul_hi_u32 s6, s8, s6
	s_mul_i32 s7, s6, s12
	s_delay_alu instid0(SALU_CYCLE_1)
	s_sub_i32 s7, s8, s7
	s_add_i32 s8, s6, 1
	s_sub_i32 s9, s7, s12
	s_cmp_ge_u32 s7, s12
	s_cselect_b32 s6, s8, s6
	s_cselect_b32 s7, s9, s7
	s_add_i32 s8, s6, 1
	s_cmp_ge_u32 s7, s12
	s_cselect_b32 s6, s8, s6
	s_delay_alu instid0(SALU_CYCLE_1) | instskip(NEXT) | instid1(SALU_CYCLE_1)
	s_add_i32 s6, s6, 1
	s_mul_i32 s14, s12, s6
	s_mov_b32 s6, exec_lo
	v_cmpx_gt_u32_e64 s14, v18
	s_cbranch_execz .LBB25_31
; %bb.3:
	v_alignbit_b32 v19, v2, v1, 2
	v_mad_u64_u32 v[3:4], null, 0xcd9e8d57, v18, 0
	v_lshrrev_b32_e32 v20, 2, v2
	s_waitcnt vmcnt(0)
	v_dual_mov_b32 v10, v13 :: v_dual_mov_b32 v15, 0
	v_mad_u64_u32 v[5:6], null, 0xd2511f53, v19, 0
	v_add_co_u32 v22, null, 0x9e3779b9, v12
	v_xor3_b32 v2, v12, v4, v20
	s_delay_alu instid0(VALU_DEP_4) | instskip(SKIP_2) | instid1(VALU_DEP_4)
	v_add_co_u32 v21, null, 0xbb67ae85, v10
	v_add_co_u32 v23, null, 0x3c6ef372, v12
	v_xor_b32_e32 v4, v6, v13
	v_mad_u64_u32 v[6:7], null, 0xd2511f53, v2, 0
	v_add_co_u32 v24, null, 0x76cf5d0a, v10
	s_delay_alu instid0(VALU_DEP_3) | instskip(SKIP_1) | instid1(VALU_DEP_4)
	v_mad_u64_u32 v[8:9], null, 0xcd9e8d57, v4, 0
	v_add_co_u32 v25, null, 0x32370b8f, v10
	v_xor3_b32 v4, v21, v7, v5
	v_add_co_u32 v26, null, 0xdaa66d2b, v12
	v_add_co_u32 v27, null, 0x78dde6e4, v12
	v_xor3_b32 v7, v9, v22, v3
	s_delay_alu instid0(VALU_DEP_4) | instskip(SKIP_1) | instid1(VALU_DEP_3)
	v_mad_u64_u32 v[2:3], null, 0xcd9e8d57, v4, 0
	v_add_co_u32 v28, null, 0xed9eba14, v10
	v_mad_u64_u32 v[4:5], null, 0xd2511f53, v7, 0
	v_and_b32_e32 v29, 3, v1
	v_add_co_u32 v32, null, 0xa9066899, v10
	v_xor3_b32 v3, v23, v3, v8
	v_add_co_u32 v33, null, 0x1715609d, v12
	v_xor3_b32 v9, v5, v24, v6
	v_add_co_u32 v34, null, 0xb54cda56, v12
	s_delay_alu instid0(VALU_DEP_4) | instskip(NEXT) | instid1(VALU_DEP_3)
	v_mad_u64_u32 v[5:6], null, 0xd2511f53, v3, 0
	v_mad_u64_u32 v[7:8], null, 0xcd9e8d57, v9, 0
	v_add_co_u32 v36, null, 0x646e171e, v10
	v_add_co_u32 v35, null, 0x5384540f, v12
	s_delay_alu instid0(VALU_DEP_4) | instskip(SKIP_3) | instid1(VALU_DEP_4)
	v_xor3_b32 v4, v25, v6, v4
	v_add_co_u32 v38, null, 0x1fd5c5a3, v10
	v_xor3_b32 v6, v8, v26, v2
	v_div_scale_f32 v11, vcc_lo, 1.0, s5, 1.0
	v_mad_u64_u32 v[2:3], null, 0xcd9e8d57, v4, 0
	s_delay_alu instid0(VALU_DEP_3) | instskip(SKIP_3) | instid1(VALU_DEP_4)
	v_mad_u64_u32 v[8:9], null, 0xd2511f53, v6, 0
	s_mul_i32 s17, s3, 3
	v_add_co_u32 v37, null, 0xf1bbcdc8, v12
	v_add_co_u32 v39, null, 0xdb3d7428, v10
	v_xor3_b32 v1, v27, v3, v7
	s_delay_alu instid0(VALU_DEP_4) | instskip(SKIP_2) | instid1(VALU_DEP_3)
	v_xor3_b32 v7, v9, v28, v5
	v_div_scale_f32 v9, null, s5, s5, 1.0
	s_add_i32 s18, s15, s17
	v_mad_u64_u32 v[3:4], null, 0xd2511f53, v1, 0
	s_delay_alu instid0(VALU_DEP_3) | instskip(NEXT) | instid1(VALU_DEP_3)
	v_mad_u64_u32 v[5:6], null, 0xcd9e8d57, v7, 0
	v_rcp_f32_e32 v14, v9
	s_clause 0x2
	s_load_b64 s[6:7], s[0:1], 0x0
	s_load_b32 s19, s[0:1], 0x144
	s_load_b64 s[8:9], s[0:1], 0x1b0
	s_delay_alu instid0(VALU_DEP_2)
	v_xor3_b32 v4, v32, v4, v8
	s_clause 0x1
	s_load_b64 s[10:11], s[0:1], 0xd8
	s_load_b32 s0, s[0:1], 0x6c
	v_xor3_b32 v8, v6, v33, v2
	s_mul_i32 s18, s18, s2
	s_lshl_b32 s1, s3, 1
	v_mad_u64_u32 v[1:2], null, 0xcd9e8d57, v4, 0
	s_delay_alu instid0(VALU_DEP_2)
	v_mad_u64_u32 v[6:7], null, 0xd2511f53, v8, 0
	s_waitcnt_depctr 0xfff
	v_fma_f32 v4, -v9, v14, 1.0
	v_dual_mov_b32 v49, 0 :: v_dual_add_nc_u32 v30, 0x8ff34781, v12
	s_add_i32 s1, s15, s1
	v_xor3_b32 v5, v34, v2, v5
	s_delay_alu instid0(VALU_DEP_3)
	v_fmac_f32_e32 v14, v4, v14
	v_xor3_b32 v7, v7, v36, v3
	v_add_nc_u32_e32 v31, 0x96a522ad, v13
	s_add_i32 s15, s15, s3
	v_mad_u64_u32 v[2:3], null, 0xd2511f53, v5, 0
	v_mul_f32_e32 v16, v11, v14
	v_mad_u64_u32 v[4:5], null, 0xcd9e8d57, v7, 0
	s_mul_i32 s17, s1, s2
	s_mul_i32 s15, s15, s2
	s_delay_alu instid0(VALU_DEP_2) | instskip(NEXT) | instid1(VALU_DEP_4)
	v_fma_f32 v17, -v9, v16, v11
	v_xor3_b32 v3, v38, v3, v6
	s_waitcnt lgkmcnt(0)
	v_mul_lo_u32 v40, s19, v18
	v_mul_lo_u32 v41, s0, v18
	v_xor3_b32 v1, v5, v35, v1
	v_fmac_f32_e32 v16, v17, v14
	v_mad_u64_u32 v[5:6], null, 0xcd9e8d57, v3, 0
	s_mul_i32 s1, s3, s19
	s_delay_alu instid0(VALU_DEP_3) | instskip(NEXT) | instid1(VALU_DEP_3)
	v_mad_u64_u32 v[7:8], null, 0xd2511f53, v1, 0
	v_fma_f32 v10, -v9, v16, v11
	s_mul_i32 s3, s3, s0
	s_mul_i32 s1, s1, s2
	s_delay_alu instid0(VALU_DEP_3) | instskip(SKIP_2) | instid1(VALU_DEP_4)
	v_xor3_b32 v1, v37, v6, v4
	v_add_nc_u32_e32 v6, s17, v0
	s_mul_i32 s3, s3, s2
	v_xor3_b32 v4, v8, v39, v2
	s_mov_b32 s16, 0
	v_mad_u64_u32 v[8:9], null, 0xd2511f53, v1, 0
	v_div_fmas_f32 v1, v10, v14, v16
	s_delay_alu instid0(VALU_DEP_3) | instskip(SKIP_2) | instid1(VALU_DEP_4)
	v_mad_u64_u32 v[2:3], null, 0xcd9e8d57, v4, 0
	v_mul_lo_u32 v43, s0, v6
	v_mul_lo_u32 v44, s19, v6
	v_div_fixup_f32 v42, v1, s5, 1.0
	v_mov_b32_e32 v4, v8
	s_lshl_b32 s20, s3, 2
	s_mov_b32 s21, 0
	v_xor3_b32 v1, v5, v3, v30
	v_xor3_b32 v3, v9, v7, v31
	v_add_nc_u32_e32 v7, s15, v0
	v_add_nc_u32_e32 v5, s18, v0
	s_mov_b32 s22, 0
                                        ; implicit-def: $vgpr50
                                        ; implicit-def: $vgpr51
                                        ; implicit-def: $vgpr52
                                        ; implicit-def: $vgpr53
	s_delay_alu instid0(VALU_DEP_2) | instskip(NEXT) | instid1(VALU_DEP_2)
	v_mul_lo_u32 v47, s19, v7
	v_mul_lo_u32 v45, s0, v5
	v_mul_lo_u32 v46, s19, v5
	v_mul_lo_u32 v48, s0, v7
	s_lshl_b32 s19, s1, 2
	s_branch .LBB25_5
.LBB25_4:                               ;   in Loop: Header=BB25_5 Depth=1
	s_or_b32 exec_lo, exec_lo, s1
	v_mov_b32_e32 v8, v16
	v_add_nc_u32_e32 v0, s12, v0
	s_add_i32 s22, s22, s19
	s_add_i32 s21, s21, s20
	s_waitcnt vmcnt(0)
	s_waitcnt_vscnt null, 0x0
	s_barrier
	v_add_nc_u32_e32 v1, s13, v0
	buffer_gl0_inv
	v_cmp_le_u32_e32 vcc_lo, s14, v1
	v_dual_mov_b32 v1, v5 :: v_dual_mov_b32 v2, v6
	v_dual_mov_b32 v3, v7 :: v_dual_mov_b32 v4, v8
	s_or_b32 s16, vcc_lo, s16
	s_delay_alu instid0(SALU_CYCLE_1)
	s_and_not1_b32 exec_lo, exec_lo, s16
	s_cbranch_execz .LBB25_31
.LBB25_5:                               ; =>This Inner Loop Header: Depth=1
	v_add_co_u32 v19, vcc_lo, v19, 1
	s_delay_alu instid0(VALU_DEP_1) | instskip(SKIP_2) | instid1(VALU_DEP_1)
	v_cndmask_b32_e64 v5, 0, 1, vcc_lo
	v_add_co_ci_u32_e32 v20, vcc_lo, 0, v20, vcc_lo
	s_mov_b32 s0, exec_lo
	v_cmp_eq_u32_e32 vcc_lo, 0, v20
	s_delay_alu instid0(VALU_DEP_3) | instskip(NEXT) | instid1(VALU_DEP_1)
	v_cndmask_b32_e32 v5, 0, v5, vcc_lo
	v_add_nc_u32_e32 v18, v5, v18
	s_delay_alu instid0(VALU_DEP_1) | instskip(SKIP_2) | instid1(VALU_DEP_2)
	v_cmp_eq_u32_e32 vcc_lo, 0, v18
	v_cndmask_b32_e32 v5, 0, v5, vcc_lo
	v_mad_u64_u32 v[7:8], null, 0xcd9e8d57, v18, 0
	v_add_nc_u32_e32 v49, v5, v49
	v_mad_u64_u32 v[5:6], null, 0xd2511f53, v19, 0
	s_delay_alu instid0(VALU_DEP_3) | instskip(NEXT) | instid1(VALU_DEP_2)
	v_xor3_b32 v10, v8, v12, v20
	v_xor_b32_e32 v6, v6, v13
	s_delay_alu instid0(VALU_DEP_2) | instskip(NEXT) | instid1(VALU_DEP_2)
	v_mad_u64_u32 v[8:9], null, 0xd2511f53, v10, 0
	v_xor_b32_e32 v6, v49, v6
	s_delay_alu instid0(VALU_DEP_2) | instskip(NEXT) | instid1(VALU_DEP_2)
	v_xor3_b32 v9, v21, v9, v5
	v_mad_u64_u32 v[10:11], null, 0xcd9e8d57, v6, 0
	s_delay_alu instid0(VALU_DEP_2) | instskip(NEXT) | instid1(VALU_DEP_2)
	v_mad_u64_u32 v[5:6], null, 0xcd9e8d57, v9, 0
	v_xor3_b32 v7, v22, v11, v7
	s_delay_alu instid0(VALU_DEP_2) | instskip(NEXT) | instid1(VALU_DEP_2)
	v_xor3_b32 v9, v23, v6, v10
	v_mad_u64_u32 v[16:17], null, 0xd2511f53, v7, 0
	s_delay_alu instid0(VALU_DEP_2) | instskip(NEXT) | instid1(VALU_DEP_2)
	v_mad_u64_u32 v[6:7], null, 0xd2511f53, v9, 0
	v_xor3_b32 v10, v24, v17, v8
	s_delay_alu instid0(VALU_DEP_2) | instskip(NEXT) | instid1(VALU_DEP_2)
	v_xor3_b32 v7, v25, v7, v16
	v_mad_u64_u32 v[8:9], null, 0xcd9e8d57, v10, 0
	s_delay_alu instid0(VALU_DEP_1) | instskip(NEXT) | instid1(VALU_DEP_3)
	v_xor3_b32 v5, v26, v9, v5
	v_mad_u64_u32 v[9:10], null, 0xcd9e8d57, v7, 0
	s_delay_alu instid0(VALU_DEP_2) | instskip(NEXT) | instid1(VALU_DEP_2)
	v_mad_u64_u32 v[16:17], null, 0xd2511f53, v5, 0
	v_xor3_b32 v7, v27, v10, v8
	s_delay_alu instid0(VALU_DEP_2) | instskip(NEXT) | instid1(VALU_DEP_2)
	v_xor3_b32 v10, v28, v17, v6
	v_mad_u64_u32 v[5:6], null, 0xd2511f53, v7, 0
	s_delay_alu instid0(VALU_DEP_2) | instskip(NEXT) | instid1(VALU_DEP_2)
	v_mad_u64_u32 v[7:8], null, 0xcd9e8d57, v10, 0
	v_xor3_b32 v6, v32, v6, v16
	s_delay_alu instid0(VALU_DEP_2) | instskip(NEXT) | instid1(VALU_DEP_2)
	;; [unrolled: 6-line block ×6, first 2 shown]
	v_xor3_b32 v5, v7, v8, v30
	v_mov_b32_e32 v7, v11
	v_cmpx_lt_i32_e32 1, v29
	s_xor_b32 s0, exec_lo, s0
	s_cbranch_execz .LBB25_11
; %bb.6:                                ;   in Loop: Header=BB25_5 Depth=1
	s_mov_b32 s1, exec_lo
	v_cmpx_lt_i32_e32 2, v29
	s_xor_b32 s1, exec_lo, s1
; %bb.7:                                ;   in Loop: Header=BB25_5 Depth=1
	v_dual_mov_b32 v8, v4 :: v_dual_mov_b32 v9, v5
	v_mov_b32_e32 v10, v6
	s_delay_alu instid0(VALU_DEP_2) | instskip(NEXT) | instid1(VALU_DEP_2)
	v_dual_mov_b32 v1, v8 :: v_dual_mov_b32 v2, v9
	v_dual_mov_b32 v3, v10 :: v_dual_mov_b32 v4, v11
; %bb.8:                                ;   in Loop: Header=BB25_5 Depth=1
	s_and_not1_saveexec_b32 s1, s1
; %bb.9:                                ;   in Loop: Header=BB25_5 Depth=1
	s_delay_alu instid0(VALU_DEP_1)
	v_dual_mov_b32 v1, v3 :: v_dual_mov_b32 v2, v4
	v_dual_mov_b32 v3, v5 :: v_dual_mov_b32 v4, v6
; %bb.10:                               ;   in Loop: Header=BB25_5 Depth=1
	s_or_b32 exec_lo, exec_lo, s1
.LBB25_11:                              ;   in Loop: Header=BB25_5 Depth=1
	s_and_not1_saveexec_b32 s0, s0
	s_cbranch_execz .LBB25_15
; %bb.12:                               ;   in Loop: Header=BB25_5 Depth=1
	s_mov_b32 s1, exec_lo
	v_cmpx_eq_u32_e32 1, v29
; %bb.13:                               ;   in Loop: Header=BB25_5 Depth=1
	v_dual_mov_b32 v1, v2 :: v_dual_mov_b32 v2, v3
	v_dual_mov_b32 v3, v4 :: v_dual_mov_b32 v4, v5
; %bb.14:                               ;   in Loop: Header=BB25_5 Depth=1
	s_or_b32 exec_lo, exec_lo, s1
.LBB25_15:                              ;   in Loop: Header=BB25_5 Depth=1
	s_delay_alu instid0(SALU_CYCLE_1) | instskip(SKIP_1) | instid1(VALU_DEP_1)
	s_or_b32 exec_lo, exec_lo, s0
	v_add_nc_u32_e32 v8, s13, v0
	v_cmp_gt_u32_e64 s2, s4, v8
	s_delay_alu instid0(VALU_DEP_1)
	s_and_saveexec_b32 s0, s2
	s_cbranch_execz .LBB25_17
; %bb.16:                               ;   in Loop: Header=BB25_5 Depth=1
	v_add_nc_u32_e32 v14, s21, v41
	s_delay_alu instid0(VALU_DEP_1) | instskip(NEXT) | instid1(VALU_DEP_1)
	v_lshlrev_b64 v[8:9], 1, v[14:15]
	v_add_co_u32 v8, vcc_lo, s6, v8
	s_delay_alu instid0(VALU_DEP_2)
	v_add_co_ci_u32_e32 v9, vcc_lo, s7, v9, vcc_lo
	global_load_u16 v53, v[8:9], off
.LBB25_17:                              ;   in Loop: Header=BB25_5 Depth=1
	s_or_b32 exec_lo, exec_lo, s0
	v_add_nc_u32_e32 v8, s15, v0
	s_delay_alu instid0(VALU_DEP_1) | instskip(NEXT) | instid1(VALU_DEP_1)
	v_cmp_gt_u32_e64 s1, s4, v8
	s_and_saveexec_b32 s0, s1
	s_cbranch_execz .LBB25_19
; %bb.18:                               ;   in Loop: Header=BB25_5 Depth=1
	v_add_nc_u32_e32 v14, s21, v48
	s_delay_alu instid0(VALU_DEP_1) | instskip(NEXT) | instid1(VALU_DEP_1)
	v_lshlrev_b64 v[8:9], 1, v[14:15]
	v_add_co_u32 v8, vcc_lo, s6, v8
	s_delay_alu instid0(VALU_DEP_2)
	v_add_co_ci_u32_e32 v9, vcc_lo, s7, v9, vcc_lo
	global_load_u16 v52, v[8:9], off
.LBB25_19:                              ;   in Loop: Header=BB25_5 Depth=1
	s_or_b32 exec_lo, exec_lo, s0
	v_add_nc_u32_e32 v8, s17, v0
	s_delay_alu instid0(VALU_DEP_1) | instskip(NEXT) | instid1(VALU_DEP_1)
	v_cmp_gt_u32_e64 s0, s4, v8
	s_and_saveexec_b32 s3, s0
	s_cbranch_execz .LBB25_21
; %bb.20:                               ;   in Loop: Header=BB25_5 Depth=1
	v_add_nc_u32_e32 v14, s21, v43
	s_delay_alu instid0(VALU_DEP_1) | instskip(NEXT) | instid1(VALU_DEP_1)
	v_lshlrev_b64 v[8:9], 1, v[14:15]
	v_add_co_u32 v8, vcc_lo, s6, v8
	s_delay_alu instid0(VALU_DEP_2)
	v_add_co_ci_u32_e32 v9, vcc_lo, s7, v9, vcc_lo
	global_load_u16 v51, v[8:9], off
.LBB25_21:                              ;   in Loop: Header=BB25_5 Depth=1
	s_or_b32 exec_lo, exec_lo, s3
	v_add_nc_u32_e32 v8, s18, v0
	s_delay_alu instid0(VALU_DEP_1)
	v_cmp_gt_u32_e32 vcc_lo, s4, v8
	s_and_saveexec_b32 s23, vcc_lo
	s_cbranch_execnz .LBB25_26
; %bb.22:                               ;   in Loop: Header=BB25_5 Depth=1
	s_or_b32 exec_lo, exec_lo, s23
	s_and_saveexec_b32 s23, s2
	s_cbranch_execnz .LBB25_27
.LBB25_23:                              ;   in Loop: Header=BB25_5 Depth=1
	s_or_b32 exec_lo, exec_lo, s23
	s_and_saveexec_b32 s3, s1
	s_cbranch_execnz .LBB25_28
.LBB25_24:                              ;   in Loop: Header=BB25_5 Depth=1
	s_or_b32 exec_lo, exec_lo, s3
	s_and_saveexec_b32 s2, s0
	s_cbranch_execnz .LBB25_29
.LBB25_25:                              ;   in Loop: Header=BB25_5 Depth=1
	s_or_b32 exec_lo, exec_lo, s2
	s_and_saveexec_b32 s1, vcc_lo
	s_cbranch_execz .LBB25_4
	s_branch .LBB25_30
.LBB25_26:                              ;   in Loop: Header=BB25_5 Depth=1
	v_add_nc_u32_e32 v14, s21, v45
	s_delay_alu instid0(VALU_DEP_1) | instskip(NEXT) | instid1(VALU_DEP_1)
	v_lshlrev_b64 v[8:9], 1, v[14:15]
	v_add_co_u32 v8, s3, s6, v8
	s_delay_alu instid0(VALU_DEP_1)
	v_add_co_ci_u32_e64 v9, s3, s7, v9, s3
	global_load_u16 v50, v[8:9], off
	s_or_b32 exec_lo, exec_lo, s23
	s_and_saveexec_b32 s23, s2
	s_cbranch_execz .LBB25_23
.LBB25_27:                              ;   in Loop: Header=BB25_5 Depth=1
	v_cvt_f32_u32_e32 v1, v1
	s_waitcnt vmcnt(0)
	v_lshlrev_b32_e32 v8, 16, v53
	s_delay_alu instid0(VALU_DEP_2) | instskip(NEXT) | instid1(VALU_DEP_1)
	v_dual_fmaak_f32 v1, 0x2f800000, v1, 0x2f800000 :: v_dual_add_nc_u32 v14, s22, v40
	v_cmp_gt_f32_e64 s2, s5, v1
	s_delay_alu instid0(VALU_DEP_1) | instskip(NEXT) | instid1(VALU_DEP_1)
	v_cndmask_b32_e64 v1, 0, 1.0, s2
	v_mul_f32_e32 v1, v1, v8
	s_delay_alu instid0(VALU_DEP_1) | instskip(NEXT) | instid1(VALU_DEP_1)
	v_mul_f32_e32 v1, v42, v1
	v_bfe_u32 v8, v1, 16, 1
	s_delay_alu instid0(VALU_DEP_1) | instskip(SKIP_1) | instid1(VALU_DEP_2)
	v_add3_u32 v10, v1, v8, 0x7fff
	v_lshlrev_b64 v[8:9], 1, v[14:15]
	v_lshrrev_b32_e32 v10, 16, v10
	s_delay_alu instid0(VALU_DEP_2) | instskip(NEXT) | instid1(VALU_DEP_1)
	v_add_co_u32 v8, s3, s10, v8
	v_add_co_ci_u32_e64 v9, s3, s11, v9, s3
	v_cmp_o_f32_e64 s3, v1, v1
	s_delay_alu instid0(VALU_DEP_1)
	v_cndmask_b32_e64 v1, 0x7fc0, v10, s3
	v_cndmask_b32_e64 v10, 0, 1, s2
	global_store_b16 v[8:9], v1, off
	global_store_b8 v14, v10, s[8:9]
	s_or_b32 exec_lo, exec_lo, s23
	s_and_saveexec_b32 s3, s1
	s_cbranch_execz .LBB25_24
.LBB25_28:                              ;   in Loop: Header=BB25_5 Depth=1
	v_cvt_f32_u32_e32 v1, v2
	s_waitcnt vmcnt(0)
	v_lshlrev_b32_e32 v2, 16, v52
	s_delay_alu instid0(VALU_DEP_2) | instskip(NEXT) | instid1(VALU_DEP_1)
	v_dual_fmaak_f32 v1, 0x2f800000, v1, 0x2f800000 :: v_dual_add_nc_u32 v14, s22, v47
	v_cmp_gt_f32_e64 s1, s5, v1
	s_delay_alu instid0(VALU_DEP_1) | instskip(NEXT) | instid1(VALU_DEP_1)
	v_cndmask_b32_e64 v1, 0, 1.0, s1
	v_mul_f32_e32 v1, v1, v2
	s_delay_alu instid0(VALU_DEP_1) | instskip(NEXT) | instid1(VALU_DEP_1)
	v_mul_f32_e32 v8, v42, v1
	v_bfe_u32 v1, v8, 16, 1
	s_delay_alu instid0(VALU_DEP_1) | instskip(SKIP_1) | instid1(VALU_DEP_2)
	v_add3_u32 v9, v8, v1, 0x7fff
	v_lshlrev_b64 v[1:2], 1, v[14:15]
	v_lshrrev_b32_e32 v9, 16, v9
	s_delay_alu instid0(VALU_DEP_2) | instskip(NEXT) | instid1(VALU_DEP_1)
	v_add_co_u32 v1, s2, s10, v1
	v_add_co_ci_u32_e64 v2, s2, s11, v2, s2
	v_cmp_o_f32_e64 s2, v8, v8
	s_delay_alu instid0(VALU_DEP_1)
	v_cndmask_b32_e64 v8, 0x7fc0, v9, s2
	v_cndmask_b32_e64 v9, 0, 1, s1
	global_store_b16 v[1:2], v8, off
	global_store_b8 v14, v9, s[8:9]
	s_or_b32 exec_lo, exec_lo, s3
	s_and_saveexec_b32 s2, s0
	s_cbranch_execz .LBB25_25
.LBB25_29:                              ;   in Loop: Header=BB25_5 Depth=1
	v_cvt_f32_u32_e32 v1, v3
	s_waitcnt vmcnt(0)
	v_lshlrev_b32_e32 v2, 16, v51
	s_delay_alu instid0(VALU_DEP_2) | instskip(NEXT) | instid1(VALU_DEP_1)
	v_dual_fmaak_f32 v1, 0x2f800000, v1, 0x2f800000 :: v_dual_add_nc_u32 v14, s22, v44
	v_cmp_gt_f32_e64 s0, s5, v1
	s_delay_alu instid0(VALU_DEP_1) | instskip(NEXT) | instid1(VALU_DEP_1)
	v_cndmask_b32_e64 v1, 0, 1.0, s0
	v_mul_f32_e32 v1, v1, v2
	s_delay_alu instid0(VALU_DEP_1) | instskip(NEXT) | instid1(VALU_DEP_1)
	v_mul_f32_e32 v3, v42, v1
	v_bfe_u32 v1, v3, 16, 1
	s_delay_alu instid0(VALU_DEP_1) | instskip(SKIP_1) | instid1(VALU_DEP_2)
	v_add3_u32 v8, v3, v1, 0x7fff
	v_lshlrev_b64 v[1:2], 1, v[14:15]
	v_lshrrev_b32_e32 v8, 16, v8
	s_delay_alu instid0(VALU_DEP_2) | instskip(NEXT) | instid1(VALU_DEP_1)
	v_add_co_u32 v1, s1, s10, v1
	v_add_co_ci_u32_e64 v2, s1, s11, v2, s1
	v_cmp_o_f32_e64 s1, v3, v3
	s_delay_alu instid0(VALU_DEP_1)
	v_cndmask_b32_e64 v3, 0x7fc0, v8, s1
	v_cndmask_b32_e64 v8, 0, 1, s0
	global_store_b16 v[1:2], v3, off
	global_store_b8 v14, v8, s[8:9]
	s_or_b32 exec_lo, exec_lo, s2
	s_and_saveexec_b32 s1, vcc_lo
	s_cbranch_execz .LBB25_4
.LBB25_30:                              ;   in Loop: Header=BB25_5 Depth=1
	v_cvt_f32_u32_e32 v1, v4
	s_waitcnt vmcnt(0)
	v_lshlrev_b32_e32 v2, 16, v50
	s_delay_alu instid0(VALU_DEP_2) | instskip(NEXT) | instid1(VALU_DEP_1)
	v_dual_fmaak_f32 v1, 0x2f800000, v1, 0x2f800000 :: v_dual_add_nc_u32 v14, s22, v46
	v_cmp_gt_f32_e32 vcc_lo, s5, v1
	v_cndmask_b32_e64 v1, 0, 1.0, vcc_lo
	s_delay_alu instid0(VALU_DEP_1) | instskip(NEXT) | instid1(VALU_DEP_1)
	v_mul_f32_e32 v1, v1, v2
	v_mul_f32_e32 v3, v42, v1
	s_delay_alu instid0(VALU_DEP_1) | instskip(NEXT) | instid1(VALU_DEP_1)
	v_bfe_u32 v1, v3, 16, 1
	v_add3_u32 v4, v3, v1, 0x7fff
	v_lshlrev_b64 v[1:2], 1, v[14:15]
	s_delay_alu instid0(VALU_DEP_2) | instskip(NEXT) | instid1(VALU_DEP_2)
	v_lshrrev_b32_e32 v4, 16, v4
	v_add_co_u32 v1, s0, s10, v1
	s_delay_alu instid0(VALU_DEP_1) | instskip(SKIP_1) | instid1(VALU_DEP_1)
	v_add_co_ci_u32_e64 v2, s0, s11, v2, s0
	v_cmp_o_f32_e64 s0, v3, v3
	v_cndmask_b32_e64 v3, 0x7fc0, v4, s0
	v_cndmask_b32_e64 v4, 0, 1, vcc_lo
	global_store_b16 v[1:2], v3, off
	global_store_b8 v14, v4, s[8:9]
	s_branch .LBB25_4
.LBB25_31:
	s_endpgm
	.section	.rodata,"a",@progbits
	.p2align	6, 0x0
	.amdhsa_kernel _ZN2at6native12_GLOBAL__N_120fused_dropout_kernelIN3c108BFloat16EfjLi1ELi1EbEEvNS_4cuda6detail10TensorInfoIKT_T1_EENS7_IS8_SA_EENS7_IT4_SA_EESA_T0_NS_15PhiloxCudaStateE
		.amdhsa_group_segment_fixed_size 0
		.amdhsa_private_segment_fixed_size 0
		.amdhsa_kernarg_size 944
		.amdhsa_user_sgpr_count 15
		.amdhsa_user_sgpr_dispatch_ptr 0
		.amdhsa_user_sgpr_queue_ptr 0
		.amdhsa_user_sgpr_kernarg_segment_ptr 1
		.amdhsa_user_sgpr_dispatch_id 0
		.amdhsa_user_sgpr_private_segment_size 0
		.amdhsa_wavefront_size32 1
		.amdhsa_uses_dynamic_stack 0
		.amdhsa_enable_private_segment 0
		.amdhsa_system_sgpr_workgroup_id_x 1
		.amdhsa_system_sgpr_workgroup_id_y 0
		.amdhsa_system_sgpr_workgroup_id_z 0
		.amdhsa_system_sgpr_workgroup_info 0
		.amdhsa_system_vgpr_workitem_id 0
		.amdhsa_next_free_vgpr 54
		.amdhsa_next_free_sgpr 24
		.amdhsa_reserve_vcc 1
		.amdhsa_float_round_mode_32 0
		.amdhsa_float_round_mode_16_64 0
		.amdhsa_float_denorm_mode_32 3
		.amdhsa_float_denorm_mode_16_64 3
		.amdhsa_dx10_clamp 1
		.amdhsa_ieee_mode 1
		.amdhsa_fp16_overflow 0
		.amdhsa_workgroup_processor_mode 1
		.amdhsa_memory_ordered 1
		.amdhsa_forward_progress 0
		.amdhsa_shared_vgpr_count 0
		.amdhsa_exception_fp_ieee_invalid_op 0
		.amdhsa_exception_fp_denorm_src 0
		.amdhsa_exception_fp_ieee_div_zero 0
		.amdhsa_exception_fp_ieee_overflow 0
		.amdhsa_exception_fp_ieee_underflow 0
		.amdhsa_exception_fp_ieee_inexact 0
		.amdhsa_exception_int_div_zero 0
	.end_amdhsa_kernel
	.section	.text._ZN2at6native12_GLOBAL__N_120fused_dropout_kernelIN3c108BFloat16EfjLi1ELi1EbEEvNS_4cuda6detail10TensorInfoIKT_T1_EENS7_IS8_SA_EENS7_IT4_SA_EESA_T0_NS_15PhiloxCudaStateE,"axG",@progbits,_ZN2at6native12_GLOBAL__N_120fused_dropout_kernelIN3c108BFloat16EfjLi1ELi1EbEEvNS_4cuda6detail10TensorInfoIKT_T1_EENS7_IS8_SA_EENS7_IT4_SA_EESA_T0_NS_15PhiloxCudaStateE,comdat
.Lfunc_end25:
	.size	_ZN2at6native12_GLOBAL__N_120fused_dropout_kernelIN3c108BFloat16EfjLi1ELi1EbEEvNS_4cuda6detail10TensorInfoIKT_T1_EENS7_IS8_SA_EENS7_IT4_SA_EESA_T0_NS_15PhiloxCudaStateE, .Lfunc_end25-_ZN2at6native12_GLOBAL__N_120fused_dropout_kernelIN3c108BFloat16EfjLi1ELi1EbEEvNS_4cuda6detail10TensorInfoIKT_T1_EENS7_IS8_SA_EENS7_IT4_SA_EESA_T0_NS_15PhiloxCudaStateE
                                        ; -- End function
	.section	.AMDGPU.csdata,"",@progbits
; Kernel info:
; codeLenInByte = 3064
; NumSgprs: 26
; NumVgprs: 54
; ScratchSize: 0
; MemoryBound: 0
; FloatMode: 240
; IeeeMode: 1
; LDSByteSize: 0 bytes/workgroup (compile time only)
; SGPRBlocks: 3
; VGPRBlocks: 6
; NumSGPRsForWavesPerEU: 26
; NumVGPRsForWavesPerEU: 54
; Occupancy: 16
; WaveLimiterHint : 1
; COMPUTE_PGM_RSRC2:SCRATCH_EN: 0
; COMPUTE_PGM_RSRC2:USER_SGPR: 15
; COMPUTE_PGM_RSRC2:TRAP_HANDLER: 0
; COMPUTE_PGM_RSRC2:TGID_X_EN: 1
; COMPUTE_PGM_RSRC2:TGID_Y_EN: 0
; COMPUTE_PGM_RSRC2:TGID_Z_EN: 0
; COMPUTE_PGM_RSRC2:TIDIG_COMP_CNT: 0
	.section	.text._ZN2at6native12_GLOBAL__N_120fused_dropout_kernelIN3c108BFloat16EfjLin1ELi1EbEEvNS_4cuda6detail10TensorInfoIKT_T1_EENS7_IS8_SA_EENS7_IT4_SA_EESA_T0_NS_15PhiloxCudaStateE,"axG",@progbits,_ZN2at6native12_GLOBAL__N_120fused_dropout_kernelIN3c108BFloat16EfjLin1ELi1EbEEvNS_4cuda6detail10TensorInfoIKT_T1_EENS7_IS8_SA_EENS7_IT4_SA_EESA_T0_NS_15PhiloxCudaStateE,comdat
	.globl	_ZN2at6native12_GLOBAL__N_120fused_dropout_kernelIN3c108BFloat16EfjLin1ELi1EbEEvNS_4cuda6detail10TensorInfoIKT_T1_EENS7_IS8_SA_EENS7_IT4_SA_EESA_T0_NS_15PhiloxCudaStateE ; -- Begin function _ZN2at6native12_GLOBAL__N_120fused_dropout_kernelIN3c108BFloat16EfjLin1ELi1EbEEvNS_4cuda6detail10TensorInfoIKT_T1_EENS7_IS8_SA_EENS7_IT4_SA_EESA_T0_NS_15PhiloxCudaStateE
	.p2align	8
	.type	_ZN2at6native12_GLOBAL__N_120fused_dropout_kernelIN3c108BFloat16EfjLin1ELi1EbEEvNS_4cuda6detail10TensorInfoIKT_T1_EENS7_IS8_SA_EENS7_IT4_SA_EESA_T0_NS_15PhiloxCudaStateE,@function
_ZN2at6native12_GLOBAL__N_120fused_dropout_kernelIN3c108BFloat16EfjLin1ELi1EbEEvNS_4cuda6detail10TensorInfoIKT_T1_EENS7_IS8_SA_EENS7_IT4_SA_EESA_T0_NS_15PhiloxCudaStateE: ; @_ZN2at6native12_GLOBAL__N_120fused_dropout_kernelIN3c108BFloat16EfjLin1ELi1EbEEvNS_4cuda6detail10TensorInfoIKT_T1_EENS7_IS8_SA_EENS7_IT4_SA_EESA_T0_NS_15PhiloxCudaStateE
; %bb.0:
	s_clause 0x1
	s_load_b128 s[4:7], s[0:1], 0x290
	s_load_b32 s2, s[0:1], 0x2a8
	s_waitcnt lgkmcnt(0)
	v_dual_mov_b32 v1, s6 :: v_dual_mov_b32 v2, s7
	v_dual_mov_b32 v12, s5 :: v_dual_mov_b32 v11, s4
	s_bitcmp0_b32 s2, 0
	s_cbranch_scc1 .LBB26_2
; %bb.1:
	v_dual_mov_b32 v1, s6 :: v_dual_mov_b32 v2, s7
	v_dual_mov_b32 v3, s4 :: v_dual_mov_b32 v4, s5
	s_load_b64 s[2:3], s[0:1], 0x2a0
	flat_load_b64 v[1:2], v[1:2]
	flat_load_b64 v[11:12], v[3:4]
	s_waitcnt vmcnt(1) lgkmcnt(0)
	v_add_co_u32 v1, vcc_lo, v1, s2
	v_add_co_ci_u32_e32 v2, vcc_lo, s3, v2, vcc_lo
.LBB26_2:
	s_clause 0x2
	s_load_b32 s2, s[0:1], 0x2bc
	s_load_b32 s18, s[0:1], 0x2b0
	s_load_b64 s[4:5], s[0:1], 0x288
	s_waitcnt lgkmcnt(0)
	s_and_b32 s2, s2, 0xffff
	s_add_i32 s7, s4, -1
	s_mul_i32 s18, s18, s2
	v_mad_u64_u32 v[13:14], null, s15, s2, v[0:1]
	s_lshl_b32 s19, s18, 2
	s_delay_alu instid0(SALU_CYCLE_1) | instskip(SKIP_1) | instid1(VALU_DEP_1)
	v_cvt_f32_u32_e32 v3, s19
	s_sub_i32 s6, 0, s19
	v_rcp_iflag_f32_e32 v3, v3
	s_waitcnt_depctr 0xfff
	v_mul_f32_e32 v3, 0x4f7ffffe, v3
	s_delay_alu instid0(VALU_DEP_1) | instskip(NEXT) | instid1(VALU_DEP_1)
	v_cvt_u32_f32_e32 v3, v3
	v_readfirstlane_b32 s3, v3
	s_delay_alu instid0(VALU_DEP_1) | instskip(NEXT) | instid1(SALU_CYCLE_1)
	s_mul_i32 s6, s6, s3
	s_mul_hi_u32 s6, s3, s6
	s_delay_alu instid0(SALU_CYCLE_1) | instskip(NEXT) | instid1(SALU_CYCLE_1)
	s_add_i32 s3, s3, s6
	s_mul_hi_u32 s3, s7, s3
	s_delay_alu instid0(SALU_CYCLE_1) | instskip(NEXT) | instid1(SALU_CYCLE_1)
	s_mul_i32 s6, s3, s19
	s_sub_i32 s6, s7, s6
	s_add_i32 s7, s3, 1
	s_sub_i32 s8, s6, s19
	s_cmp_ge_u32 s6, s19
	s_cselect_b32 s2, s7, s3
	s_cselect_b32 s3, s8, s6
	s_add_i32 s6, s2, 1
	s_cmp_ge_u32 s3, s19
	s_cselect_b32 s2, s6, s2
	s_delay_alu instid0(SALU_CYCLE_1) | instskip(NEXT) | instid1(SALU_CYCLE_1)
	s_add_i32 s2, s2, 1
	s_mul_i32 s20, s19, s2
	s_mov_b32 s2, exec_lo
	v_cmpx_gt_u32_e64 s20, v13
	s_cbranch_execz .LBB26_43
; %bb.3:
	v_alignbit_b32 v18, v2, v1, 2
	v_mad_u64_u32 v[3:4], null, 0xcd9e8d57, v13, 0
	v_lshrrev_b32_e32 v19, 2, v2
	s_waitcnt vmcnt(0)
	v_dual_mov_b32 v10, v12 :: v_dual_mov_b32 v15, 0
	v_mad_u64_u32 v[5:6], null, 0xd2511f53, v18, 0
	v_add_co_u32 v21, null, 0x9e3779b9, v11
	v_xor3_b32 v0, v11, v4, v19
	s_delay_alu instid0(VALU_DEP_4) | instskip(SKIP_2) | instid1(VALU_DEP_4)
	v_add_co_u32 v20, null, 0xbb67ae85, v10
	v_add_co_u32 v22, null, 0x3c6ef372, v11
	v_xor_b32_e32 v2, v6, v12
	v_mad_u64_u32 v[6:7], null, 0xd2511f53, v0, 0
	v_add_co_u32 v23, null, 0x76cf5d0a, v10
	s_delay_alu instid0(VALU_DEP_3) | instskip(SKIP_1) | instid1(VALU_DEP_4)
	v_mad_u64_u32 v[8:9], null, 0xcd9e8d57, v2, 0
	v_add_co_u32 v24, null, 0x32370b8f, v10
	v_xor3_b32 v0, v20, v7, v5
	v_add_co_u32 v25, null, 0xdaa66d2b, v11
	v_add_co_u32 v26, null, 0x78dde6e4, v11
	v_xor3_b32 v7, v9, v21, v3
	s_delay_alu instid0(VALU_DEP_4) | instskip(SKIP_1) | instid1(VALU_DEP_3)
	v_mad_u64_u32 v[2:3], null, 0xcd9e8d57, v0, 0
	v_add_co_u32 v27, null, 0xed9eba14, v10
	v_mad_u64_u32 v[4:5], null, 0xd2511f53, v7, 0
	v_dual_mov_b32 v39, v13 :: v_dual_and_b32 v28, 3, v1
	s_delay_alu instid0(VALU_DEP_4) | instskip(SKIP_3) | instid1(VALU_DEP_4)
	v_xor3_b32 v0, v22, v3, v8
	v_add_co_u32 v31, null, 0xa9066899, v10
	v_add_co_u32 v32, null, 0x1715609d, v11
	v_xor3_b32 v3, v5, v23, v6
	v_mad_u64_u32 v[5:6], null, 0xd2511f53, v0, 0
	v_add_co_u32 v33, null, 0xb54cda56, v11
	s_delay_alu instid0(VALU_DEP_3) | instskip(SKIP_1) | instid1(VALU_DEP_4)
	v_mad_u64_u32 v[7:8], null, 0xcd9e8d57, v3, 0
	v_add_co_u32 v34, null, 0x646e171e, v10
	v_xor3_b32 v0, v24, v6, v4
	v_add_co_u32 v35, null, 0x1fd5c5a3, v10
	v_add_co_u32 v36, null, 0x5384540f, v11
	v_xor3_b32 v4, v8, v25, v2
	s_delay_alu instid0(VALU_DEP_4) | instskip(SKIP_1) | instid1(VALU_DEP_3)
	v_mad_u64_u32 v[2:3], null, 0xcd9e8d57, v0, 0
	v_div_scale_f32 v16, vcc_lo, 1.0, s5, 1.0
	v_mad_u64_u32 v[8:9], null, 0xd2511f53, v4, 0
	s_clause 0x3
	s_load_b64 s[6:7], s[0:1], 0x1b0
	s_load_b32 s21, s[0:1], 0x144
	s_load_b64 s[10:11], s[0:1], 0xd8
	s_load_b32 s14, s[0:1], 0xd0
	v_xor3_b32 v3, v26, v3, v7
	v_add_co_u32 v37, null, 0xf1bbcdc8, v11
	v_add_co_u32 v38, null, 0xdb3d7428, v10
	v_xor3_b32 v5, v9, v27, v5
	s_delay_alu instid0(VALU_DEP_4) | instskip(SKIP_1) | instid1(VALU_DEP_3)
	v_mad_u64_u32 v[0:1], null, 0xd2511f53, v3, 0
	v_div_scale_f32 v9, null, s5, s5, 1.0
	v_mad_u64_u32 v[3:4], null, 0xcd9e8d57, v5, 0
	s_clause 0x1
	s_load_b32 s22, s[0:1], 0x6c
	s_load_b64 s[12:13], s[0:1], 0x0
	v_rcp_f32_e32 v14, v9
	s_delay_alu instid0(VALU_DEP_3) | instskip(SKIP_3) | instid1(VALU_DEP_3)
	v_xor3_b32 v5, v31, v1, v8
	v_dual_mov_b32 v41, 0 :: v_dual_add_nc_u32 v30, 0x96a522ad, v12
	s_mov_b32 s9, 0
	v_xor3_b32 v6, v4, v32, v2
	v_mad_u64_u32 v[1:2], null, 0xcd9e8d57, v5, 0
	s_waitcnt lgkmcnt(0)
	s_cmp_gt_i32 s14, 1
                                        ; implicit-def: $vgpr42
                                        ; implicit-def: $vgpr43
                                        ; implicit-def: $vgpr44
                                        ; implicit-def: $vgpr45
	s_delay_alu instid0(VALU_DEP_2)
	v_mad_u64_u32 v[4:5], null, 0xd2511f53, v6, 0
	s_waitcnt_depctr 0xfff
	v_fma_f32 v6, -v9, v14, 1.0
	v_add_nc_u32_e32 v29, 0x8ff34781, v11
	s_cselect_b32 s23, -1, 0
	s_add_i32 s8, s14, -1
	s_delay_alu instid0(VALU_DEP_2)
	v_fmac_f32_e32 v14, v6, v14
	v_xor3_b32 v6, v33, v2, v3
	v_xor3_b32 v0, v5, v34, v0
	s_lshl_b64 s[2:3], s[8:9], 2
	s_add_i32 s8, s14, 1
	v_mul_f32_e32 v8, v16, v14
	v_mad_u64_u32 v[2:3], null, 0xd2511f53, v6, 0
	v_mad_u64_u32 v[5:6], null, 0xcd9e8d57, v0, 0
	s_delay_alu instid0(VALU_DEP_3) | instskip(SKIP_3) | instid1(VALU_DEP_3)
	v_fma_f32 v17, -v9, v8, v16
	s_add_u32 s0, s2, s0
	s_addc_u32 s1, s3, s1
	s_add_u32 s14, s0, 8
	v_xor3_b32 v3, v35, v3, v4
	v_fmac_f32_e32 v8, v17, v14
	s_delay_alu instid0(VALU_DEP_4) | instskip(SKIP_1) | instid1(VALU_DEP_3)
	v_xor3_b32 v4, v6, v36, v1
	s_addc_u32 s15, s1, 0
	v_mad_u64_u32 v[0:1], null, 0xcd9e8d57, v3, 0
	s_delay_alu instid0(VALU_DEP_2) | instskip(NEXT) | instid1(VALU_DEP_2)
	v_mad_u64_u32 v[6:7], null, 0xd2511f53, v4, 0
	v_xor3_b32 v1, v37, v1, v5
	s_delay_alu instid0(VALU_DEP_2) | instskip(SKIP_1) | instid1(VALU_DEP_3)
	v_xor3_b32 v5, v7, v38, v2
	v_fma_f32 v7, -v9, v8, v16
	v_mad_u64_u32 v[3:4], null, 0xd2511f53, v1, 0
	s_delay_alu instid0(VALU_DEP_3) | instskip(NEXT) | instid1(VALU_DEP_3)
	v_mad_u64_u32 v[1:2], null, 0xcd9e8d57, v5, 0
	v_div_fmas_f32 v5, v7, v14, v8
	s_delay_alu instid0(VALU_DEP_1) | instskip(NEXT) | instid1(VALU_DEP_3)
	v_div_fixup_f32 v40, v5, s5, 1.0
	v_xor3_b32 v0, v0, v2, v29
	v_xor3_b32 v2, v4, v6, v30
	s_branch .LBB26_5
.LBB26_4:                               ;   in Loop: Header=BB26_5 Depth=1
	s_or_b32 exec_lo, exec_lo, s1
	v_mov_b32_e32 v7, v16
	v_dual_mov_b32 v0, v4 :: v_dual_add_nc_u32 v13, s19, v13
	v_dual_mov_b32 v1, v5 :: v_dual_mov_b32 v2, v6
	s_delay_alu instid0(VALU_DEP_3) | instskip(NEXT) | instid1(VALU_DEP_3)
	v_mov_b32_e32 v3, v7
	v_cmp_le_u32_e32 vcc_lo, s20, v13
	s_waitcnt vmcnt(0)
	s_waitcnt_vscnt null, 0x0
	s_barrier
	buffer_gl0_inv
	s_or_b32 s9, vcc_lo, s9
	s_delay_alu instid0(SALU_CYCLE_1)
	s_and_not1_b32 exec_lo, exec_lo, s9
	s_cbranch_execz .LBB26_43
.LBB26_5:                               ; =>This Loop Header: Depth=1
                                        ;     Child Loop BB26_18 Depth 2
                                        ;     Child Loop BB26_23 Depth 2
	;; [unrolled: 1-line block ×4, first 2 shown]
	v_add_co_u32 v18, vcc_lo, v18, 1
	s_delay_alu instid0(VALU_DEP_1) | instskip(SKIP_2) | instid1(VALU_DEP_1)
	v_cndmask_b32_e64 v4, 0, 1, vcc_lo
	v_add_co_ci_u32_e32 v19, vcc_lo, 0, v19, vcc_lo
	s_mov_b32 s0, exec_lo
	v_cmp_eq_u32_e32 vcc_lo, 0, v19
	s_delay_alu instid0(VALU_DEP_3) | instskip(NEXT) | instid1(VALU_DEP_1)
	v_cndmask_b32_e32 v4, 0, v4, vcc_lo
	v_add_nc_u32_e32 v39, v4, v39
	s_delay_alu instid0(VALU_DEP_1) | instskip(SKIP_2) | instid1(VALU_DEP_2)
	v_cmp_eq_u32_e32 vcc_lo, 0, v39
	v_cndmask_b32_e32 v4, 0, v4, vcc_lo
	v_mad_u64_u32 v[6:7], null, 0xcd9e8d57, v39, 0
	v_add_nc_u32_e32 v41, v4, v41
	v_mad_u64_u32 v[4:5], null, 0xd2511f53, v18, 0
	s_delay_alu instid0(VALU_DEP_3) | instskip(NEXT) | instid1(VALU_DEP_2)
	v_xor3_b32 v9, v7, v11, v19
	v_xor_b32_e32 v5, v5, v12
	s_delay_alu instid0(VALU_DEP_2) | instskip(NEXT) | instid1(VALU_DEP_2)
	v_mad_u64_u32 v[7:8], null, 0xd2511f53, v9, 0
	v_xor_b32_e32 v5, v41, v5
	s_delay_alu instid0(VALU_DEP_2) | instskip(NEXT) | instid1(VALU_DEP_2)
	v_xor3_b32 v8, v20, v8, v4
	v_mad_u64_u32 v[9:10], null, 0xcd9e8d57, v5, 0
	s_delay_alu instid0(VALU_DEP_2) | instskip(NEXT) | instid1(VALU_DEP_2)
	v_mad_u64_u32 v[4:5], null, 0xcd9e8d57, v8, 0
	v_xor3_b32 v6, v21, v10, v6
	s_delay_alu instid0(VALU_DEP_2) | instskip(NEXT) | instid1(VALU_DEP_2)
	v_xor3_b32 v8, v22, v5, v9
	v_mad_u64_u32 v[16:17], null, 0xd2511f53, v6, 0
	s_delay_alu instid0(VALU_DEP_2) | instskip(NEXT) | instid1(VALU_DEP_2)
	v_mad_u64_u32 v[5:6], null, 0xd2511f53, v8, 0
	v_xor3_b32 v9, v23, v17, v7
	s_delay_alu instid0(VALU_DEP_2) | instskip(NEXT) | instid1(VALU_DEP_2)
	v_xor3_b32 v6, v24, v6, v16
	v_mad_u64_u32 v[7:8], null, 0xcd9e8d57, v9, 0
	s_delay_alu instid0(VALU_DEP_1) | instskip(NEXT) | instid1(VALU_DEP_3)
	v_xor3_b32 v4, v25, v8, v4
	v_mad_u64_u32 v[8:9], null, 0xcd9e8d57, v6, 0
	s_delay_alu instid0(VALU_DEP_2) | instskip(NEXT) | instid1(VALU_DEP_2)
	v_mad_u64_u32 v[16:17], null, 0xd2511f53, v4, 0
	v_xor3_b32 v6, v26, v9, v7
	s_delay_alu instid0(VALU_DEP_2) | instskip(NEXT) | instid1(VALU_DEP_2)
	v_xor3_b32 v9, v27, v17, v5
	v_mad_u64_u32 v[4:5], null, 0xd2511f53, v6, 0
	s_delay_alu instid0(VALU_DEP_2) | instskip(NEXT) | instid1(VALU_DEP_2)
	v_mad_u64_u32 v[6:7], null, 0xcd9e8d57, v9, 0
	v_xor3_b32 v5, v31, v5, v16
	s_delay_alu instid0(VALU_DEP_2) | instskip(NEXT) | instid1(VALU_DEP_2)
	;; [unrolled: 6-line block ×6, first 2 shown]
	v_xor3_b32 v4, v6, v7, v29
	v_mov_b32_e32 v6, v10
	v_cmpx_lt_i32_e32 1, v28
	s_xor_b32 s0, exec_lo, s0
	s_cbranch_execnz .LBB26_8
; %bb.6:                                ;   in Loop: Header=BB26_5 Depth=1
	s_and_not1_saveexec_b32 s0, s0
	s_cbranch_execnz .LBB26_13
.LBB26_7:                               ;   in Loop: Header=BB26_5 Depth=1
	s_or_b32 exec_lo, exec_lo, s0
	v_cmp_gt_u32_e64 s0, s4, v13
	s_delay_alu instid0(VALU_DEP_1)
	s_and_saveexec_b32 s1, s0
	s_cbranch_execnz .LBB26_16
	s_branch .LBB26_20
.LBB26_8:                               ;   in Loop: Header=BB26_5 Depth=1
	s_mov_b32 s1, exec_lo
	v_cmpx_lt_i32_e32 2, v28
	s_xor_b32 s1, exec_lo, s1
; %bb.9:                                ;   in Loop: Header=BB26_5 Depth=1
	v_dual_mov_b32 v7, v3 :: v_dual_mov_b32 v8, v4
	v_mov_b32_e32 v9, v5
	s_delay_alu instid0(VALU_DEP_2) | instskip(NEXT) | instid1(VALU_DEP_2)
	v_dual_mov_b32 v0, v7 :: v_dual_mov_b32 v1, v8
	v_dual_mov_b32 v2, v9 :: v_dual_mov_b32 v3, v10
; %bb.10:                               ;   in Loop: Header=BB26_5 Depth=1
	s_and_not1_saveexec_b32 s1, s1
; %bb.11:                               ;   in Loop: Header=BB26_5 Depth=1
	s_delay_alu instid0(VALU_DEP_1)
	v_dual_mov_b32 v0, v2 :: v_dual_mov_b32 v1, v3
	v_dual_mov_b32 v2, v4 :: v_dual_mov_b32 v3, v5
; %bb.12:                               ;   in Loop: Header=BB26_5 Depth=1
	s_or_b32 exec_lo, exec_lo, s1
	s_and_not1_saveexec_b32 s0, s0
	s_cbranch_execz .LBB26_7
.LBB26_13:                              ;   in Loop: Header=BB26_5 Depth=1
	s_mov_b32 s1, exec_lo
	v_cmpx_eq_u32_e32 1, v28
; %bb.14:                               ;   in Loop: Header=BB26_5 Depth=1
	v_dual_mov_b32 v0, v1 :: v_dual_mov_b32 v1, v2
	v_dual_mov_b32 v2, v3 :: v_dual_mov_b32 v3, v4
; %bb.15:                               ;   in Loop: Header=BB26_5 Depth=1
	s_or_b32 exec_lo, exec_lo, s1
	s_delay_alu instid0(SALU_CYCLE_1) | instskip(SKIP_1) | instid1(VALU_DEP_1)
	s_or_b32 exec_lo, exec_lo, s0
	v_cmp_gt_u32_e64 s0, s4, v13
	s_and_saveexec_b32 s1, s0
	s_cbranch_execz .LBB26_20
.LBB26_16:                              ;   in Loop: Header=BB26_5 Depth=1
	v_dual_mov_b32 v7, 0 :: v_dual_mov_b32 v8, v13
	s_and_not1_b32 vcc_lo, exec_lo, s23
	s_cbranch_vccnz .LBB26_19
; %bb.17:                               ;   in Loop: Header=BB26_5 Depth=1
	v_dual_mov_b32 v7, 0 :: v_dual_mov_b32 v8, v13
	s_mov_b64 s[2:3], s[14:15]
	s_mov_b32 s16, s8
	s_set_inst_prefetch_distance 0x1
	.p2align	6
.LBB26_18:                              ;   Parent Loop BB26_5 Depth=1
                                        ; =>  This Inner Loop Header: Depth=2
	s_clause 0x1
	s_load_b32 s17, s[2:3], 0x0
	s_load_b32 s24, s[2:3], 0x64
	s_add_i32 s16, s16, -1
	v_mov_b32_e32 v14, v8
	s_waitcnt lgkmcnt(0)
	v_cvt_f32_u32_e32 v9, s17
	s_sub_i32 s25, 0, s17
	s_add_u32 s2, s2, -4
	s_addc_u32 s3, s3, -1
	s_cmp_gt_u32 s16, 2
	v_rcp_iflag_f32_e32 v9, v9
	s_waitcnt_depctr 0xfff
	v_mul_f32_e32 v9, 0x4f7ffffe, v9
	s_delay_alu instid0(VALU_DEP_1) | instskip(NEXT) | instid1(VALU_DEP_1)
	v_cvt_u32_f32_e32 v9, v9
	v_mul_lo_u32 v10, s25, v9
	s_delay_alu instid0(VALU_DEP_1) | instskip(NEXT) | instid1(VALU_DEP_1)
	v_mul_hi_u32 v10, v9, v10
	v_add_nc_u32_e32 v8, v9, v10
	s_delay_alu instid0(VALU_DEP_1) | instskip(NEXT) | instid1(VALU_DEP_1)
	v_mul_hi_u32 v8, v14, v8
	v_mul_lo_u32 v9, v8, s17
	s_delay_alu instid0(VALU_DEP_1) | instskip(NEXT) | instid1(VALU_DEP_1)
	v_sub_nc_u32_e32 v9, v14, v9
	v_subrev_nc_u32_e32 v17, s17, v9
	v_cmp_le_u32_e32 vcc_lo, s17, v9
	s_delay_alu instid0(VALU_DEP_2) | instskip(NEXT) | instid1(VALU_DEP_1)
	v_dual_cndmask_b32 v9, v9, v17 :: v_dual_add_nc_u32 v10, 1, v8
	v_cndmask_b32_e32 v8, v8, v10, vcc_lo
	s_delay_alu instid0(VALU_DEP_2) | instskip(NEXT) | instid1(VALU_DEP_2)
	v_cmp_le_u32_e32 vcc_lo, s17, v9
	v_add_nc_u32_e32 v10, 1, v8
	s_delay_alu instid0(VALU_DEP_1) | instskip(NEXT) | instid1(VALU_DEP_1)
	v_cndmask_b32_e32 v8, v8, v10, vcc_lo
	v_mul_lo_u32 v9, v8, s17
	s_delay_alu instid0(VALU_DEP_1) | instskip(NEXT) | instid1(VALU_DEP_1)
	v_sub_nc_u32_e32 v14, v14, v9
	v_mad_u64_u32 v[9:10], null, s24, v14, v[7:8]
	s_delay_alu instid0(VALU_DEP_1)
	v_mov_b32_e32 v7, v9
	s_cbranch_scc1 .LBB26_18
.LBB26_19:                              ;   in Loop: Header=BB26_5 Depth=1
	s_set_inst_prefetch_distance 0x2
	s_delay_alu instid0(VALU_DEP_1) | instskip(SKIP_1) | instid1(VALU_DEP_1)
	v_mad_u64_u32 v[9:10], null, s22, v8, v[7:8]
	v_mov_b32_e32 v10, v15
	v_lshlrev_b64 v[7:8], 1, v[9:10]
	s_delay_alu instid0(VALU_DEP_1) | instskip(NEXT) | instid1(VALU_DEP_2)
	v_add_co_u32 v7, vcc_lo, s12, v7
	v_add_co_ci_u32_e32 v8, vcc_lo, s13, v8, vcc_lo
	global_load_u16 v45, v[7:8], off
.LBB26_20:                              ;   in Loop: Header=BB26_5 Depth=1
	s_or_b32 exec_lo, exec_lo, s1
	v_add_nc_u32_e32 v8, s18, v13
	s_delay_alu instid0(VALU_DEP_1) | instskip(NEXT) | instid1(VALU_DEP_1)
	v_cmp_gt_u32_e64 s1, s4, v8
	s_and_saveexec_b32 s16, s1
	s_cbranch_execz .LBB26_25
; %bb.21:                               ;   in Loop: Header=BB26_5 Depth=1
	v_mov_b32_e32 v7, 0
	v_mov_b32_e32 v9, v8
	s_and_not1_b32 vcc_lo, exec_lo, s23
	s_cbranch_vccnz .LBB26_24
; %bb.22:                               ;   in Loop: Header=BB26_5 Depth=1
	v_mov_b32_e32 v7, 0
	v_mov_b32_e32 v9, v8
	s_mov_b64 s[2:3], s[14:15]
	s_mov_b32 s17, s8
	s_set_inst_prefetch_distance 0x1
	.p2align	6
.LBB26_23:                              ;   Parent Loop BB26_5 Depth=1
                                        ; =>  This Inner Loop Header: Depth=2
	s_clause 0x1
	s_load_b32 s24, s[2:3], 0x0
	s_load_b32 s25, s[2:3], 0x64
	s_add_i32 s17, s17, -1
	v_mov_b32_e32 v17, v9
	s_waitcnt lgkmcnt(0)
	v_cvt_f32_u32_e32 v10, s24
	s_sub_i32 s26, 0, s24
	s_add_u32 s2, s2, -4
	s_addc_u32 s3, s3, -1
	s_cmp_gt_u32 s17, 2
	v_rcp_iflag_f32_e32 v10, v10
	s_waitcnt_depctr 0xfff
	v_mul_f32_e32 v10, 0x4f7ffffe, v10
	s_delay_alu instid0(VALU_DEP_1) | instskip(NEXT) | instid1(VALU_DEP_1)
	v_cvt_u32_f32_e32 v10, v10
	v_mul_lo_u32 v14, s26, v10
	s_delay_alu instid0(VALU_DEP_1) | instskip(NEXT) | instid1(VALU_DEP_1)
	v_mul_hi_u32 v14, v10, v14
	v_add_nc_u32_e32 v9, v10, v14
	s_delay_alu instid0(VALU_DEP_1) | instskip(NEXT) | instid1(VALU_DEP_1)
	v_mul_hi_u32 v9, v17, v9
	v_mul_lo_u32 v10, v9, s24
	v_add_nc_u32_e32 v14, 1, v9
	s_delay_alu instid0(VALU_DEP_2) | instskip(NEXT) | instid1(VALU_DEP_1)
	v_sub_nc_u32_e32 v10, v17, v10
	v_subrev_nc_u32_e32 v44, s24, v10
	v_cmp_le_u32_e32 vcc_lo, s24, v10
	s_delay_alu instid0(VALU_DEP_2) | instskip(NEXT) | instid1(VALU_DEP_1)
	v_dual_cndmask_b32 v9, v9, v14 :: v_dual_cndmask_b32 v10, v10, v44
	v_add_nc_u32_e32 v14, 1, v9
	s_delay_alu instid0(VALU_DEP_2) | instskip(NEXT) | instid1(VALU_DEP_2)
	v_cmp_le_u32_e32 vcc_lo, s24, v10
	v_cndmask_b32_e32 v9, v9, v14, vcc_lo
	s_delay_alu instid0(VALU_DEP_1) | instskip(NEXT) | instid1(VALU_DEP_1)
	v_mul_lo_u32 v10, v9, s24
	v_sub_nc_u32_e32 v10, v17, v10
	s_delay_alu instid0(VALU_DEP_1) | instskip(NEXT) | instid1(VALU_DEP_1)
	v_mad_u64_u32 v[46:47], null, s25, v10, v[7:8]
	v_mov_b32_e32 v7, v46
	s_cbranch_scc1 .LBB26_23
.LBB26_24:                              ;   in Loop: Header=BB26_5 Depth=1
	s_set_inst_prefetch_distance 0x2
	s_delay_alu instid0(VALU_DEP_1) | instskip(SKIP_1) | instid1(VALU_DEP_1)
	v_mad_u64_u32 v[46:47], null, s22, v9, v[7:8]
	v_mov_b32_e32 v47, v15
	v_lshlrev_b64 v[9:10], 1, v[46:47]
	s_delay_alu instid0(VALU_DEP_1) | instskip(NEXT) | instid1(VALU_DEP_2)
	v_add_co_u32 v9, vcc_lo, s12, v9
	v_add_co_ci_u32_e32 v10, vcc_lo, s13, v10, vcc_lo
	global_load_u16 v44, v[9:10], off
.LBB26_25:                              ;   in Loop: Header=BB26_5 Depth=1
	s_or_b32 exec_lo, exec_lo, s16
	v_add_nc_u32_e32 v9, s18, v8
	s_delay_alu instid0(VALU_DEP_1) | instskip(NEXT) | instid1(VALU_DEP_1)
	v_cmp_gt_u32_e64 s2, s4, v9
	s_and_saveexec_b32 s3, s2
	s_cbranch_execz .LBB26_30
; %bb.26:                               ;   in Loop: Header=BB26_5 Depth=1
	v_dual_mov_b32 v7, 0 :: v_dual_mov_b32 v10, v9
	s_and_not1_b32 vcc_lo, exec_lo, s23
	s_cbranch_vccnz .LBB26_29
; %bb.27:                               ;   in Loop: Header=BB26_5 Depth=1
	v_dual_mov_b32 v7, 0 :: v_dual_mov_b32 v10, v9
	s_mov_b64 s[16:17], s[14:15]
	s_mov_b32 s24, s8
	s_set_inst_prefetch_distance 0x1
	.p2align	6
.LBB26_28:                              ;   Parent Loop BB26_5 Depth=1
                                        ; =>  This Inner Loop Header: Depth=2
	s_clause 0x1
	s_load_b32 s25, s[16:17], 0x0
	s_load_b32 s26, s[16:17], 0x64
	s_add_i32 s24, s24, -1
	v_mov_b32_e32 v43, v10
	s_waitcnt lgkmcnt(0)
	v_cvt_f32_u32_e32 v14, s25
	s_sub_i32 s27, 0, s25
	s_add_u32 s16, s16, -4
	s_addc_u32 s17, s17, -1
	s_cmp_gt_u32 s24, 2
	v_rcp_iflag_f32_e32 v14, v14
	s_waitcnt_depctr 0xfff
	v_mul_f32_e32 v14, 0x4f7ffffe, v14
	s_delay_alu instid0(VALU_DEP_1) | instskip(NEXT) | instid1(VALU_DEP_1)
	v_cvt_u32_f32_e32 v14, v14
	v_mul_lo_u32 v17, s27, v14
	s_delay_alu instid0(VALU_DEP_1) | instskip(NEXT) | instid1(VALU_DEP_1)
	v_mul_hi_u32 v17, v14, v17
	v_add_nc_u32_e32 v10, v14, v17
	s_delay_alu instid0(VALU_DEP_1) | instskip(NEXT) | instid1(VALU_DEP_1)
	v_mul_hi_u32 v10, v43, v10
	v_mul_lo_u32 v14, v10, s25
	v_add_nc_u32_e32 v17, 1, v10
	s_delay_alu instid0(VALU_DEP_2) | instskip(NEXT) | instid1(VALU_DEP_1)
	v_sub_nc_u32_e32 v14, v43, v14
	v_subrev_nc_u32_e32 v46, s25, v14
	v_cmp_le_u32_e32 vcc_lo, s25, v14
	s_delay_alu instid0(VALU_DEP_4) | instskip(NEXT) | instid1(VALU_DEP_3)
	v_cndmask_b32_e32 v10, v10, v17, vcc_lo
	v_cndmask_b32_e32 v14, v14, v46, vcc_lo
	s_delay_alu instid0(VALU_DEP_2) | instskip(NEXT) | instid1(VALU_DEP_2)
	v_add_nc_u32_e32 v17, 1, v10
	v_cmp_le_u32_e32 vcc_lo, s25, v14
	s_delay_alu instid0(VALU_DEP_2) | instskip(NEXT) | instid1(VALU_DEP_1)
	v_cndmask_b32_e32 v10, v10, v17, vcc_lo
	v_mul_lo_u32 v14, v10, s25
	s_delay_alu instid0(VALU_DEP_1) | instskip(NEXT) | instid1(VALU_DEP_1)
	v_sub_nc_u32_e32 v14, v43, v14
	v_mad_u64_u32 v[46:47], null, s26, v14, v[7:8]
	s_delay_alu instid0(VALU_DEP_1)
	v_mov_b32_e32 v7, v46
	s_cbranch_scc1 .LBB26_28
.LBB26_29:                              ;   in Loop: Header=BB26_5 Depth=1
	s_set_inst_prefetch_distance 0x2
	s_delay_alu instid0(VALU_DEP_1) | instskip(SKIP_1) | instid1(VALU_DEP_1)
	v_mad_u64_u32 v[46:47], null, s22, v10, v[7:8]
	v_mov_b32_e32 v47, v15
	v_lshlrev_b64 v[46:47], 1, v[46:47]
	s_delay_alu instid0(VALU_DEP_1) | instskip(NEXT) | instid1(VALU_DEP_2)
	v_add_co_u32 v46, vcc_lo, s12, v46
	v_add_co_ci_u32_e32 v47, vcc_lo, s13, v47, vcc_lo
	global_load_u16 v43, v[46:47], off
.LBB26_30:                              ;   in Loop: Header=BB26_5 Depth=1
	s_or_b32 exec_lo, exec_lo, s3
	v_add_nc_u32_e32 v10, s18, v9
	s_delay_alu instid0(VALU_DEP_1) | instskip(NEXT) | instid1(VALU_DEP_1)
	v_cmp_gt_u32_e64 s3, s4, v10
	s_and_saveexec_b32 s24, s3
	s_cbranch_execnz .LBB26_35
; %bb.31:                               ;   in Loop: Header=BB26_5 Depth=1
	s_or_b32 exec_lo, exec_lo, s24
	s_and_saveexec_b32 s16, s0
	s_cbranch_execnz .LBB26_39
.LBB26_32:                              ;   in Loop: Header=BB26_5 Depth=1
	s_or_b32 exec_lo, exec_lo, s16
	s_and_saveexec_b32 s16, s1
	s_cbranch_execnz .LBB26_40
.LBB26_33:                              ;   in Loop: Header=BB26_5 Depth=1
	s_or_b32 exec_lo, exec_lo, s16
	s_and_saveexec_b32 s1, s2
	s_cbranch_execnz .LBB26_41
.LBB26_34:                              ;   in Loop: Header=BB26_5 Depth=1
	s_or_b32 exec_lo, exec_lo, s1
	s_and_saveexec_b32 s1, s3
	s_cbranch_execz .LBB26_4
	s_branch .LBB26_42
.LBB26_35:                              ;   in Loop: Header=BB26_5 Depth=1
	v_dual_mov_b32 v7, 0 :: v_dual_mov_b32 v14, v10
	s_and_not1_b32 vcc_lo, exec_lo, s23
	s_cbranch_vccnz .LBB26_38
; %bb.36:                               ;   in Loop: Header=BB26_5 Depth=1
	v_dual_mov_b32 v7, 0 :: v_dual_mov_b32 v14, v10
	s_mov_b64 s[16:17], s[14:15]
	s_mov_b32 s25, s8
	s_set_inst_prefetch_distance 0x1
	.p2align	6
.LBB26_37:                              ;   Parent Loop BB26_5 Depth=1
                                        ; =>  This Inner Loop Header: Depth=2
	s_clause 0x1
	s_load_b32 s26, s[16:17], 0x0
	s_load_b32 s27, s[16:17], 0x64
	s_add_i32 s25, s25, -1
	v_mov_b32_e32 v46, v14
	s_waitcnt lgkmcnt(0)
	v_cvt_f32_u32_e32 v17, s26
	s_sub_i32 s28, 0, s26
	s_add_u32 s16, s16, -4
	s_addc_u32 s17, s17, -1
	s_cmp_gt_u32 s25, 2
	v_rcp_iflag_f32_e32 v17, v17
	s_waitcnt_depctr 0xfff
	v_mul_f32_e32 v17, 0x4f7ffffe, v17
	s_delay_alu instid0(VALU_DEP_1) | instskip(NEXT) | instid1(VALU_DEP_1)
	v_cvt_u32_f32_e32 v17, v17
	v_mul_lo_u32 v42, s28, v17
	s_delay_alu instid0(VALU_DEP_1) | instskip(NEXT) | instid1(VALU_DEP_1)
	v_mul_hi_u32 v42, v17, v42
	v_add_nc_u32_e32 v14, v17, v42
	s_delay_alu instid0(VALU_DEP_1) | instskip(NEXT) | instid1(VALU_DEP_1)
	v_mul_hi_u32 v14, v46, v14
	v_mul_lo_u32 v17, v14, s26
	s_delay_alu instid0(VALU_DEP_1) | instskip(NEXT) | instid1(VALU_DEP_1)
	v_sub_nc_u32_e32 v17, v46, v17
	v_subrev_nc_u32_e32 v47, s26, v17
	v_cmp_le_u32_e32 vcc_lo, s26, v17
	s_delay_alu instid0(VALU_DEP_2) | instskip(NEXT) | instid1(VALU_DEP_1)
	v_dual_cndmask_b32 v17, v17, v47 :: v_dual_add_nc_u32 v42, 1, v14
	v_cndmask_b32_e32 v14, v14, v42, vcc_lo
	s_delay_alu instid0(VALU_DEP_2) | instskip(NEXT) | instid1(VALU_DEP_2)
	v_cmp_le_u32_e32 vcc_lo, s26, v17
	v_add_nc_u32_e32 v42, 1, v14
	s_delay_alu instid0(VALU_DEP_1) | instskip(NEXT) | instid1(VALU_DEP_1)
	v_cndmask_b32_e32 v14, v14, v42, vcc_lo
	v_mul_lo_u32 v17, v14, s26
	s_delay_alu instid0(VALU_DEP_1) | instskip(NEXT) | instid1(VALU_DEP_1)
	v_sub_nc_u32_e32 v17, v46, v17
	v_mad_u64_u32 v[46:47], null, s27, v17, v[7:8]
	s_delay_alu instid0(VALU_DEP_1)
	v_mov_b32_e32 v7, v46
	s_cbranch_scc1 .LBB26_37
.LBB26_38:                              ;   in Loop: Header=BB26_5 Depth=1
	s_set_inst_prefetch_distance 0x2
	s_delay_alu instid0(VALU_DEP_1) | instskip(SKIP_1) | instid1(VALU_DEP_1)
	v_mad_u64_u32 v[46:47], null, s22, v14, v[7:8]
	v_mov_b32_e32 v47, v15
	v_lshlrev_b64 v[46:47], 1, v[46:47]
	s_delay_alu instid0(VALU_DEP_1) | instskip(NEXT) | instid1(VALU_DEP_2)
	v_add_co_u32 v46, vcc_lo, s12, v46
	v_add_co_ci_u32_e32 v47, vcc_lo, s13, v47, vcc_lo
	global_load_u16 v42, v[46:47], off
	s_or_b32 exec_lo, exec_lo, s24
	s_and_saveexec_b32 s16, s0
	s_cbranch_execz .LBB26_32
.LBB26_39:                              ;   in Loop: Header=BB26_5 Depth=1
	v_cvt_f32_u32_e32 v0, v0
	v_mul_lo_u32 v14, v13, s21
	s_waitcnt vmcnt(0)
	s_delay_alu instid0(VALU_DEP_2) | instskip(NEXT) | instid1(VALU_DEP_2)
	v_dual_fmaak_f32 v0, 0x2f800000, v0, 0x2f800000 :: v_dual_lshlrev_b32 v7, 16, v45
	v_lshlrev_b64 v[46:47], 1, v[14:15]
	s_delay_alu instid0(VALU_DEP_2) | instskip(NEXT) | instid1(VALU_DEP_2)
	v_cmp_gt_f32_e32 vcc_lo, s5, v0
	v_add_co_u32 v46, s0, s10, v46
	v_cndmask_b32_e64 v0, 0, 1.0, vcc_lo
	s_delay_alu instid0(VALU_DEP_4) | instskip(NEXT) | instid1(VALU_DEP_2)
	v_add_co_ci_u32_e64 v47, s0, s11, v47, s0
	v_mul_f32_e32 v0, v0, v7
	s_delay_alu instid0(VALU_DEP_1) | instskip(NEXT) | instid1(VALU_DEP_1)
	v_mul_f32_e32 v0, v40, v0
	v_bfe_u32 v7, v0, 16, 1
	v_cmp_o_f32_e64 s0, v0, v0
	s_delay_alu instid0(VALU_DEP_2) | instskip(NEXT) | instid1(VALU_DEP_1)
	v_add3_u32 v7, v0, v7, 0x7fff
	v_lshrrev_b32_e32 v7, 16, v7
	s_delay_alu instid0(VALU_DEP_1)
	v_cndmask_b32_e64 v0, 0x7fc0, v7, s0
	v_cndmask_b32_e64 v7, 0, 1, vcc_lo
	global_store_b16 v[46:47], v0, off
	global_store_b8 v14, v7, s[6:7]
	s_or_b32 exec_lo, exec_lo, s16
	s_and_saveexec_b32 s16, s1
	s_cbranch_execz .LBB26_33
.LBB26_40:                              ;   in Loop: Header=BB26_5 Depth=1
	v_cvt_f32_u32_e32 v0, v1
	s_waitcnt vmcnt(0)
	v_lshlrev_b32_e32 v1, 16, v44
	v_mul_lo_u32 v14, v8, s21
	s_delay_alu instid0(VALU_DEP_3) | instskip(NEXT) | instid1(VALU_DEP_1)
	v_fmaak_f32 v0, 0x2f800000, v0, 0x2f800000
	v_cmp_gt_f32_e32 vcc_lo, s5, v0
	v_cndmask_b32_e64 v0, 0, 1.0, vcc_lo
	s_delay_alu instid0(VALU_DEP_1) | instskip(NEXT) | instid1(VALU_DEP_1)
	v_mul_f32_e32 v0, v0, v1
	v_mul_f32_e32 v7, v40, v0
	s_delay_alu instid0(VALU_DEP_1) | instskip(NEXT) | instid1(VALU_DEP_1)
	v_bfe_u32 v0, v7, 16, 1
	v_add3_u32 v8, v7, v0, 0x7fff
	v_lshlrev_b64 v[0:1], 1, v[14:15]
	s_delay_alu instid0(VALU_DEP_2) | instskip(NEXT) | instid1(VALU_DEP_2)
	v_lshrrev_b32_e32 v8, 16, v8
	v_add_co_u32 v0, s0, s10, v0
	s_delay_alu instid0(VALU_DEP_1) | instskip(SKIP_1) | instid1(VALU_DEP_1)
	v_add_co_ci_u32_e64 v1, s0, s11, v1, s0
	v_cmp_o_f32_e64 s0, v7, v7
	v_cndmask_b32_e64 v7, 0x7fc0, v8, s0
	v_cndmask_b32_e64 v8, 0, 1, vcc_lo
	global_store_b16 v[0:1], v7, off
	global_store_b8 v14, v8, s[6:7]
	s_or_b32 exec_lo, exec_lo, s16
	s_and_saveexec_b32 s1, s2
	s_cbranch_execz .LBB26_34
.LBB26_41:                              ;   in Loop: Header=BB26_5 Depth=1
	v_cvt_f32_u32_e32 v0, v2
	v_mul_lo_u32 v14, v9, s21
	s_waitcnt vmcnt(0)
	s_delay_alu instid0(VALU_DEP_2) | instskip(NEXT) | instid1(VALU_DEP_1)
	v_dual_fmaak_f32 v0, 0x2f800000, v0, 0x2f800000 :: v_dual_lshlrev_b32 v1, 16, v43
	v_cmp_gt_f32_e32 vcc_lo, s5, v0
	v_cndmask_b32_e64 v0, 0, 1.0, vcc_lo
	s_delay_alu instid0(VALU_DEP_1) | instskip(NEXT) | instid1(VALU_DEP_1)
	v_mul_f32_e32 v0, v0, v1
	v_mul_f32_e32 v2, v40, v0
	s_delay_alu instid0(VALU_DEP_1) | instskip(NEXT) | instid1(VALU_DEP_1)
	v_bfe_u32 v0, v2, 16, 1
	v_add3_u32 v7, v2, v0, 0x7fff
	v_lshlrev_b64 v[0:1], 1, v[14:15]
	s_delay_alu instid0(VALU_DEP_2) | instskip(NEXT) | instid1(VALU_DEP_2)
	v_lshrrev_b32_e32 v7, 16, v7
	v_add_co_u32 v0, s0, s10, v0
	s_delay_alu instid0(VALU_DEP_1) | instskip(SKIP_1) | instid1(VALU_DEP_1)
	v_add_co_ci_u32_e64 v1, s0, s11, v1, s0
	v_cmp_o_f32_e64 s0, v2, v2
	v_cndmask_b32_e64 v2, 0x7fc0, v7, s0
	v_cndmask_b32_e64 v7, 0, 1, vcc_lo
	global_store_b16 v[0:1], v2, off
	global_store_b8 v14, v7, s[6:7]
	s_or_b32 exec_lo, exec_lo, s1
	s_and_saveexec_b32 s1, s3
	s_cbranch_execz .LBB26_4
.LBB26_42:                              ;   in Loop: Header=BB26_5 Depth=1
	v_cvt_f32_u32_e32 v0, v3
	v_mul_lo_u32 v14, v10, s21
	s_waitcnt vmcnt(0)
	s_delay_alu instid0(VALU_DEP_2) | instskip(NEXT) | instid1(VALU_DEP_1)
	v_dual_fmaak_f32 v0, 0x2f800000, v0, 0x2f800000 :: v_dual_lshlrev_b32 v1, 16, v42
	v_cmp_gt_f32_e32 vcc_lo, s5, v0
	v_cndmask_b32_e64 v0, 0, 1.0, vcc_lo
	s_delay_alu instid0(VALU_DEP_1) | instskip(NEXT) | instid1(VALU_DEP_1)
	v_mul_f32_e32 v0, v0, v1
	v_mul_f32_e32 v2, v40, v0
	s_delay_alu instid0(VALU_DEP_1) | instskip(NEXT) | instid1(VALU_DEP_1)
	v_bfe_u32 v0, v2, 16, 1
	v_add3_u32 v3, v2, v0, 0x7fff
	v_lshlrev_b64 v[0:1], 1, v[14:15]
	s_delay_alu instid0(VALU_DEP_2) | instskip(NEXT) | instid1(VALU_DEP_2)
	v_lshrrev_b32_e32 v3, 16, v3
	v_add_co_u32 v0, s0, s10, v0
	s_delay_alu instid0(VALU_DEP_1) | instskip(SKIP_1) | instid1(VALU_DEP_1)
	v_add_co_ci_u32_e64 v1, s0, s11, v1, s0
	v_cmp_o_f32_e64 s0, v2, v2
	v_cndmask_b32_e64 v2, 0x7fc0, v3, s0
	v_cndmask_b32_e64 v3, 0, 1, vcc_lo
	global_store_b16 v[0:1], v2, off
	global_store_b8 v14, v3, s[6:7]
	s_branch .LBB26_4
.LBB26_43:
	s_endpgm
	.section	.rodata,"a",@progbits
	.p2align	6, 0x0
	.amdhsa_kernel _ZN2at6native12_GLOBAL__N_120fused_dropout_kernelIN3c108BFloat16EfjLin1ELi1EbEEvNS_4cuda6detail10TensorInfoIKT_T1_EENS7_IS8_SA_EENS7_IT4_SA_EESA_T0_NS_15PhiloxCudaStateE
		.amdhsa_group_segment_fixed_size 0
		.amdhsa_private_segment_fixed_size 0
		.amdhsa_kernarg_size 944
		.amdhsa_user_sgpr_count 15
		.amdhsa_user_sgpr_dispatch_ptr 0
		.amdhsa_user_sgpr_queue_ptr 0
		.amdhsa_user_sgpr_kernarg_segment_ptr 1
		.amdhsa_user_sgpr_dispatch_id 0
		.amdhsa_user_sgpr_private_segment_size 0
		.amdhsa_wavefront_size32 1
		.amdhsa_uses_dynamic_stack 0
		.amdhsa_enable_private_segment 0
		.amdhsa_system_sgpr_workgroup_id_x 1
		.amdhsa_system_sgpr_workgroup_id_y 0
		.amdhsa_system_sgpr_workgroup_id_z 0
		.amdhsa_system_sgpr_workgroup_info 0
		.amdhsa_system_vgpr_workitem_id 0
		.amdhsa_next_free_vgpr 48
		.amdhsa_next_free_sgpr 29
		.amdhsa_reserve_vcc 1
		.amdhsa_float_round_mode_32 0
		.amdhsa_float_round_mode_16_64 0
		.amdhsa_float_denorm_mode_32 3
		.amdhsa_float_denorm_mode_16_64 3
		.amdhsa_dx10_clamp 1
		.amdhsa_ieee_mode 1
		.amdhsa_fp16_overflow 0
		.amdhsa_workgroup_processor_mode 1
		.amdhsa_memory_ordered 1
		.amdhsa_forward_progress 0
		.amdhsa_shared_vgpr_count 0
		.amdhsa_exception_fp_ieee_invalid_op 0
		.amdhsa_exception_fp_denorm_src 0
		.amdhsa_exception_fp_ieee_div_zero 0
		.amdhsa_exception_fp_ieee_overflow 0
		.amdhsa_exception_fp_ieee_underflow 0
		.amdhsa_exception_fp_ieee_inexact 0
		.amdhsa_exception_int_div_zero 0
	.end_amdhsa_kernel
	.section	.text._ZN2at6native12_GLOBAL__N_120fused_dropout_kernelIN3c108BFloat16EfjLin1ELi1EbEEvNS_4cuda6detail10TensorInfoIKT_T1_EENS7_IS8_SA_EENS7_IT4_SA_EESA_T0_NS_15PhiloxCudaStateE,"axG",@progbits,_ZN2at6native12_GLOBAL__N_120fused_dropout_kernelIN3c108BFloat16EfjLin1ELi1EbEEvNS_4cuda6detail10TensorInfoIKT_T1_EENS7_IS8_SA_EENS7_IT4_SA_EESA_T0_NS_15PhiloxCudaStateE,comdat
.Lfunc_end26:
	.size	_ZN2at6native12_GLOBAL__N_120fused_dropout_kernelIN3c108BFloat16EfjLin1ELi1EbEEvNS_4cuda6detail10TensorInfoIKT_T1_EENS7_IS8_SA_EENS7_IT4_SA_EESA_T0_NS_15PhiloxCudaStateE, .Lfunc_end26-_ZN2at6native12_GLOBAL__N_120fused_dropout_kernelIN3c108BFloat16EfjLin1ELi1EbEEvNS_4cuda6detail10TensorInfoIKT_T1_EENS7_IS8_SA_EENS7_IT4_SA_EESA_T0_NS_15PhiloxCudaStateE
                                        ; -- End function
	.section	.AMDGPU.csdata,"",@progbits
; Kernel info:
; codeLenInByte = 3996
; NumSgprs: 31
; NumVgprs: 48
; ScratchSize: 0
; MemoryBound: 0
; FloatMode: 240
; IeeeMode: 1
; LDSByteSize: 0 bytes/workgroup (compile time only)
; SGPRBlocks: 3
; VGPRBlocks: 5
; NumSGPRsForWavesPerEU: 31
; NumVGPRsForWavesPerEU: 48
; Occupancy: 16
; WaveLimiterHint : 1
; COMPUTE_PGM_RSRC2:SCRATCH_EN: 0
; COMPUTE_PGM_RSRC2:USER_SGPR: 15
; COMPUTE_PGM_RSRC2:TRAP_HANDLER: 0
; COMPUTE_PGM_RSRC2:TGID_X_EN: 1
; COMPUTE_PGM_RSRC2:TGID_Y_EN: 0
; COMPUTE_PGM_RSRC2:TGID_Z_EN: 0
; COMPUTE_PGM_RSRC2:TIDIG_COMP_CNT: 0
	.section	.text._ZN2at6native12_GLOBAL__N_120fused_dropout_kernelIN3c108BFloat16EfjLin1ELin1EbEEvNS_4cuda6detail10TensorInfoIKT_T1_EENS7_IS8_SA_EENS7_IT4_SA_EESA_T0_NS_15PhiloxCudaStateE,"axG",@progbits,_ZN2at6native12_GLOBAL__N_120fused_dropout_kernelIN3c108BFloat16EfjLin1ELin1EbEEvNS_4cuda6detail10TensorInfoIKT_T1_EENS7_IS8_SA_EENS7_IT4_SA_EESA_T0_NS_15PhiloxCudaStateE,comdat
	.globl	_ZN2at6native12_GLOBAL__N_120fused_dropout_kernelIN3c108BFloat16EfjLin1ELin1EbEEvNS_4cuda6detail10TensorInfoIKT_T1_EENS7_IS8_SA_EENS7_IT4_SA_EESA_T0_NS_15PhiloxCudaStateE ; -- Begin function _ZN2at6native12_GLOBAL__N_120fused_dropout_kernelIN3c108BFloat16EfjLin1ELin1EbEEvNS_4cuda6detail10TensorInfoIKT_T1_EENS7_IS8_SA_EENS7_IT4_SA_EESA_T0_NS_15PhiloxCudaStateE
	.p2align	8
	.type	_ZN2at6native12_GLOBAL__N_120fused_dropout_kernelIN3c108BFloat16EfjLin1ELin1EbEEvNS_4cuda6detail10TensorInfoIKT_T1_EENS7_IS8_SA_EENS7_IT4_SA_EESA_T0_NS_15PhiloxCudaStateE,@function
_ZN2at6native12_GLOBAL__N_120fused_dropout_kernelIN3c108BFloat16EfjLin1ELin1EbEEvNS_4cuda6detail10TensorInfoIKT_T1_EENS7_IS8_SA_EENS7_IT4_SA_EESA_T0_NS_15PhiloxCudaStateE: ; @_ZN2at6native12_GLOBAL__N_120fused_dropout_kernelIN3c108BFloat16EfjLin1ELin1EbEEvNS_4cuda6detail10TensorInfoIKT_T1_EENS7_IS8_SA_EENS7_IT4_SA_EESA_T0_NS_15PhiloxCudaStateE
; %bb.0:
	s_clause 0x1
	s_load_b128 s[4:7], s[0:1], 0x290
	s_load_b32 s2, s[0:1], 0x2a8
	s_waitcnt lgkmcnt(0)
	v_dual_mov_b32 v1, s6 :: v_dual_mov_b32 v2, s7
	v_dual_mov_b32 v12, s5 :: v_dual_mov_b32 v11, s4
	s_bitcmp0_b32 s2, 0
	s_cbranch_scc1 .LBB27_2
; %bb.1:
	v_dual_mov_b32 v1, s6 :: v_dual_mov_b32 v2, s7
	v_dual_mov_b32 v3, s4 :: v_dual_mov_b32 v4, s5
	s_load_b64 s[2:3], s[0:1], 0x2a0
	flat_load_b64 v[1:2], v[1:2]
	flat_load_b64 v[11:12], v[3:4]
	s_waitcnt vmcnt(1) lgkmcnt(0)
	v_add_co_u32 v1, vcc_lo, v1, s2
	v_add_co_ci_u32_e32 v2, vcc_lo, s3, v2, vcc_lo
.LBB27_2:
	s_clause 0x2
	s_load_b32 s2, s[0:1], 0x2bc
	s_load_b32 s20, s[0:1], 0x2b0
	s_load_b64 s[4:5], s[0:1], 0x288
	s_waitcnt lgkmcnt(0)
	s_and_b32 s2, s2, 0xffff
	s_add_i32 s7, s4, -1
	s_mul_i32 s20, s20, s2
	v_mad_u64_u32 v[13:14], null, s15, s2, v[0:1]
	s_lshl_b32 s21, s20, 2
	s_delay_alu instid0(SALU_CYCLE_1) | instskip(SKIP_1) | instid1(VALU_DEP_1)
	v_cvt_f32_u32_e32 v3, s21
	s_sub_i32 s6, 0, s21
	v_rcp_iflag_f32_e32 v3, v3
	s_waitcnt_depctr 0xfff
	v_mul_f32_e32 v3, 0x4f7ffffe, v3
	s_delay_alu instid0(VALU_DEP_1) | instskip(NEXT) | instid1(VALU_DEP_1)
	v_cvt_u32_f32_e32 v3, v3
	v_readfirstlane_b32 s3, v3
	s_delay_alu instid0(VALU_DEP_1) | instskip(NEXT) | instid1(SALU_CYCLE_1)
	s_mul_i32 s6, s6, s3
	s_mul_hi_u32 s6, s3, s6
	s_delay_alu instid0(SALU_CYCLE_1) | instskip(NEXT) | instid1(SALU_CYCLE_1)
	s_add_i32 s3, s3, s6
	s_mul_hi_u32 s3, s7, s3
	s_delay_alu instid0(SALU_CYCLE_1) | instskip(NEXT) | instid1(SALU_CYCLE_1)
	s_mul_i32 s6, s3, s21
	s_sub_i32 s6, s7, s6
	s_add_i32 s7, s3, 1
	s_sub_i32 s8, s6, s21
	s_cmp_ge_u32 s6, s21
	s_cselect_b32 s2, s7, s3
	s_cselect_b32 s3, s8, s6
	s_add_i32 s6, s2, 1
	s_cmp_ge_u32 s3, s21
	s_cselect_b32 s2, s6, s2
	s_delay_alu instid0(SALU_CYCLE_1) | instskip(NEXT) | instid1(SALU_CYCLE_1)
	s_add_i32 s2, s2, 1
	s_mul_i32 s22, s21, s2
	s_mov_b32 s2, exec_lo
	v_cmpx_gt_u32_e64 s22, v13
	s_cbranch_execz .LBB27_55
; %bb.3:
	v_mad_u64_u32 v[3:4], null, 0xcd9e8d57, v13, 0
	v_alignbit_b32 v16, v2, v1, 2
	v_lshrrev_b32_e32 v17, 2, v2
	s_waitcnt vmcnt(0)
	v_dual_mov_b32 v14, v12 :: v_dual_mov_b32 v23, 0
	v_add_co_u32 v19, null, 0x9e3779b9, v11
	v_mad_u64_u32 v[5:6], null, 0xd2511f53, v16, 0
	v_xor3_b32 v0, v11, v4, v17
	s_delay_alu instid0(VALU_DEP_4) | instskip(SKIP_1) | instid1(VALU_DEP_3)
	v_add_co_u32 v18, null, 0xbb67ae85, v14
	v_add_co_u32 v20, null, 0x3c6ef372, v11
	v_mad_u64_u32 v[7:8], null, 0xd2511f53, v0, 0
	v_xor_b32_e32 v0, v6, v12
	v_add_co_u32 v21, null, 0x76cf5d0a, v14
	v_add_co_u32 v22, null, 0x32370b8f, v14
	s_delay_alu instid0(VALU_DEP_3) | instskip(SKIP_3) | instid1(VALU_DEP_3)
	v_mad_u64_u32 v[9:10], null, 0xcd9e8d57, v0, 0
	v_xor3_b32 v0, v18, v8, v5
	v_add_co_u32 v25, null, 0xdaa66d2b, v11
	v_add_co_u32 v28, null, 0x78dde6e4, v11
	v_mad_u64_u32 v[4:5], null, 0xcd9e8d57, v0, 0
	v_xor3_b32 v0, v10, v19, v3
	v_add_co_u32 v29, null, 0xed9eba14, v14
	v_add_co_u32 v31, null, 0xa9066899, v14
	s_delay_alu instid0(VALU_DEP_3)
	v_mad_u64_u32 v[2:3], null, 0xd2511f53, v0, 0
	v_xor3_b32 v0, v20, v5, v9
	v_div_scale_f32 v9, vcc_lo, 1.0, s5, 1.0
	v_and_b32_e32 v24, 3, v1
	v_add_co_u32 v32, null, 0x1715609d, v11
	v_xor3_b32 v3, v3, v21, v7
	v_mad_u64_u32 v[5:6], null, 0xd2511f53, v0, 0
	v_div_scale_f32 v8, null, s5, s5, 1.0
	s_delay_alu instid0(VALU_DEP_3) | instskip(SKIP_1) | instid1(VALU_DEP_4)
	v_mad_u64_u32 v[0:1], null, 0xcd9e8d57, v3, 0
	v_add_co_u32 v30, null, 0xb54cda56, v11
	v_xor3_b32 v6, v22, v6, v2
	s_delay_alu instid0(VALU_DEP_4) | instskip(SKIP_1) | instid1(VALU_DEP_4)
	v_rcp_f32_e32 v10, v8
	v_add_co_u32 v35, null, 0x646e171e, v14
	v_xor3_b32 v1, v1, v25, v4
	s_delay_alu instid0(VALU_DEP_3)
	v_mad_u64_u32 v[2:3], null, 0xcd9e8d57, v6, 0
	s_clause 0x2
	s_load_b32 s14, s[0:1], 0xd0
	s_load_b32 s24, s[0:1], 0x6c
	s_load_b64 s[12:13], s[0:1], 0x0
	v_mad_u64_u32 v[6:7], null, 0xd2511f53, v1, 0
	s_clause 0x1
	s_load_b64 s[8:9], s[0:1], 0x1b0
	s_load_b32 s17, s[0:1], 0x1a8
	v_xor3_b32 v3, v28, v3, v0
	v_add_co_u32 v33, null, 0x5384540f, v11
	v_add_co_u32 v36, null, 0x1fd5c5a3, v14
	s_delay_alu instid0(VALU_DEP_4) | instskip(NEXT) | instid1(VALU_DEP_4)
	v_xor3_b32 v5, v7, v29, v5
	v_mad_u64_u32 v[0:1], null, 0xd2511f53, v3, 0
	v_fma_f32 v7, -v8, v10, 1.0
	v_add_nc_u32_e32 v27, 0x96a522ad, v12
	s_delay_alu instid0(VALU_DEP_4) | instskip(SKIP_1) | instid1(VALU_DEP_4)
	v_mad_u64_u32 v[3:4], null, 0xcd9e8d57, v5, 0
	v_add_co_u32 v34, null, 0xf1bbcdc8, v11
	v_fmac_f32_e32 v10, v7, v10
	v_xor3_b32 v1, v31, v1, v6
	v_add_co_u32 v37, null, 0xdb3d7428, v14
	v_xor3_b32 v4, v4, v32, v2
	s_delay_alu instid0(VALU_DEP_4) | instskip(NEXT) | instid1(VALU_DEP_4)
	v_mul_f32_e32 v15, v9, v10
	v_mad_u64_u32 v[5:6], null, 0xcd9e8d57, v1, 0
	s_add_u32 s16, s0, 0xd8
	s_delay_alu instid0(VALU_DEP_3) | instskip(NEXT) | instid1(VALU_DEP_3)
	v_mad_u64_u32 v[1:2], null, 0xd2511f53, v4, 0
	v_fma_f32 v38, -v8, v15, v9
	s_addc_u32 s18, s1, 0
	v_add_nc_u32_e32 v26, 0x8ff34781, v11
	s_delay_alu instid0(VALU_DEP_4)
	v_xor3_b32 v6, v30, v6, v3
	s_clause 0x1
	s_load_b32 s23, s[0:1], 0x144
	s_load_b64 s[10:11], s[0:1], 0xd8
	v_fmac_f32_e32 v15, v38, v10
	v_xor3_b32 v0, v2, v35, v0
	s_waitcnt lgkmcnt(0)
	s_cmp_gt_i32 s14, 1
	v_mad_u64_u32 v[3:4], null, 0xd2511f53, v6, 0
	s_cselect_b32 s25, -1, 0
	v_mad_u64_u32 v[6:7], null, 0xcd9e8d57, v0, 0
	s_cmp_gt_i32 s17, 1
	s_mov_b32 s7, 0
	s_cselect_b32 s26, -1, 0
	s_delay_alu instid0(VALU_DEP_2) | instskip(SKIP_2) | instid1(VALU_DEP_2)
	v_xor3_b32 v2, v36, v4, v1
	s_add_i32 s6, s14, -1
	s_add_i32 s27, s14, 1
	v_xor3_b32 v7, v7, v33, v5
	s_lshl_b64 s[2:3], s[6:7], 2
	v_mad_u64_u32 v[0:1], null, 0xcd9e8d57, v2, 0
	s_add_u32 s0, s2, s0
	s_delay_alu instid0(VALU_DEP_2) | instskip(SKIP_3) | instid1(VALU_DEP_3)
	v_mad_u64_u32 v[4:5], null, 0xd2511f53, v7, 0
	v_fma_f32 v7, -v8, v15, v9
	s_addc_u32 s1, s3, s1
	s_add_u32 s14, s0, 8
	v_xor3_b32 v1, v34, v1, v6
	s_addc_u32 s15, s1, 0
	s_add_i32 s6, s17, -1
	s_delay_alu instid0(VALU_DEP_3) | instskip(SKIP_3) | instid1(VALU_DEP_2)
	v_xor3_b32 v3, v5, v37, v3
	s_lshl_b64 s[0:1], s[6:7], 2
	v_mad_u64_u32 v[5:6], null, 0xd2511f53, v1, 0
	s_add_i32 s6, s17, 1
	v_mad_u64_u32 v[1:2], null, 0xcd9e8d57, v3, 0
	v_div_fmas_f32 v3, v7, v10, v15
	s_add_u32 s0, s0, s16
	v_dual_mov_b32 v39, v13 :: v_dual_mov_b32 v40, 0
	s_addc_u32 s1, s1, s18
	s_delay_alu instid0(VALU_DEP_2) | instskip(NEXT) | instid1(VALU_DEP_4)
	v_div_fixup_f32 v38, v3, s5, 1.0
	v_xor3_b32 v0, v0, v2, v26
	v_xor3_b32 v2, v6, v4, v27
	v_mov_b32_e32 v3, v5
	s_add_u32 s16, s0, 8
	s_addc_u32 s17, s1, 0
                                        ; implicit-def: $vgpr41
                                        ; implicit-def: $vgpr42
                                        ; implicit-def: $vgpr43
                                        ; implicit-def: $vgpr44
	s_branch .LBB27_6
.LBB27_4:                               ;   in Loop: Header=BB27_6 Depth=1
	s_set_inst_prefetch_distance 0x2
	v_cvt_f32_u32_e32 v1, v3
	s_waitcnt vmcnt(0)
	v_lshlrev_b32_e32 v2, 16, v41
	s_delay_alu instid0(VALU_DEP_2) | instskip(NEXT) | instid1(VALU_DEP_1)
	v_fmaak_f32 v1, 0x2f800000, v1, 0x2f800000
	v_cmp_gt_f32_e32 vcc_lo, s5, v1
	v_cndmask_b32_e64 v1, 0, 1.0, vcc_lo
	s_delay_alu instid0(VALU_DEP_1) | instskip(NEXT) | instid1(VALU_DEP_1)
	v_mul_f32_e32 v1, v1, v2
	v_mul_f32_e32 v7, v38, v1
	v_mad_u64_u32 v[1:2], null, s23, v8, v[0:1]
	v_mov_b32_e32 v2, v23
	s_delay_alu instid0(VALU_DEP_3) | instskip(NEXT) | instid1(VALU_DEP_2)
	v_bfe_u32 v0, v7, 16, 1
	v_lshlrev_b64 v[2:3], 1, v[1:2]
	s_delay_alu instid0(VALU_DEP_2) | instskip(NEXT) | instid1(VALU_DEP_2)
	v_add3_u32 v0, v7, v0, 0x7fff
	v_add_co_u32 v2, s0, s10, v2
	s_delay_alu instid0(VALU_DEP_1) | instskip(NEXT) | instid1(VALU_DEP_3)
	v_add_co_ci_u32_e64 v3, s0, s11, v3, s0
	v_lshrrev_b32_e32 v0, 16, v0
	v_cmp_o_f32_e64 s0, v7, v7
	v_cndmask_b32_e64 v7, 0, 1, vcc_lo
	s_delay_alu instid0(VALU_DEP_2)
	v_cndmask_b32_e64 v0, 0x7fc0, v0, s0
	global_store_b16 v[2:3], v0, off
	global_store_b8 v1, v7, s[8:9]
.LBB27_5:                               ;   in Loop: Header=BB27_6 Depth=1
	s_or_b32 exec_lo, exec_lo, s2
	v_mov_b32_e32 v7, v14
	v_dual_mov_b32 v0, v4 :: v_dual_add_nc_u32 v13, s21, v13
	v_dual_mov_b32 v1, v5 :: v_dual_mov_b32 v2, v6
	s_delay_alu instid0(VALU_DEP_3) | instskip(NEXT) | instid1(VALU_DEP_3)
	v_mov_b32_e32 v3, v7
	v_cmp_le_u32_e32 vcc_lo, s22, v13
	s_waitcnt vmcnt(0)
	s_waitcnt_vscnt null, 0x0
	s_barrier
	buffer_gl0_inv
	s_or_b32 s7, vcc_lo, s7
	s_delay_alu instid0(SALU_CYCLE_1)
	s_and_not1_b32 exec_lo, exec_lo, s7
	s_cbranch_execz .LBB27_55
.LBB27_6:                               ; =>This Loop Header: Depth=1
                                        ;     Child Loop BB27_19 Depth 2
                                        ;     Child Loop BB27_24 Depth 2
                                        ;     Child Loop BB27_29 Depth 2
                                        ;     Child Loop BB27_38 Depth 2
                                        ;     Child Loop BB27_42 Depth 2
                                        ;     Child Loop BB27_46 Depth 2
                                        ;     Child Loop BB27_50 Depth 2
                                        ;     Child Loop BB27_54 Depth 2
	v_add_co_u32 v16, vcc_lo, v16, 1
	s_delay_alu instid0(VALU_DEP_1) | instskip(SKIP_2) | instid1(VALU_DEP_1)
	v_cndmask_b32_e64 v4, 0, 1, vcc_lo
	v_add_co_ci_u32_e32 v17, vcc_lo, 0, v17, vcc_lo
	s_mov_b32 s0, exec_lo
	v_cmp_eq_u32_e32 vcc_lo, 0, v17
	s_delay_alu instid0(VALU_DEP_3) | instskip(NEXT) | instid1(VALU_DEP_1)
	v_cndmask_b32_e32 v4, 0, v4, vcc_lo
	v_add_nc_u32_e32 v39, v4, v39
	s_delay_alu instid0(VALU_DEP_1) | instskip(SKIP_2) | instid1(VALU_DEP_2)
	v_cmp_eq_u32_e32 vcc_lo, 0, v39
	v_cndmask_b32_e32 v4, 0, v4, vcc_lo
	v_mad_u64_u32 v[6:7], null, 0xcd9e8d57, v39, 0
	v_add_nc_u32_e32 v40, v4, v40
	v_mad_u64_u32 v[4:5], null, 0xd2511f53, v16, 0
	s_delay_alu instid0(VALU_DEP_3) | instskip(NEXT) | instid1(VALU_DEP_2)
	v_xor3_b32 v9, v7, v11, v17
	v_xor_b32_e32 v5, v5, v12
	s_delay_alu instid0(VALU_DEP_2) | instskip(NEXT) | instid1(VALU_DEP_2)
	v_mad_u64_u32 v[7:8], null, 0xd2511f53, v9, 0
	v_xor_b32_e32 v5, v40, v5
	s_delay_alu instid0(VALU_DEP_2) | instskip(NEXT) | instid1(VALU_DEP_2)
	v_xor3_b32 v8, v18, v8, v4
	v_mad_u64_u32 v[9:10], null, 0xcd9e8d57, v5, 0
	s_delay_alu instid0(VALU_DEP_2) | instskip(NEXT) | instid1(VALU_DEP_2)
	v_mad_u64_u32 v[4:5], null, 0xcd9e8d57, v8, 0
	v_xor3_b32 v6, v19, v10, v6
	s_delay_alu instid0(VALU_DEP_2) | instskip(NEXT) | instid1(VALU_DEP_2)
	v_xor3_b32 v8, v20, v5, v9
	v_mad_u64_u32 v[14:15], null, 0xd2511f53, v6, 0
	s_delay_alu instid0(VALU_DEP_2) | instskip(NEXT) | instid1(VALU_DEP_2)
	v_mad_u64_u32 v[5:6], null, 0xd2511f53, v8, 0
	v_xor3_b32 v9, v21, v15, v7
	s_delay_alu instid0(VALU_DEP_2) | instskip(NEXT) | instid1(VALU_DEP_2)
	v_xor3_b32 v6, v22, v6, v14
	v_mad_u64_u32 v[7:8], null, 0xcd9e8d57, v9, 0
	s_delay_alu instid0(VALU_DEP_1) | instskip(NEXT) | instid1(VALU_DEP_3)
	v_xor3_b32 v4, v25, v8, v4
	v_mad_u64_u32 v[8:9], null, 0xcd9e8d57, v6, 0
	s_delay_alu instid0(VALU_DEP_2) | instskip(NEXT) | instid1(VALU_DEP_2)
	v_mad_u64_u32 v[14:15], null, 0xd2511f53, v4, 0
	v_xor3_b32 v6, v28, v9, v7
	s_delay_alu instid0(VALU_DEP_2) | instskip(NEXT) | instid1(VALU_DEP_2)
	v_xor3_b32 v9, v29, v15, v5
	v_mad_u64_u32 v[4:5], null, 0xd2511f53, v6, 0
	s_delay_alu instid0(VALU_DEP_2) | instskip(NEXT) | instid1(VALU_DEP_2)
	v_mad_u64_u32 v[6:7], null, 0xcd9e8d57, v9, 0
	v_xor3_b32 v5, v31, v5, v14
	s_delay_alu instid0(VALU_DEP_2) | instskip(NEXT) | instid1(VALU_DEP_2)
	;; [unrolled: 6-line block ×6, first 2 shown]
	v_xor3_b32 v4, v6, v7, v26
	v_mov_b32_e32 v6, v10
	v_cmpx_lt_i32_e32 1, v24
	s_xor_b32 s0, exec_lo, s0
	s_cbranch_execnz .LBB27_9
; %bb.7:                                ;   in Loop: Header=BB27_6 Depth=1
	s_and_not1_saveexec_b32 s0, s0
	s_cbranch_execnz .LBB27_14
.LBB27_8:                               ;   in Loop: Header=BB27_6 Depth=1
	s_or_b32 exec_lo, exec_lo, s0
	v_cmp_gt_u32_e64 s3, s4, v13
	s_delay_alu instid0(VALU_DEP_1)
	s_and_saveexec_b32 s2, s3
	s_cbranch_execnz .LBB27_17
	s_branch .LBB27_21
.LBB27_9:                               ;   in Loop: Header=BB27_6 Depth=1
	s_mov_b32 s1, exec_lo
	v_cmpx_lt_i32_e32 2, v24
	s_xor_b32 s1, exec_lo, s1
; %bb.10:                               ;   in Loop: Header=BB27_6 Depth=1
	v_dual_mov_b32 v7, v3 :: v_dual_mov_b32 v8, v4
	v_mov_b32_e32 v9, v5
	s_delay_alu instid0(VALU_DEP_2) | instskip(NEXT) | instid1(VALU_DEP_2)
	v_dual_mov_b32 v0, v7 :: v_dual_mov_b32 v1, v8
	v_dual_mov_b32 v2, v9 :: v_dual_mov_b32 v3, v10
; %bb.11:                               ;   in Loop: Header=BB27_6 Depth=1
	s_and_not1_saveexec_b32 s1, s1
; %bb.12:                               ;   in Loop: Header=BB27_6 Depth=1
	s_delay_alu instid0(VALU_DEP_1)
	v_dual_mov_b32 v0, v2 :: v_dual_mov_b32 v1, v3
	v_dual_mov_b32 v2, v4 :: v_dual_mov_b32 v3, v5
; %bb.13:                               ;   in Loop: Header=BB27_6 Depth=1
	s_or_b32 exec_lo, exec_lo, s1
	s_and_not1_saveexec_b32 s0, s0
	s_cbranch_execz .LBB27_8
.LBB27_14:                              ;   in Loop: Header=BB27_6 Depth=1
	s_mov_b32 s1, exec_lo
	v_cmpx_eq_u32_e32 1, v24
; %bb.15:                               ;   in Loop: Header=BB27_6 Depth=1
	v_dual_mov_b32 v0, v1 :: v_dual_mov_b32 v1, v2
	v_dual_mov_b32 v2, v3 :: v_dual_mov_b32 v3, v4
; %bb.16:                               ;   in Loop: Header=BB27_6 Depth=1
	s_or_b32 exec_lo, exec_lo, s1
	s_delay_alu instid0(SALU_CYCLE_1) | instskip(SKIP_1) | instid1(VALU_DEP_1)
	s_or_b32 exec_lo, exec_lo, s0
	v_cmp_gt_u32_e64 s3, s4, v13
	s_and_saveexec_b32 s2, s3
	s_cbranch_execz .LBB27_21
.LBB27_17:                              ;   in Loop: Header=BB27_6 Depth=1
	v_dual_mov_b32 v7, 0 :: v_dual_mov_b32 v8, v13
	s_and_not1_b32 vcc_lo, exec_lo, s25
	s_cbranch_vccnz .LBB27_20
; %bb.18:                               ;   in Loop: Header=BB27_6 Depth=1
	v_dual_mov_b32 v7, 0 :: v_dual_mov_b32 v8, v13
	s_mov_b64 s[0:1], s[14:15]
	s_mov_b32 s18, s27
	s_set_inst_prefetch_distance 0x1
	.p2align	6
.LBB27_19:                              ;   Parent Loop BB27_6 Depth=1
                                        ; =>  This Inner Loop Header: Depth=2
	s_clause 0x1
	s_load_b32 s19, s[0:1], 0x0
	s_load_b32 s28, s[0:1], 0x64
	s_add_i32 s18, s18, -1
	s_waitcnt lgkmcnt(0)
	v_cvt_f32_u32_e32 v9, s19
	s_sub_i32 s29, 0, s19
	s_add_u32 s0, s0, -4
	s_addc_u32 s1, s1, -1
	s_cmp_gt_u32 s18, 2
	v_rcp_iflag_f32_e32 v9, v9
	s_waitcnt_depctr 0xfff
	v_mul_f32_e32 v9, 0x4f7ffffe, v9
	s_delay_alu instid0(VALU_DEP_1) | instskip(NEXT) | instid1(VALU_DEP_1)
	v_cvt_u32_f32_e32 v9, v9
	v_mul_lo_u32 v10, s29, v9
	s_delay_alu instid0(VALU_DEP_1) | instskip(NEXT) | instid1(VALU_DEP_1)
	v_mul_hi_u32 v10, v9, v10
	v_dual_mov_b32 v15, v8 :: v_dual_add_nc_u32 v8, v9, v10
	s_delay_alu instid0(VALU_DEP_1) | instskip(NEXT) | instid1(VALU_DEP_1)
	v_mul_hi_u32 v8, v15, v8
	v_mul_lo_u32 v9, v8, s19
	v_add_nc_u32_e32 v10, 1, v8
	s_delay_alu instid0(VALU_DEP_2) | instskip(NEXT) | instid1(VALU_DEP_1)
	v_sub_nc_u32_e32 v9, v15, v9
	v_subrev_nc_u32_e32 v44, s19, v9
	v_cmp_le_u32_e32 vcc_lo, s19, v9
	s_delay_alu instid0(VALU_DEP_2) | instskip(NEXT) | instid1(VALU_DEP_1)
	v_dual_cndmask_b32 v8, v8, v10 :: v_dual_cndmask_b32 v9, v9, v44
	v_add_nc_u32_e32 v10, 1, v8
	s_delay_alu instid0(VALU_DEP_2) | instskip(NEXT) | instid1(VALU_DEP_2)
	v_cmp_le_u32_e32 vcc_lo, s19, v9
	v_cndmask_b32_e32 v8, v8, v10, vcc_lo
	s_delay_alu instid0(VALU_DEP_1) | instskip(NEXT) | instid1(VALU_DEP_1)
	v_mul_lo_u32 v9, v8, s19
	v_sub_nc_u32_e32 v15, v15, v9
	s_delay_alu instid0(VALU_DEP_1) | instskip(NEXT) | instid1(VALU_DEP_1)
	v_mad_u64_u32 v[9:10], null, s28, v15, v[7:8]
	v_mov_b32_e32 v7, v9
	s_cbranch_scc1 .LBB27_19
.LBB27_20:                              ;   in Loop: Header=BB27_6 Depth=1
	s_set_inst_prefetch_distance 0x2
	s_delay_alu instid0(VALU_DEP_1) | instskip(SKIP_1) | instid1(VALU_DEP_1)
	v_mad_u64_u32 v[9:10], null, s24, v8, v[7:8]
	v_mov_b32_e32 v10, v23
	v_lshlrev_b64 v[7:8], 1, v[9:10]
	s_delay_alu instid0(VALU_DEP_1) | instskip(NEXT) | instid1(VALU_DEP_2)
	v_add_co_u32 v7, vcc_lo, s12, v7
	v_add_co_ci_u32_e32 v8, vcc_lo, s13, v8, vcc_lo
	global_load_u16 v44, v[7:8], off
.LBB27_21:                              ;   in Loop: Header=BB27_6 Depth=1
	s_or_b32 exec_lo, exec_lo, s2
	v_add_nc_u32_e32 v10, s20, v13
	s_delay_alu instid0(VALU_DEP_1) | instskip(NEXT) | instid1(VALU_DEP_1)
	v_cmp_gt_u32_e64 s2, s4, v10
	s_and_saveexec_b32 s18, s2
	s_cbranch_execz .LBB27_26
; %bb.22:                               ;   in Loop: Header=BB27_6 Depth=1
	v_dual_mov_b32 v7, 0 :: v_dual_mov_b32 v8, v10
	s_and_not1_b32 vcc_lo, exec_lo, s25
	s_cbranch_vccnz .LBB27_25
; %bb.23:                               ;   in Loop: Header=BB27_6 Depth=1
	v_dual_mov_b32 v7, 0 :: v_dual_mov_b32 v8, v10
	s_mov_b64 s[0:1], s[14:15]
	s_mov_b32 s19, s27
	s_set_inst_prefetch_distance 0x1
	.p2align	6
.LBB27_24:                              ;   Parent Loop BB27_6 Depth=1
                                        ; =>  This Inner Loop Header: Depth=2
	s_clause 0x1
	s_load_b32 s28, s[0:1], 0x0
	s_load_b32 s29, s[0:1], 0x64
	s_add_i32 s19, s19, -1
	s_waitcnt lgkmcnt(0)
	v_cvt_f32_u32_e32 v9, s28
	s_sub_i32 s30, 0, s28
	s_add_u32 s0, s0, -4
	s_addc_u32 s1, s1, -1
	s_cmp_gt_u32 s19, 2
	v_rcp_iflag_f32_e32 v9, v9
	s_waitcnt_depctr 0xfff
	v_mul_f32_e32 v9, 0x4f7ffffe, v9
	s_delay_alu instid0(VALU_DEP_1) | instskip(NEXT) | instid1(VALU_DEP_1)
	v_cvt_u32_f32_e32 v9, v9
	v_mul_lo_u32 v15, s30, v9
	s_delay_alu instid0(VALU_DEP_1) | instskip(NEXT) | instid1(VALU_DEP_1)
	v_mul_hi_u32 v15, v9, v15
	v_dual_mov_b32 v43, v8 :: v_dual_add_nc_u32 v8, v9, v15
	s_delay_alu instid0(VALU_DEP_1) | instskip(NEXT) | instid1(VALU_DEP_1)
	v_mul_hi_u32 v8, v43, v8
	v_mul_lo_u32 v9, v8, s28
	v_add_nc_u32_e32 v15, 1, v8
	s_delay_alu instid0(VALU_DEP_2) | instskip(NEXT) | instid1(VALU_DEP_1)
	v_sub_nc_u32_e32 v9, v43, v9
	v_cmp_le_u32_e32 vcc_lo, s28, v9
	v_subrev_nc_u32_e32 v45, s28, v9
	s_delay_alu instid0(VALU_DEP_4) | instskip(NEXT) | instid1(VALU_DEP_1)
	v_cndmask_b32_e32 v8, v8, v15, vcc_lo
	v_add_nc_u32_e32 v15, 1, v8
	s_delay_alu instid0(VALU_DEP_3) | instskip(NEXT) | instid1(VALU_DEP_1)
	v_cndmask_b32_e32 v9, v9, v45, vcc_lo
	v_cmp_le_u32_e32 vcc_lo, s28, v9
	s_delay_alu instid0(VALU_DEP_3) | instskip(NEXT) | instid1(VALU_DEP_1)
	v_cndmask_b32_e32 v8, v8, v15, vcc_lo
	v_mul_lo_u32 v9, v8, s28
	s_delay_alu instid0(VALU_DEP_1) | instskip(NEXT) | instid1(VALU_DEP_1)
	v_sub_nc_u32_e32 v9, v43, v9
	v_mad_u64_u32 v[45:46], null, s29, v9, v[7:8]
	s_delay_alu instid0(VALU_DEP_1)
	v_mov_b32_e32 v7, v45
	s_cbranch_scc1 .LBB27_24
.LBB27_25:                              ;   in Loop: Header=BB27_6 Depth=1
	s_set_inst_prefetch_distance 0x2
	s_delay_alu instid0(VALU_DEP_1) | instskip(SKIP_1) | instid1(VALU_DEP_1)
	v_mad_u64_u32 v[45:46], null, s24, v8, v[7:8]
	v_mov_b32_e32 v46, v23
	v_lshlrev_b64 v[7:8], 1, v[45:46]
	s_delay_alu instid0(VALU_DEP_1) | instskip(NEXT) | instid1(VALU_DEP_2)
	v_add_co_u32 v7, vcc_lo, s12, v7
	v_add_co_ci_u32_e32 v8, vcc_lo, s13, v8, vcc_lo
	global_load_u16 v43, v[7:8], off
.LBB27_26:                              ;   in Loop: Header=BB27_6 Depth=1
	s_or_b32 exec_lo, exec_lo, s18
	v_add_nc_u32_e32 v9, s20, v10
	s_delay_alu instid0(VALU_DEP_1) | instskip(NEXT) | instid1(VALU_DEP_1)
	v_cmp_gt_u32_e64 s1, s4, v9
	s_and_saveexec_b32 s0, s1
	s_cbranch_execz .LBB27_31
; %bb.27:                               ;   in Loop: Header=BB27_6 Depth=1
	v_dual_mov_b32 v7, 0 :: v_dual_mov_b32 v8, v9
	s_and_not1_b32 vcc_lo, exec_lo, s25
	s_cbranch_vccnz .LBB27_30
; %bb.28:                               ;   in Loop: Header=BB27_6 Depth=1
	v_dual_mov_b32 v7, 0 :: v_dual_mov_b32 v8, v9
	s_mov_b64 s[18:19], s[14:15]
	s_mov_b32 s28, s27
	s_set_inst_prefetch_distance 0x1
	.p2align	6
.LBB27_29:                              ;   Parent Loop BB27_6 Depth=1
                                        ; =>  This Inner Loop Header: Depth=2
	s_clause 0x1
	s_load_b32 s29, s[18:19], 0x0
	s_load_b32 s30, s[18:19], 0x64
	s_add_i32 s28, s28, -1
	s_waitcnt lgkmcnt(0)
	v_cvt_f32_u32_e32 v15, s29
	s_sub_i32 s31, 0, s29
	s_add_u32 s18, s18, -4
	s_addc_u32 s19, s19, -1
	s_cmp_gt_u32 s28, 2
	v_rcp_iflag_f32_e32 v15, v15
	s_waitcnt_depctr 0xfff
	v_mul_f32_e32 v15, 0x4f7ffffe, v15
	s_delay_alu instid0(VALU_DEP_1) | instskip(NEXT) | instid1(VALU_DEP_1)
	v_cvt_u32_f32_e32 v15, v15
	v_mul_lo_u32 v42, s31, v15
	s_delay_alu instid0(VALU_DEP_1) | instskip(NEXT) | instid1(VALU_DEP_1)
	v_mul_hi_u32 v42, v15, v42
	v_dual_mov_b32 v45, v8 :: v_dual_add_nc_u32 v8, v15, v42
	s_delay_alu instid0(VALU_DEP_1) | instskip(NEXT) | instid1(VALU_DEP_1)
	v_mul_hi_u32 v8, v45, v8
	v_mul_lo_u32 v15, v8, s29
	v_add_nc_u32_e32 v42, 1, v8
	s_delay_alu instid0(VALU_DEP_2) | instskip(NEXT) | instid1(VALU_DEP_1)
	v_sub_nc_u32_e32 v15, v45, v15
	v_subrev_nc_u32_e32 v46, s29, v15
	v_cmp_le_u32_e32 vcc_lo, s29, v15
	s_delay_alu instid0(VALU_DEP_4) | instskip(NEXT) | instid1(VALU_DEP_1)
	v_cndmask_b32_e32 v8, v8, v42, vcc_lo
	v_dual_cndmask_b32 v15, v15, v46 :: v_dual_add_nc_u32 v42, 1, v8
	s_delay_alu instid0(VALU_DEP_1) | instskip(NEXT) | instid1(VALU_DEP_2)
	v_cmp_le_u32_e32 vcc_lo, s29, v15
	v_cndmask_b32_e32 v8, v8, v42, vcc_lo
	s_delay_alu instid0(VALU_DEP_1) | instskip(NEXT) | instid1(VALU_DEP_1)
	v_mul_lo_u32 v15, v8, s29
	v_sub_nc_u32_e32 v15, v45, v15
	s_delay_alu instid0(VALU_DEP_1) | instskip(NEXT) | instid1(VALU_DEP_1)
	v_mad_u64_u32 v[45:46], null, s30, v15, v[7:8]
	v_mov_b32_e32 v7, v45
	s_cbranch_scc1 .LBB27_29
.LBB27_30:                              ;   in Loop: Header=BB27_6 Depth=1
	s_set_inst_prefetch_distance 0x2
	s_delay_alu instid0(VALU_DEP_1) | instskip(SKIP_1) | instid1(VALU_DEP_1)
	v_mad_u64_u32 v[45:46], null, s24, v8, v[7:8]
	v_mov_b32_e32 v46, v23
	v_lshlrev_b64 v[7:8], 1, v[45:46]
	s_delay_alu instid0(VALU_DEP_1) | instskip(NEXT) | instid1(VALU_DEP_2)
	v_add_co_u32 v7, vcc_lo, s12, v7
	v_add_co_ci_u32_e32 v8, vcc_lo, s13, v8, vcc_lo
	global_load_u16 v42, v[7:8], off
.LBB27_31:                              ;   in Loop: Header=BB27_6 Depth=1
	s_or_b32 exec_lo, exec_lo, s0
	v_add_nc_u32_e32 v8, s20, v9
	s_delay_alu instid0(VALU_DEP_1) | instskip(NEXT) | instid1(VALU_DEP_1)
	v_cmp_gt_u32_e64 s0, s4, v8
	s_and_saveexec_b32 s28, s0
	s_cbranch_execnz .LBB27_36
; %bb.32:                               ;   in Loop: Header=BB27_6 Depth=1
	s_or_b32 exec_lo, exec_lo, s28
	s_and_saveexec_b32 s28, s3
	s_cbranch_execnz .LBB27_40
.LBB27_33:                              ;   in Loop: Header=BB27_6 Depth=1
	s_or_b32 exec_lo, exec_lo, s28
	s_and_saveexec_b32 s18, s2
	s_cbranch_execnz .LBB27_44
.LBB27_34:                              ;   in Loop: Header=BB27_6 Depth=1
	s_or_b32 exec_lo, exec_lo, s18
	s_and_saveexec_b32 s18, s1
	s_cbranch_execnz .LBB27_48
.LBB27_35:                              ;   in Loop: Header=BB27_6 Depth=1
	s_or_b32 exec_lo, exec_lo, s18
	s_and_saveexec_b32 s2, s0
	s_cbranch_execz .LBB27_5
	s_branch .LBB27_52
.LBB27_36:                              ;   in Loop: Header=BB27_6 Depth=1
	v_mov_b32_e32 v7, 0
	v_mov_b32_e32 v15, v8
	s_and_not1_b32 vcc_lo, exec_lo, s25
	s_cbranch_vccnz .LBB27_39
; %bb.37:                               ;   in Loop: Header=BB27_6 Depth=1
	v_mov_b32_e32 v7, 0
	v_mov_b32_e32 v15, v8
	s_mov_b64 s[18:19], s[14:15]
	s_mov_b32 s29, s27
	s_set_inst_prefetch_distance 0x1
	.p2align	6
.LBB27_38:                              ;   Parent Loop BB27_6 Depth=1
                                        ; =>  This Inner Loop Header: Depth=2
	s_clause 0x1
	s_load_b32 s30, s[18:19], 0x0
	s_load_b32 s31, s[18:19], 0x64
	s_add_i32 s29, s29, -1
	v_mov_b32_e32 v46, v15
	s_waitcnt lgkmcnt(0)
	v_cvt_f32_u32_e32 v41, s30
	s_sub_i32 s33, 0, s30
	s_add_u32 s18, s18, -4
	s_addc_u32 s19, s19, -1
	s_cmp_gt_u32 s29, 2
	v_rcp_iflag_f32_e32 v41, v41
	s_waitcnt_depctr 0xfff
	v_mul_f32_e32 v41, 0x4f7ffffe, v41
	s_delay_alu instid0(VALU_DEP_1) | instskip(NEXT) | instid1(VALU_DEP_1)
	v_cvt_u32_f32_e32 v41, v41
	v_mul_lo_u32 v45, s33, v41
	s_delay_alu instid0(VALU_DEP_1) | instskip(NEXT) | instid1(VALU_DEP_1)
	v_mul_hi_u32 v45, v41, v45
	v_add_nc_u32_e32 v15, v41, v45
	s_delay_alu instid0(VALU_DEP_1) | instskip(NEXT) | instid1(VALU_DEP_1)
	v_mul_hi_u32 v15, v46, v15
	v_mul_lo_u32 v41, v15, s30
	v_add_nc_u32_e32 v45, 1, v15
	s_delay_alu instid0(VALU_DEP_2) | instskip(NEXT) | instid1(VALU_DEP_1)
	v_sub_nc_u32_e32 v41, v46, v41
	v_subrev_nc_u32_e32 v47, s30, v41
	v_cmp_le_u32_e32 vcc_lo, s30, v41
	s_delay_alu instid0(VALU_DEP_4) | instskip(NEXT) | instid1(VALU_DEP_3)
	v_cndmask_b32_e32 v15, v15, v45, vcc_lo
	v_cndmask_b32_e32 v41, v41, v47, vcc_lo
	s_delay_alu instid0(VALU_DEP_2) | instskip(NEXT) | instid1(VALU_DEP_2)
	v_add_nc_u32_e32 v45, 1, v15
	v_cmp_le_u32_e32 vcc_lo, s30, v41
	s_delay_alu instid0(VALU_DEP_2) | instskip(NEXT) | instid1(VALU_DEP_1)
	v_cndmask_b32_e32 v15, v15, v45, vcc_lo
	v_mul_lo_u32 v41, v15, s30
	s_delay_alu instid0(VALU_DEP_1) | instskip(NEXT) | instid1(VALU_DEP_1)
	v_sub_nc_u32_e32 v41, v46, v41
	v_mad_u64_u32 v[45:46], null, s31, v41, v[7:8]
	s_delay_alu instid0(VALU_DEP_1)
	v_mov_b32_e32 v7, v45
	s_cbranch_scc1 .LBB27_38
.LBB27_39:                              ;   in Loop: Header=BB27_6 Depth=1
	s_set_inst_prefetch_distance 0x2
	s_delay_alu instid0(VALU_DEP_1) | instskip(SKIP_1) | instid1(VALU_DEP_1)
	v_mad_u64_u32 v[45:46], null, s24, v15, v[7:8]
	v_mov_b32_e32 v46, v23
	v_lshlrev_b64 v[45:46], 1, v[45:46]
	s_delay_alu instid0(VALU_DEP_1) | instskip(NEXT) | instid1(VALU_DEP_2)
	v_add_co_u32 v45, vcc_lo, s12, v45
	v_add_co_ci_u32_e32 v46, vcc_lo, s13, v46, vcc_lo
	global_load_u16 v41, v[45:46], off
	s_or_b32 exec_lo, exec_lo, s28
	s_and_saveexec_b32 s28, s3
	s_cbranch_execz .LBB27_33
.LBB27_40:                              ;   in Loop: Header=BB27_6 Depth=1
	v_mov_b32_e32 v7, 0
	v_mov_b32_e32 v15, v13
	s_and_not1_b32 vcc_lo, exec_lo, s26
	s_cbranch_vccnz .LBB27_43
; %bb.41:                               ;   in Loop: Header=BB27_6 Depth=1
	v_mov_b32_e32 v7, 0
	v_mov_b32_e32 v15, v13
	s_mov_b64 s[18:19], s[16:17]
	s_mov_b32 s3, s6
	s_set_inst_prefetch_distance 0x1
	.p2align	6
.LBB27_42:                              ;   Parent Loop BB27_6 Depth=1
                                        ; =>  This Inner Loop Header: Depth=2
	s_clause 0x1
	s_load_b32 s29, s[18:19], 0x0
	s_load_b32 s30, s[18:19], 0x64
	v_mov_b32_e32 v47, v15
	s_add_i32 s3, s3, -1
	s_waitcnt lgkmcnt(0)
	v_cvt_f32_u32_e32 v45, s29
	s_sub_i32 s31, 0, s29
	s_add_u32 s18, s18, -4
	s_addc_u32 s19, s19, -1
	s_cmp_gt_u32 s3, 2
	v_rcp_iflag_f32_e32 v45, v45
	s_waitcnt_depctr 0xfff
	v_mul_f32_e32 v45, 0x4f7ffffe, v45
	s_delay_alu instid0(VALU_DEP_1) | instskip(NEXT) | instid1(VALU_DEP_1)
	v_cvt_u32_f32_e32 v45, v45
	v_mul_lo_u32 v46, s31, v45
	s_delay_alu instid0(VALU_DEP_1) | instskip(NEXT) | instid1(VALU_DEP_1)
	v_mul_hi_u32 v46, v45, v46
	v_add_nc_u32_e32 v15, v45, v46
	s_delay_alu instid0(VALU_DEP_1) | instskip(NEXT) | instid1(VALU_DEP_1)
	v_mul_hi_u32 v15, v47, v15
	v_add_nc_u32_e32 v46, 1, v15
	v_mul_lo_u32 v45, v15, s29
	s_delay_alu instid0(VALU_DEP_1) | instskip(NEXT) | instid1(VALU_DEP_1)
	v_sub_nc_u32_e32 v45, v47, v45
	v_subrev_nc_u32_e32 v48, s29, v45
	v_cmp_le_u32_e32 vcc_lo, s29, v45
	v_cndmask_b32_e32 v15, v15, v46, vcc_lo
	s_delay_alu instid0(VALU_DEP_1) | instskip(NEXT) | instid1(VALU_DEP_1)
	v_dual_cndmask_b32 v45, v45, v48 :: v_dual_add_nc_u32 v46, 1, v15
	v_cmp_le_u32_e32 vcc_lo, s29, v45
	s_delay_alu instid0(VALU_DEP_2) | instskip(NEXT) | instid1(VALU_DEP_1)
	v_cndmask_b32_e32 v15, v15, v46, vcc_lo
	v_mul_lo_u32 v45, v15, s29
	s_delay_alu instid0(VALU_DEP_1) | instskip(NEXT) | instid1(VALU_DEP_1)
	v_sub_nc_u32_e32 v47, v47, v45
	v_mad_u64_u32 v[45:46], null, s30, v47, v[7:8]
	s_delay_alu instid0(VALU_DEP_1)
	v_mov_b32_e32 v7, v45
	s_cbranch_scc1 .LBB27_42
.LBB27_43:                              ;   in Loop: Header=BB27_6 Depth=1
	s_set_inst_prefetch_distance 0x2
	v_cvt_f32_u32_e32 v0, v0
	s_waitcnt vmcnt(0)
	v_lshlrev_b32_e32 v45, 16, v44
	s_delay_alu instid0(VALU_DEP_2) | instskip(NEXT) | instid1(VALU_DEP_1)
	v_fmaak_f32 v0, 0x2f800000, v0, 0x2f800000
	v_cmp_gt_f32_e32 vcc_lo, s5, v0
	v_cndmask_b32_e64 v0, 0, 1.0, vcc_lo
	s_delay_alu instid0(VALU_DEP_1) | instskip(SKIP_2) | instid1(VALU_DEP_3)
	v_mul_f32_e32 v0, v0, v45
	v_mad_u64_u32 v[45:46], null, s23, v15, v[7:8]
	v_mov_b32_e32 v46, v23
	v_mul_f32_e32 v0, v38, v0
	s_delay_alu instid0(VALU_DEP_2) | instskip(NEXT) | instid1(VALU_DEP_2)
	v_lshlrev_b64 v[46:47], 1, v[45:46]
	v_bfe_u32 v7, v0, 16, 1
	s_delay_alu instid0(VALU_DEP_2) | instskip(NEXT) | instid1(VALU_DEP_2)
	v_add_co_u32 v46, s3, s10, v46
	v_add3_u32 v7, v0, v7, 0x7fff
	s_delay_alu instid0(VALU_DEP_4) | instskip(SKIP_1) | instid1(VALU_DEP_3)
	v_add_co_ci_u32_e64 v47, s3, s11, v47, s3
	v_cmp_o_f32_e64 s3, v0, v0
	v_lshrrev_b32_e32 v7, 16, v7
	s_delay_alu instid0(VALU_DEP_1)
	v_cndmask_b32_e64 v0, 0x7fc0, v7, s3
	v_cndmask_b32_e64 v7, 0, 1, vcc_lo
	global_store_b16 v[46:47], v0, off
	global_store_b8 v45, v7, s[8:9]
	s_or_b32 exec_lo, exec_lo, s28
	s_and_saveexec_b32 s18, s2
	s_cbranch_execz .LBB27_34
.LBB27_44:                              ;   in Loop: Header=BB27_6 Depth=1
	v_mov_b32_e32 v0, 0
	s_and_not1_b32 vcc_lo, exec_lo, s26
	s_cbranch_vccnz .LBB27_47
; %bb.45:                               ;   in Loop: Header=BB27_6 Depth=1
	v_mov_b32_e32 v0, 0
	s_mov_b64 s[2:3], s[16:17]
	s_mov_b32 s19, s6
	s_set_inst_prefetch_distance 0x1
	.p2align	6
.LBB27_46:                              ;   Parent Loop BB27_6 Depth=1
                                        ; =>  This Inner Loop Header: Depth=2
	s_clause 0x1
	s_load_b32 s28, s[2:3], 0x0
	s_load_b32 s29, s[2:3], 0x64
	v_mov_b32_e32 v45, v10
	s_add_i32 s19, s19, -1
	s_waitcnt lgkmcnt(0)
	v_cvt_f32_u32_e32 v7, s28
	s_sub_i32 s30, 0, s28
	s_add_u32 s2, s2, -4
	s_addc_u32 s3, s3, -1
	s_cmp_gt_u32 s19, 2
	v_rcp_iflag_f32_e32 v7, v7
	s_waitcnt_depctr 0xfff
	v_mul_f32_e32 v7, 0x4f7ffffe, v7
	s_delay_alu instid0(VALU_DEP_1) | instskip(NEXT) | instid1(VALU_DEP_1)
	v_cvt_u32_f32_e32 v7, v7
	v_mul_lo_u32 v15, s30, v7
	s_delay_alu instid0(VALU_DEP_1) | instskip(NEXT) | instid1(VALU_DEP_1)
	v_mul_hi_u32 v15, v7, v15
	v_add_nc_u32_e32 v7, v7, v15
	s_delay_alu instid0(VALU_DEP_1) | instskip(NEXT) | instid1(VALU_DEP_1)
	v_mul_hi_u32 v7, v45, v7
	v_mul_lo_u32 v10, v7, s28
	v_add_nc_u32_e32 v15, 1, v7
	s_delay_alu instid0(VALU_DEP_2) | instskip(NEXT) | instid1(VALU_DEP_1)
	v_sub_nc_u32_e32 v10, v45, v10
	v_subrev_nc_u32_e32 v46, s28, v10
	v_cmp_le_u32_e32 vcc_lo, s28, v10
	s_delay_alu instid0(VALU_DEP_2) | instskip(NEXT) | instid1(VALU_DEP_1)
	v_dual_cndmask_b32 v7, v7, v15 :: v_dual_cndmask_b32 v10, v10, v46
	v_add_nc_u32_e32 v15, 1, v7
	s_delay_alu instid0(VALU_DEP_2) | instskip(NEXT) | instid1(VALU_DEP_2)
	v_cmp_le_u32_e32 vcc_lo, s28, v10
	v_cndmask_b32_e32 v10, v7, v15, vcc_lo
	s_delay_alu instid0(VALU_DEP_1) | instskip(NEXT) | instid1(VALU_DEP_1)
	v_mul_lo_u32 v7, v10, s28
	v_sub_nc_u32_e32 v7, v45, v7
	s_delay_alu instid0(VALU_DEP_1) | instskip(NEXT) | instid1(VALU_DEP_1)
	v_mad_u64_u32 v[45:46], null, s29, v7, v[0:1]
	v_mov_b32_e32 v0, v45
	s_cbranch_scc1 .LBB27_46
.LBB27_47:                              ;   in Loop: Header=BB27_6 Depth=1
	s_set_inst_prefetch_distance 0x2
	v_cvt_f32_u32_e32 v1, v1
	s_waitcnt vmcnt(0)
	v_lshlrev_b32_e32 v7, 16, v43
	s_delay_alu instid0(VALU_DEP_2) | instskip(NEXT) | instid1(VALU_DEP_1)
	v_fmaak_f32 v1, 0x2f800000, v1, 0x2f800000
	v_cmp_gt_f32_e32 vcc_lo, s5, v1
	v_cndmask_b32_e64 v1, 0, 1.0, vcc_lo
	s_delay_alu instid0(VALU_DEP_1) | instskip(NEXT) | instid1(VALU_DEP_1)
	v_mul_f32_e32 v1, v1, v7
	v_mul_f32_e32 v7, v38, v1
	v_mad_u64_u32 v[45:46], null, s23, v10, v[0:1]
	v_mov_b32_e32 v46, v23
	s_delay_alu instid0(VALU_DEP_3) | instskip(NEXT) | instid1(VALU_DEP_1)
	v_bfe_u32 v0, v7, 16, 1
	v_add3_u32 v10, v7, v0, 0x7fff
	s_delay_alu instid0(VALU_DEP_3) | instskip(NEXT) | instid1(VALU_DEP_2)
	v_lshlrev_b64 v[0:1], 1, v[45:46]
	v_lshrrev_b32_e32 v10, 16, v10
	s_delay_alu instid0(VALU_DEP_2) | instskip(NEXT) | instid1(VALU_DEP_1)
	v_add_co_u32 v0, s2, s10, v0
	v_add_co_ci_u32_e64 v1, s2, s11, v1, s2
	v_cmp_o_f32_e64 s2, v7, v7
	s_delay_alu instid0(VALU_DEP_1)
	v_cndmask_b32_e64 v7, 0x7fc0, v10, s2
	v_cndmask_b32_e64 v10, 0, 1, vcc_lo
	global_store_b16 v[0:1], v7, off
	global_store_b8 v45, v10, s[8:9]
	s_or_b32 exec_lo, exec_lo, s18
	s_and_saveexec_b32 s18, s1
	s_cbranch_execz .LBB27_35
.LBB27_48:                              ;   in Loop: Header=BB27_6 Depth=1
	v_mov_b32_e32 v0, 0
	s_and_not1_b32 vcc_lo, exec_lo, s26
	s_cbranch_vccnz .LBB27_51
; %bb.49:                               ;   in Loop: Header=BB27_6 Depth=1
	v_mov_b32_e32 v0, 0
	s_mov_b64 s[2:3], s[16:17]
	s_mov_b32 s1, s6
	s_set_inst_prefetch_distance 0x1
	.p2align	6
.LBB27_50:                              ;   Parent Loop BB27_6 Depth=1
                                        ; =>  This Inner Loop Header: Depth=2
	s_clause 0x1
	s_load_b32 s19, s[2:3], 0x0
	s_load_b32 s28, s[2:3], 0x64
	s_add_i32 s1, s1, -1
	v_mov_b32_e32 v10, v9
	s_waitcnt lgkmcnt(0)
	v_cvt_f32_u32_e32 v1, s19
	s_sub_i32 s29, 0, s19
	s_add_u32 s2, s2, -4
	s_addc_u32 s3, s3, -1
	s_cmp_gt_u32 s1, 2
	v_rcp_iflag_f32_e32 v1, v1
	s_waitcnt_depctr 0xfff
	v_mul_f32_e32 v1, 0x4f7ffffe, v1
	s_delay_alu instid0(VALU_DEP_1) | instskip(NEXT) | instid1(VALU_DEP_1)
	v_cvt_u32_f32_e32 v1, v1
	v_mul_lo_u32 v7, s29, v1
	s_delay_alu instid0(VALU_DEP_1) | instskip(NEXT) | instid1(VALU_DEP_1)
	v_mul_hi_u32 v7, v1, v7
	v_add_nc_u32_e32 v1, v1, v7
	s_delay_alu instid0(VALU_DEP_1) | instskip(NEXT) | instid1(VALU_DEP_1)
	v_mul_hi_u32 v1, v10, v1
	v_mul_lo_u32 v7, v1, s19
	v_add_nc_u32_e32 v9, 1, v1
	s_delay_alu instid0(VALU_DEP_2) | instskip(NEXT) | instid1(VALU_DEP_1)
	v_sub_nc_u32_e32 v7, v10, v7
	v_subrev_nc_u32_e32 v15, s19, v7
	v_cmp_le_u32_e32 vcc_lo, s19, v7
	s_delay_alu instid0(VALU_DEP_4) | instskip(NEXT) | instid1(VALU_DEP_3)
	v_cndmask_b32_e32 v1, v1, v9, vcc_lo
	v_cndmask_b32_e32 v7, v7, v15, vcc_lo
	s_delay_alu instid0(VALU_DEP_2) | instskip(NEXT) | instid1(VALU_DEP_2)
	v_add_nc_u32_e32 v9, 1, v1
	v_cmp_le_u32_e32 vcc_lo, s19, v7
	s_delay_alu instid0(VALU_DEP_2) | instskip(NEXT) | instid1(VALU_DEP_1)
	v_cndmask_b32_e32 v9, v1, v9, vcc_lo
	v_mul_lo_u32 v1, v9, s19
	s_delay_alu instid0(VALU_DEP_1) | instskip(NEXT) | instid1(VALU_DEP_1)
	v_sub_nc_u32_e32 v1, v10, v1
	v_mad_u64_u32 v[45:46], null, s28, v1, v[0:1]
	s_delay_alu instid0(VALU_DEP_1)
	v_mov_b32_e32 v0, v45
	s_cbranch_scc1 .LBB27_50
.LBB27_51:                              ;   in Loop: Header=BB27_6 Depth=1
	s_set_inst_prefetch_distance 0x2
	v_cvt_f32_u32_e32 v1, v2
	s_waitcnt vmcnt(0)
	s_delay_alu instid0(VALU_DEP_1) | instskip(NEXT) | instid1(VALU_DEP_1)
	v_dual_fmaak_f32 v1, 0x2f800000, v1, 0x2f800000 :: v_dual_lshlrev_b32 v2, 16, v42
	v_cmp_gt_f32_e32 vcc_lo, s5, v1
	v_cndmask_b32_e64 v1, 0, 1.0, vcc_lo
	s_delay_alu instid0(VALU_DEP_1) | instskip(NEXT) | instid1(VALU_DEP_1)
	v_mul_f32_e32 v1, v1, v2
	v_mul_f32_e32 v7, v38, v1
	v_mad_u64_u32 v[1:2], null, s23, v9, v[0:1]
	v_mov_b32_e32 v2, v23
	s_delay_alu instid0(VALU_DEP_3) | instskip(NEXT) | instid1(VALU_DEP_2)
	v_bfe_u32 v0, v7, 16, 1
	v_lshlrev_b64 v[9:10], 1, v[1:2]
	s_delay_alu instid0(VALU_DEP_2) | instskip(SKIP_1) | instid1(VALU_DEP_3)
	v_add3_u32 v0, v7, v0, 0x7fff
	v_cndmask_b32_e64 v2, 0, 1, vcc_lo
	v_add_co_u32 v9, s1, s10, v9
	s_delay_alu instid0(VALU_DEP_1) | instskip(NEXT) | instid1(VALU_DEP_4)
	v_add_co_ci_u32_e64 v10, s1, s11, v10, s1
	v_lshrrev_b32_e32 v0, 16, v0
	v_cmp_o_f32_e64 s1, v7, v7
	s_delay_alu instid0(VALU_DEP_1)
	v_cndmask_b32_e64 v0, 0x7fc0, v0, s1
	global_store_b16 v[9:10], v0, off
	global_store_b8 v1, v2, s[8:9]
	s_or_b32 exec_lo, exec_lo, s18
	s_and_saveexec_b32 s2, s0
	s_cbranch_execz .LBB27_5
.LBB27_52:                              ;   in Loop: Header=BB27_6 Depth=1
	v_mov_b32_e32 v0, 0
	s_and_not1_b32 vcc_lo, exec_lo, s26
	s_cbranch_vccnz .LBB27_4
; %bb.53:                               ;   in Loop: Header=BB27_6 Depth=1
	v_mov_b32_e32 v0, 0
	s_mov_b64 s[0:1], s[16:17]
	s_mov_b32 s3, s6
	s_set_inst_prefetch_distance 0x1
	.p2align	6
.LBB27_54:                              ;   Parent Loop BB27_6 Depth=1
                                        ; =>  This Inner Loop Header: Depth=2
	s_clause 0x1
	s_load_b32 s18, s[0:1], 0x0
	s_load_b32 s19, s[0:1], 0x64
	v_mov_b32_e32 v7, v8
	s_add_i32 s3, s3, -1
	s_waitcnt lgkmcnt(0)
	v_cvt_f32_u32_e32 v1, s18
	s_sub_i32 s28, 0, s18
	s_add_u32 s0, s0, -4
	s_addc_u32 s1, s1, -1
	s_cmp_gt_u32 s3, 2
	v_rcp_iflag_f32_e32 v1, v1
	s_waitcnt_depctr 0xfff
	v_mul_f32_e32 v1, 0x4f7ffffe, v1
	s_delay_alu instid0(VALU_DEP_1) | instskip(NEXT) | instid1(VALU_DEP_1)
	v_cvt_u32_f32_e32 v1, v1
	v_mul_lo_u32 v2, s28, v1
	s_delay_alu instid0(VALU_DEP_1) | instskip(NEXT) | instid1(VALU_DEP_1)
	v_mul_hi_u32 v2, v1, v2
	v_add_nc_u32_e32 v1, v1, v2
	s_delay_alu instid0(VALU_DEP_1) | instskip(NEXT) | instid1(VALU_DEP_1)
	v_mul_hi_u32 v1, v7, v1
	v_mul_lo_u32 v2, v1, s18
	v_add_nc_u32_e32 v8, 1, v1
	s_delay_alu instid0(VALU_DEP_2) | instskip(NEXT) | instid1(VALU_DEP_1)
	v_sub_nc_u32_e32 v2, v7, v2
	v_subrev_nc_u32_e32 v9, s18, v2
	v_cmp_le_u32_e32 vcc_lo, s18, v2
	s_delay_alu instid0(VALU_DEP_2) | instskip(NEXT) | instid1(VALU_DEP_1)
	v_dual_cndmask_b32 v2, v2, v9 :: v_dual_cndmask_b32 v1, v1, v8
	v_cmp_le_u32_e32 vcc_lo, s18, v2
	s_delay_alu instid0(VALU_DEP_2) | instskip(NEXT) | instid1(VALU_DEP_1)
	v_add_nc_u32_e32 v8, 1, v1
	v_cndmask_b32_e32 v8, v1, v8, vcc_lo
	s_delay_alu instid0(VALU_DEP_1) | instskip(NEXT) | instid1(VALU_DEP_1)
	v_mul_lo_u32 v1, v8, s18
	v_sub_nc_u32_e32 v7, v7, v1
	s_delay_alu instid0(VALU_DEP_1) | instskip(NEXT) | instid1(VALU_DEP_1)
	v_mad_u64_u32 v[1:2], null, s19, v7, v[0:1]
	v_mov_b32_e32 v0, v1
	s_cbranch_scc1 .LBB27_54
	s_branch .LBB27_4
.LBB27_55:
	s_endpgm
	.section	.rodata,"a",@progbits
	.p2align	6, 0x0
	.amdhsa_kernel _ZN2at6native12_GLOBAL__N_120fused_dropout_kernelIN3c108BFloat16EfjLin1ELin1EbEEvNS_4cuda6detail10TensorInfoIKT_T1_EENS7_IS8_SA_EENS7_IT4_SA_EESA_T0_NS_15PhiloxCudaStateE
		.amdhsa_group_segment_fixed_size 0
		.amdhsa_private_segment_fixed_size 0
		.amdhsa_kernarg_size 944
		.amdhsa_user_sgpr_count 15
		.amdhsa_user_sgpr_dispatch_ptr 0
		.amdhsa_user_sgpr_queue_ptr 0
		.amdhsa_user_sgpr_kernarg_segment_ptr 1
		.amdhsa_user_sgpr_dispatch_id 0
		.amdhsa_user_sgpr_private_segment_size 0
		.amdhsa_wavefront_size32 1
		.amdhsa_uses_dynamic_stack 0
		.amdhsa_enable_private_segment 0
		.amdhsa_system_sgpr_workgroup_id_x 1
		.amdhsa_system_sgpr_workgroup_id_y 0
		.amdhsa_system_sgpr_workgroup_id_z 0
		.amdhsa_system_sgpr_workgroup_info 0
		.amdhsa_system_vgpr_workitem_id 0
		.amdhsa_next_free_vgpr 49
		.amdhsa_next_free_sgpr 34
		.amdhsa_reserve_vcc 1
		.amdhsa_float_round_mode_32 0
		.amdhsa_float_round_mode_16_64 0
		.amdhsa_float_denorm_mode_32 3
		.amdhsa_float_denorm_mode_16_64 3
		.amdhsa_dx10_clamp 1
		.amdhsa_ieee_mode 1
		.amdhsa_fp16_overflow 0
		.amdhsa_workgroup_processor_mode 1
		.amdhsa_memory_ordered 1
		.amdhsa_forward_progress 0
		.amdhsa_shared_vgpr_count 0
		.amdhsa_exception_fp_ieee_invalid_op 0
		.amdhsa_exception_fp_denorm_src 0
		.amdhsa_exception_fp_ieee_div_zero 0
		.amdhsa_exception_fp_ieee_overflow 0
		.amdhsa_exception_fp_ieee_underflow 0
		.amdhsa_exception_fp_ieee_inexact 0
		.amdhsa_exception_int_div_zero 0
	.end_amdhsa_kernel
	.section	.text._ZN2at6native12_GLOBAL__N_120fused_dropout_kernelIN3c108BFloat16EfjLin1ELin1EbEEvNS_4cuda6detail10TensorInfoIKT_T1_EENS7_IS8_SA_EENS7_IT4_SA_EESA_T0_NS_15PhiloxCudaStateE,"axG",@progbits,_ZN2at6native12_GLOBAL__N_120fused_dropout_kernelIN3c108BFloat16EfjLin1ELin1EbEEvNS_4cuda6detail10TensorInfoIKT_T1_EENS7_IS8_SA_EENS7_IT4_SA_EESA_T0_NS_15PhiloxCudaStateE,comdat
.Lfunc_end27:
	.size	_ZN2at6native12_GLOBAL__N_120fused_dropout_kernelIN3c108BFloat16EfjLin1ELin1EbEEvNS_4cuda6detail10TensorInfoIKT_T1_EENS7_IS8_SA_EENS7_IT4_SA_EESA_T0_NS_15PhiloxCudaStateE, .Lfunc_end27-_ZN2at6native12_GLOBAL__N_120fused_dropout_kernelIN3c108BFloat16EfjLin1ELin1EbEEvNS_4cuda6detail10TensorInfoIKT_T1_EENS7_IS8_SA_EENS7_IT4_SA_EESA_T0_NS_15PhiloxCudaStateE
                                        ; -- End function
	.section	.AMDGPU.csdata,"",@progbits
; Kernel info:
; codeLenInByte = 5032
; NumSgprs: 36
; NumVgprs: 49
; ScratchSize: 0
; MemoryBound: 0
; FloatMode: 240
; IeeeMode: 1
; LDSByteSize: 0 bytes/workgroup (compile time only)
; SGPRBlocks: 4
; VGPRBlocks: 6
; NumSGPRsForWavesPerEU: 36
; NumVGPRsForWavesPerEU: 49
; Occupancy: 16
; WaveLimiterHint : 1
; COMPUTE_PGM_RSRC2:SCRATCH_EN: 0
; COMPUTE_PGM_RSRC2:USER_SGPR: 15
; COMPUTE_PGM_RSRC2:TRAP_HANDLER: 0
; COMPUTE_PGM_RSRC2:TGID_X_EN: 1
; COMPUTE_PGM_RSRC2:TGID_Y_EN: 0
; COMPUTE_PGM_RSRC2:TGID_Z_EN: 0
; COMPUTE_PGM_RSRC2:TIDIG_COMP_CNT: 0
	.section	.text._ZN2at6native12_GLOBAL__N_124fused_dropout_kernel_vecIddmLi1ELi16EbEEvNS_4cuda6detail10TensorInfoIKT_T1_EENS5_IS6_S8_EENS5_IT4_S8_EES8_T0_NS_15PhiloxCudaStateE,"axG",@progbits,_ZN2at6native12_GLOBAL__N_124fused_dropout_kernel_vecIddmLi1ELi16EbEEvNS_4cuda6detail10TensorInfoIKT_T1_EENS5_IS6_S8_EENS5_IT4_S8_EES8_T0_NS_15PhiloxCudaStateE,comdat
	.globl	_ZN2at6native12_GLOBAL__N_124fused_dropout_kernel_vecIddmLi1ELi16EbEEvNS_4cuda6detail10TensorInfoIKT_T1_EENS5_IS6_S8_EENS5_IT4_S8_EES8_T0_NS_15PhiloxCudaStateE ; -- Begin function _ZN2at6native12_GLOBAL__N_124fused_dropout_kernel_vecIddmLi1ELi16EbEEvNS_4cuda6detail10TensorInfoIKT_T1_EENS5_IS6_S8_EENS5_IT4_S8_EES8_T0_NS_15PhiloxCudaStateE
	.p2align	8
	.type	_ZN2at6native12_GLOBAL__N_124fused_dropout_kernel_vecIddmLi1ELi16EbEEvNS_4cuda6detail10TensorInfoIKT_T1_EENS5_IS6_S8_EENS5_IT4_S8_EES8_T0_NS_15PhiloxCudaStateE,@function
_ZN2at6native12_GLOBAL__N_124fused_dropout_kernel_vecIddmLi1ELi16EbEEvNS_4cuda6detail10TensorInfoIKT_T1_EENS5_IS6_S8_EENS5_IT4_S8_EES8_T0_NS_15PhiloxCudaStateE: ; @_ZN2at6native12_GLOBAL__N_124fused_dropout_kernel_vecIddmLi1ELi16EbEEvNS_4cuda6detail10TensorInfoIKT_T1_EENS5_IS6_S8_EENS5_IT4_S8_EES8_T0_NS_15PhiloxCudaStateE
; %bb.0:
	s_clause 0x1
	s_load_b256 s[16:23], s[0:1], 0x4e0
	s_load_b32 s2, s[0:1], 0x508
	s_waitcnt lgkmcnt(0)
	v_dual_mov_b32 v3, s22 :: v_dual_mov_b32 v4, s23
	v_dual_mov_b32 v10, s20 :: v_dual_mov_b32 v11, s21
	s_bitcmp0_b32 s2, 0
	s_cbranch_scc1 .LBB28_2
; %bb.1:
	v_dual_mov_b32 v1, s22 :: v_dual_mov_b32 v2, s23
	v_dual_mov_b32 v3, s20 :: v_dual_mov_b32 v4, s21
	s_load_b64 s[2:3], s[0:1], 0x500
	flat_load_b64 v[1:2], v[1:2]
	flat_load_b64 v[10:11], v[3:4]
	s_waitcnt vmcnt(1) lgkmcnt(0)
	v_add_co_u32 v3, vcc_lo, v1, s2
	v_add_co_ci_u32_e32 v4, vcc_lo, s3, v2, vcc_lo
.LBB28_2:
	s_load_b32 s4, s[0:1], 0x51c
	s_add_u32 s2, s0, 0x510
	s_addc_u32 s3, s1, 0
	v_mov_b32_e32 v12, 0
	s_mov_b32 s5, exec_lo
	s_waitcnt lgkmcnt(0)
	s_and_b32 s4, s4, 0xffff
	s_delay_alu instid0(SALU_CYCLE_1) | instskip(SKIP_1) | instid1(VALU_DEP_1)
	v_mad_u64_u32 v[8:9], null, s15, s4, v[0:1]
	v_mov_b32_e32 v9, v12
	v_lshlrev_b64 v[14:15], 4, v[8:9]
	s_delay_alu instid0(VALU_DEP_1)
	v_cmpx_gt_u64_e64 s[16:17], v[14:15]
	s_cbranch_execz .LBB28_45
; %bb.3:
	v_div_scale_f64 v[0:1], null, s[18:19], s[18:19], 1.0
	v_div_scale_f64 v[18:19], vcc_lo, 1.0, s[18:19], 1.0
	v_alignbit_b32 v27, v4, v3, 2
	v_mad_u64_u32 v[20:21], null, 0xcd9e8d57, v8, 0
	v_lshrrev_b32_e32 v26, 2, v4
	s_waitcnt vmcnt(0)
	v_dual_mov_b32 v13, v11 :: v_dual_add_nc_u32 v44, 0x8ff34781, v10
	v_mad_u64_u32 v[22:23], null, 0xd2511f53, v27, 0
	v_add_co_u32 v29, null, 0x9e3779b9, v10
	v_xor3_b32 v2, v10, v21, v26
	s_delay_alu instid0(VALU_DEP_4) | instskip(SKIP_2) | instid1(VALU_DEP_4)
	v_add_co_u32 v28, null, 0xbb67ae85, v13
	v_add_co_u32 v30, null, 0x3c6ef372, v10
	v_xor_b32_e32 v4, v23, v11
	v_mad_u64_u32 v[23:24], null, 0xd2511f53, v2, 0
	v_add_co_u32 v31, null, 0x76cf5d0a, v13
	s_delay_alu instid0(VALU_DEP_3) | instskip(SKIP_1) | instid1(VALU_DEP_4)
	v_mad_u64_u32 v[32:33], null, 0xcd9e8d57, v4, 0
	v_add_co_u32 v34, null, 0x78dde6e4, v10
	v_xor3_b32 v2, v28, v24, v22
	v_add_co_u32 v35, null, 0xed9eba14, v13
	v_add_co_u32 v36, null, 0xa9066899, v13
	v_xor3_b32 v4, v33, v29, v20
	s_delay_alu instid0(VALU_DEP_4) | instskip(SKIP_2) | instid1(VALU_DEP_3)
	v_mad_u64_u32 v[20:21], null, 0xcd9e8d57, v2, 0
	v_add_co_u32 v33, null, 0xdaa66d2b, v10
	v_rcp_f64_e32 v[5:6], v[0:1]
	v_mad_u64_u32 v[24:25], null, 0xd2511f53, v4, 0
	v_add_co_u32 v37, null, 0x1715609d, v10
	s_delay_alu instid0(VALU_DEP_4)
	v_xor3_b32 v2, v30, v21, v32
	v_add_co_u32 v32, null, 0x32370b8f, v13
	v_add_co_u32 v38, null, 0xb54cda56, v10
	v_xor3_b32 v4, v25, v31, v23
	v_add_co_u32 v39, null, 0x646e171e, v13
	v_add_co_u32 v40, null, 0x1fd5c5a3, v13
	s_delay_alu instid0(VALU_DEP_3) | instskip(SKIP_4) | instid1(VALU_DEP_4)
	v_mad_u64_u32 v[21:22], null, 0xcd9e8d57, v4, 0
	v_add_co_u32 v41, null, 0x5384540f, v10
	s_load_b32 s2, s[2:3], 0x0
	v_add_co_u32 v42, null, 0xdb3d7428, v13
	v_add_co_u32 v43, null, 0xf1bbcdc8, v10
	v_xor3_b32 v4, v22, v33, v20
	s_clause 0x2
	s_load_b64 s[20:21], s[0:1], 0x0
	s_load_b64 s[22:23], s[0:1], 0x1a0
	;; [unrolled: 1-line block ×3, first 2 shown]
	v_add_nc_u32_e32 v45, 0x96a522ad, v11
	s_mov_b32 s27, 0
	v_mad_u64_u32 v[22:23], null, 0xd2511f53, v4, 0
	s_waitcnt lgkmcnt(0)
	s_mul_i32 s2, s2, s4
	s_delay_alu instid0(TRANS32_DEP_1) | instskip(SKIP_1) | instid1(SALU_CYCLE_1)
	v_fma_f64 v[16:17], -v[0:1], v[5:6], 1.0
	s_lshl_b32 s26, s2, 4
	s_lshl_b64 s[28:29], s[26:27], 3
	s_delay_alu instid0(VALU_DEP_1) | instskip(NEXT) | instid1(VALU_DEP_1)
	v_fma_f64 v[5:6], v[5:6], v[16:17], v[5:6]
	v_fma_f64 v[16:17], -v[0:1], v[5:6], 1.0
	s_delay_alu instid0(VALU_DEP_1) | instskip(NEXT) | instid1(VALU_DEP_1)
	v_fma_f64 v[5:6], v[5:6], v[16:17], v[5:6]
	v_mul_f64 v[16:17], v[18:19], v[5:6]
	s_delay_alu instid0(VALU_DEP_1) | instskip(SKIP_1) | instid1(VALU_DEP_1)
	v_fma_f64 v[0:1], -v[0:1], v[16:17], v[18:19]
	v_mad_u64_u32 v[18:19], null, 0xd2511f53, v2, 0
	v_xor3_b32 v2, v32, v19, v24
	s_delay_alu instid0(VALU_DEP_2) | instskip(NEXT) | instid1(VALU_DEP_2)
	v_xor3_b32 v18, v23, v35, v18
	v_mad_u64_u32 v[19:20], null, 0xcd9e8d57, v2, 0
	s_delay_alu instid0(VALU_DEP_1) | instskip(SKIP_1) | instid1(VALU_DEP_2)
	v_xor3_b32 v2, v34, v20, v21
	v_div_fmas_f64 v[0:1], v[0:1], v[5:6], v[16:17]
	v_mad_u64_u32 v[4:5], null, 0xd2511f53, v2, 0
	v_mad_u64_u32 v[6:7], null, 0xcd9e8d57, v18, 0
	s_delay_alu instid0(VALU_DEP_2) | instskip(NEXT) | instid1(VALU_DEP_2)
	v_xor3_b32 v2, v36, v5, v22
	v_xor3_b32 v5, v7, v37, v19
	s_delay_alu instid0(VALU_DEP_2) | instskip(NEXT) | instid1(VALU_DEP_2)
	v_mad_u64_u32 v[18:19], null, 0xcd9e8d57, v2, 0
	v_mad_u64_u32 v[16:17], null, 0xd2511f53, v5, 0
	s_delay_alu instid0(VALU_DEP_2) | instskip(NEXT) | instid1(VALU_DEP_2)
	v_xor3_b32 v2, v38, v19, v6
	v_xor3_b32 v17, v17, v39, v4
	s_delay_alu instid0(VALU_DEP_2) | instskip(NEXT) | instid1(VALU_DEP_2)
	v_mad_u64_u32 v[4:5], null, 0xd2511f53, v2, 0
	v_mad_u64_u32 v[6:7], null, 0xcd9e8d57, v17, 0
	s_delay_alu instid0(VALU_DEP_2) | instskip(NEXT) | instid1(VALU_DEP_2)
	v_xor3_b32 v2, v40, v5, v16
	v_xor3_b32 v5, v7, v41, v18
	v_div_fixup_f64 v[16:17], v[0:1], s[18:19], 1.0
	s_delay_alu instid0(VALU_DEP_3) | instskip(NEXT) | instid1(VALU_DEP_3)
	v_mad_u64_u32 v[0:1], null, 0xcd9e8d57, v2, 0
	v_mad_u64_u32 v[18:19], null, 0xd2511f53, v5, 0
	s_delay_alu instid0(VALU_DEP_2) | instskip(NEXT) | instid1(VALU_DEP_2)
	v_xor3_b32 v6, v43, v1, v6
	v_xor3_b32 v4, v19, v42, v4
	s_delay_alu instid0(VALU_DEP_1) | instskip(NEXT) | instid1(VALU_DEP_3)
	v_mad_u64_u32 v[1:2], null, 0xcd9e8d57, v4, 0
	v_mad_u64_u32 v[4:5], null, 0xd2511f53, v6, 0
	v_and_b32_e32 v46, 3, v3
	s_delay_alu instid0(VALU_DEP_3) | instskip(NEXT) | instid1(VALU_DEP_3)
	v_xor3_b32 v0, v0, v2, v44
	v_mov_b32_e32 v3, v4
	s_delay_alu instid0(VALU_DEP_4)
	v_xor3_b32 v2, v5, v18, v45
	v_lshlrev_b64 v[18:19], 7, v[8:9]
	v_mov_b32_e32 v9, 0
	s_branch .LBB28_6
.LBB28_4:                               ;   in Loop: Header=BB28_6 Depth=1
	s_or_b32 exec_lo, exec_lo, s1
	s_delay_alu instid0(VALU_DEP_1)
	v_mov_b32_e32 v22, v54
.LBB28_5:                               ;   in Loop: Header=BB28_6 Depth=1
	s_or_b32 exec_lo, exec_lo, s0
	v_add_co_u32 v81, vcc_lo, s20, v18
	v_add_co_ci_u32_e32 v82, vcc_lo, s21, v19, vcc_lo
	v_cvt_f32_u32_e32 v4, v4
	v_cvt_f32_u32_e32 v25, v5
	;; [unrolled: 1-line block ×3, first 2 shown]
	s_clause 0x7
	global_load_b128 v[53:56], v[81:82], off
	global_load_b128 v[57:60], v[81:82], off offset:16
	global_load_b128 v[61:64], v[81:82], off offset:32
	;; [unrolled: 1-line block ×7, first 2 shown]
	v_cvt_f32_u32_e32 v20, v20
	v_dual_fmaak_f32 v4, 0x2f800000, v4, 0x2f800000 :: v_dual_fmaak_f32 v25, 0x2f800000, v25, 0x2f800000
	v_cvt_f32_u32_e32 v13, v13
	v_cvt_f32_u32_e32 v22, v22
	s_delay_alu instid0(VALU_DEP_4) | instskip(NEXT) | instid1(VALU_DEP_4)
	v_fmaak_f32 v20, 0x2f800000, v20, 0x2f800000
	v_cvt_f64_f32_e32 v[4:5], v4
	v_cvt_f64_f32_e32 v[85:86], v25
	v_cvt_f32_u32_e32 v25, v7
	v_fmaak_f32 v6, 0x2f800000, v6, 0x2f800000
	v_cvt_f64_f32_e32 v[89:90], v20
	s_add_u32 s20, s20, s28
	s_addc_u32 s21, s21, s29
	v_fmaak_f32 v25, 0x2f800000, v25, 0x2f800000
	v_cvt_f64_f32_e32 v[6:7], v6
	s_delay_alu instid0(VALU_DEP_2) | instskip(SKIP_2) | instid1(VALU_DEP_2)
	v_cvt_f64_f32_e32 v[87:88], v25
	v_cvt_f32_u32_e32 v25, v47
	v_cvt_f32_u32_e32 v47, v50
	v_fmaak_f32 v20, 0x2f800000, v25, 0x2f800000
	s_delay_alu instid0(VALU_DEP_1) | instskip(SKIP_2) | instid1(VALU_DEP_2)
	v_cvt_f64_f32_e32 v[91:92], v20
	v_cvt_f32_u32_e32 v20, v3
	v_fmaak_f32 v3, 0x2f800000, v13, 0x2f800000
	v_fmaak_f32 v25, 0x2f800000, v20, 0x2f800000
	v_cmp_gt_f64_e32 vcc_lo, s[18:19], v[4:5]
	v_cmp_gt_f64_e64 s0, s[18:19], v[85:86]
	s_delay_alu instid0(VALU_DEP_4) | instskip(SKIP_4) | instid1(VALU_DEP_4)
	v_cvt_f64_f32_e32 v[3:4], v3
	v_cvt_f32_u32_e32 v5, v21
	v_cmp_gt_f64_e64 s3, s[18:19], v[89:90]
	v_cvt_f32_u32_e32 v85, v48
	v_cmp_gt_f64_e64 s1, s[18:19], v[6:7]
	v_fmaak_f32 v5, 0x2f800000, v5, 0x2f800000
	v_cvt_f32_u32_e32 v7, v49
	v_cmp_gt_f64_e64 s2, s[18:19], v[87:88]
	s_delay_alu instid0(VALU_DEP_3) | instskip(NEXT) | instid1(VALU_DEP_3)
	v_cvt_f64_f32_e32 v[5:6], v5
	v_fmaak_f32 v7, 0x2f800000, v7, 0x2f800000
	v_cmp_gt_f64_e64 s4, s[18:19], v[91:92]
	v_cndmask_b32_e64 v13, 0, 0x3ff00000, vcc_lo
	v_cmp_gt_f64_e64 s5, s[18:19], v[3:4]
	v_cmp_gt_f64_e64 s7, s[18:19], v[5:6]
	s_waitcnt vmcnt(7)
	s_delay_alu instid0(VALU_DEP_3) | instskip(SKIP_3) | instid1(VALU_DEP_3)
	v_mul_f64 v[20:21], v[53:54], v[12:13]
	v_cndmask_b32_e64 v13, 0, 0x3ff00000, s0
	v_cvt_f64_f32_e32 v[53:54], v25
	v_fmaak_f32 v25, 0x2f800000, v47, 0x2f800000
	v_mul_f64 v[55:56], v[55:56], v[12:13]
	v_cndmask_b32_e64 v13, 0, 0x3ff00000, s1
	s_delay_alu instid0(VALU_DEP_3) | instskip(SKIP_2) | instid1(VALU_DEP_3)
	v_cvt_f64_f32_e32 v[47:48], v25
	v_cvt_f32_u32_e32 v25, v52
	s_waitcnt vmcnt(6)
	v_mul_f64 v[49:50], v[57:58], v[12:13]
	v_cndmask_b32_e64 v13, 0, 0x3ff00000, s2
	s_delay_alu instid0(VALU_DEP_1) | instskip(SKIP_3) | instid1(VALU_DEP_2)
	v_mul_f64 v[57:58], v[59:60], v[12:13]
	v_cvt_f64_f32_e32 v[59:60], v7
	v_fmaak_f32 v7, 0x2f800000, v85, 0x2f800000
	v_cndmask_b32_e64 v13, 0, 0x3ff00000, s3
	v_cvt_f64_f32_e32 v[85:86], v7
	s_waitcnt vmcnt(5)
	s_delay_alu instid0(VALU_DEP_2) | instskip(SKIP_3) | instid1(VALU_DEP_3)
	v_mul_f64 v[61:62], v[61:62], v[12:13]
	v_cndmask_b32_e64 v13, 0, 0x3ff00000, s4
	v_fmaak_f32 v7, 0x2f800000, v22, 0x2f800000
	v_cvt_f32_u32_e32 v22, v51
	v_mul_f64 v[63:64], v[63:64], v[12:13]
	v_cndmask_b32_e64 v13, 0, 0x3ff00000, s5
	s_delay_alu instid0(VALU_DEP_4) | instskip(SKIP_2) | instid1(VALU_DEP_3)
	v_cvt_f64_f32_e32 v[3:4], v7
	v_fmaak_f32 v7, 0x2f800000, v25, 0x2f800000
	s_waitcnt vmcnt(4)
	v_mul_f64 v[51:52], v[65:66], v[12:13]
	v_cvt_f32_u32_e32 v65, v24
	v_cmp_gt_f64_e64 s6, s[18:19], v[53:54]
	v_cvt_f64_f32_e32 v[24:25], v7
	v_fmaak_f32 v7, 0x2f800000, v22, 0x2f800000
	v_cmp_gt_f64_e64 s8, s[18:19], v[47:48]
	s_delay_alu instid0(VALU_DEP_2) | instskip(SKIP_1) | instid1(VALU_DEP_1)
	v_cvt_f64_f32_e32 v[5:6], v7
	v_fmaak_f32 v7, 0x2f800000, v65, 0x2f800000
	v_cvt_f64_f32_e32 v[47:48], v7
	v_cndmask_b32_e64 v7, 0, 1, s1
	v_cmp_gt_f64_e64 s9, s[18:19], v[59:60]
	v_cmp_gt_f64_e64 s10, s[18:19], v[85:86]
	v_cmp_gt_f64_e64 s11, s[18:19], v[3:4]
	v_cndmask_b32_e64 v4, 0, 1, s0
	v_mov_b32_e32 v3, v23
	v_mul_f64 v[22:23], v[16:17], v[57:58]
	v_mul_f64 v[51:52], v[16:17], v[51:52]
	v_cndmask_b32_e64 v13, 0, 0x3ff00000, s6
	v_cmp_gt_f64_e64 s12, s[18:19], v[24:25]
	v_lshlrev_b16 v4, 8, v4
	s_delay_alu instid0(VALU_DEP_3)
	v_mul_f64 v[53:54], v[67:68], v[12:13]
	v_cndmask_b32_e64 v13, 0, 0x3ff00000, s7
	v_cmp_gt_f64_e64 s13, s[18:19], v[5:6]
	v_cndmask_b32_e64 v5, 0, 1, vcc_lo
	v_cndmask_b32_e64 v6, 0, 1, s2
	s_waitcnt vmcnt(3)
	v_mul_f64 v[65:66], v[69:70], v[12:13]
	v_cndmask_b32_e64 v13, 0, 0x3ff00000, s8
	v_or_b32_e32 v4, v5, v4
	v_lshlrev_b16 v5, 8, v6
	v_cndmask_b32_e64 v6, 0, 1, s3
	s_delay_alu instid0(VALU_DEP_4) | instskip(SKIP_2) | instid1(VALU_DEP_1)
	v_mul_f64 v[67:68], v[71:72], v[12:13]
	v_cndmask_b32_e64 v13, 0, 0x3ff00000, s9
	s_waitcnt vmcnt(2)
	v_mul_f64 v[59:60], v[73:74], v[12:13]
	v_cndmask_b32_e64 v13, 0, 0x3ff00000, s10
	s_delay_alu instid0(VALU_DEP_1) | instskip(SKIP_1) | instid1(VALU_DEP_1)
	v_mul_f64 v[69:70], v[75:76], v[12:13]
	v_add_co_u32 v75, s14, s22, v18
	v_add_co_ci_u32_e64 v76, s14, s23, v19, s14
	v_cmp_gt_f64_e64 s14, s[18:19], v[47:48]
	v_cndmask_b32_e64 v13, 0, 0x3ff00000, s11
	v_mul_f64 v[47:48], v[16:17], v[61:62]
	s_add_u32 s22, s22, s28
	s_addc_u32 s23, s23, s29
	s_waitcnt vmcnt(1)
	v_mul_f64 v[71:72], v[77:78], v[12:13]
	v_cndmask_b32_e64 v13, 0, 0x3ff00000, s12
	v_add_co_u32 v77, s15, s24, v14
	v_mul_f64 v[53:54], v[16:17], v[53:54]
	v_add_co_ci_u32_e64 v78, s15, s25, v15, s15
	s_delay_alu instid0(VALU_DEP_4) | instskip(SKIP_2) | instid1(VALU_DEP_1)
	v_mul_f64 v[24:25], v[79:80], v[12:13]
	v_cndmask_b32_e64 v13, 0, 0x3ff00000, s13
	v_add_co_u32 v14, s15, v14, s26
	v_add_co_ci_u32_e64 v15, s15, 0, v15, s15
	s_waitcnt vmcnt(0)
	s_delay_alu instid0(VALU_DEP_3)
	v_mul_f64 v[73:74], v[81:82], v[12:13]
	v_and_b32_e32 v81, 0xffff, v4
	v_or_b32_e32 v82, v7, v5
	v_mul_f64 v[4:5], v[16:17], v[20:21]
	v_mul_f64 v[20:21], v[16:17], v[49:50]
	;; [unrolled: 1-line block ×4, first 2 shown]
	v_cmp_le_u64_e32 vcc_lo, s[16:17], v[14:15]
	v_mul_f64 v[59:60], v[16:17], v[59:60]
	s_or_b32 s27, vcc_lo, s27
	v_mul_f64 v[61:62], v[16:17], v[69:70]
	v_cndmask_b32_e64 v13, 0, 0x3ff00000, s14
	s_delay_alu instid0(VALU_DEP_1)
	v_mul_f64 v[79:80], v[83:84], v[12:13]
	v_cndmask_b32_e64 v13, 0, 1, s4
	v_mul_f64 v[63:64], v[16:17], v[71:72]
	v_cndmask_b32_e64 v84, 0, 1, s6
	v_cndmask_b32_e64 v71, 0, 1, s8
	;; [unrolled: 1-line block ×3, first 2 shown]
	v_lshlrev_b16 v13, 8, v13
	s_delay_alu instid0(VALU_DEP_4) | instskip(NEXT) | instid1(VALU_DEP_4)
	v_lshlrev_b16 v72, 8, v84
	v_lshlrev_b16 v71, 8, v71
	v_cndmask_b32_e64 v84, 0, 1, s13
	s_delay_alu instid0(VALU_DEP_4)
	v_or_b32_e32 v13, v6, v13
	v_mul_f64 v[6:7], v[16:17], v[55:56]
	v_mul_f64 v[55:56], v[16:17], v[65:66]
	;; [unrolled: 1-line block ×4, first 2 shown]
	v_cndmask_b32_e64 v74, 0, 1, s10
	v_lshlrev_b32_e32 v24, 16, v82
	v_cndmask_b32_e64 v25, 0, 1, s7
	v_cndmask_b32_e64 v73, 0, 1, s9
	;; [unrolled: 1-line block ×3, first 2 shown]
	v_lshlrev_b16 v74, 8, v74
	v_or_b32_e32 v72, v83, v72
	v_or_b32_e32 v25, v25, v71
	v_and_b32_e32 v13, 0xffff, v13
	s_delay_alu instid0(VALU_DEP_4) | instskip(NEXT) | instid1(VALU_DEP_4)
	v_or_b32_e32 v71, v73, v74
	v_lshlrev_b32_e32 v72, 16, v72
	s_delay_alu instid0(VALU_DEP_4) | instskip(NEXT) | instid1(VALU_DEP_2)
	v_and_b32_e32 v25, 0xffff, v25
	v_or_b32_e32 v72, v13, v72
	v_mul_f64 v[69:70], v[16:17], v[79:80]
	v_cndmask_b32_e64 v79, 0, 1, s12
	v_cndmask_b32_e64 v80, 0, 1, s14
	s_delay_alu instid0(VALU_DEP_2) | instskip(NEXT) | instid1(VALU_DEP_2)
	v_lshlrev_b16 v79, 8, v79
	v_lshlrev_b16 v80, 8, v80
	s_delay_alu instid0(VALU_DEP_2) | instskip(NEXT) | instid1(VALU_DEP_2)
	v_or_b32_e32 v73, v82, v79
	v_or_b32_e32 v74, v84, v80
	v_lshlrev_b32_e32 v79, 16, v71
	v_or_b32_e32 v71, v81, v24
	s_delay_alu instid0(VALU_DEP_4) | instskip(NEXT) | instid1(VALU_DEP_4)
	v_and_b32_e32 v80, 0xffff, v73
	v_lshlrev_b32_e32 v74, 16, v74
	s_delay_alu instid0(VALU_DEP_4) | instskip(NEXT) | instid1(VALU_DEP_2)
	v_or_b32_e32 v73, v25, v79
	v_or_b32_e32 v74, v80, v74
	s_clause 0x7
	global_store_b128 v[75:76], v[4:7], off
	global_store_b128 v[75:76], v[20:23], off offset:16
	global_store_b128 v[75:76], v[47:50], off offset:32
	;; [unrolled: 1-line block ×7, first 2 shown]
	global_store_b128 v[77:78], v[71:74], off
	s_waitcnt_vscnt null, 0x0
	s_barrier
	buffer_gl0_inv
	s_and_not1_b32 exec_lo, exec_lo, s27
	s_cbranch_execz .LBB28_45
.LBB28_6:                               ; =>This Inner Loop Header: Depth=1
	v_add_co_u32 v6, vcc_lo, v27, 1
	s_delay_alu instid0(VALU_DEP_1) | instskip(SKIP_2) | instid1(VALU_DEP_1)
	v_cndmask_b32_e64 v4, 0, 1, vcc_lo
	v_add_co_ci_u32_e32 v13, vcc_lo, 0, v26, vcc_lo
	s_mov_b32 s0, exec_lo
	v_cmp_eq_u32_e32 vcc_lo, 0, v13
	s_delay_alu instid0(VALU_DEP_3) | instskip(SKIP_1) | instid1(VALU_DEP_2)
	v_cndmask_b32_e32 v7, 0, v4, vcc_lo
	v_mad_u64_u32 v[4:5], null, 0xd2511f53, v6, 0
	v_add_nc_u32_e32 v25, v7, v8
	s_delay_alu instid0(VALU_DEP_2) | instskip(NEXT) | instid1(VALU_DEP_2)
	v_xor_b32_e32 v8, v5, v11
	v_cmp_eq_u32_e32 vcc_lo, 0, v25
	v_mad_u64_u32 v[5:6], null, 0xcd9e8d57, v25, 0
	v_cndmask_b32_e32 v7, 0, v7, vcc_lo
	s_delay_alu instid0(VALU_DEP_2) | instskip(NEXT) | instid1(VALU_DEP_2)
	v_xor3_b32 v20, v6, v10, v13
	v_add_nc_u32_e32 v22, v7, v9
	s_delay_alu instid0(VALU_DEP_1) | instskip(NEXT) | instid1(VALU_DEP_1)
	v_xor_b32_e32 v8, v22, v8
	v_mad_u64_u32 v[6:7], null, 0xcd9e8d57, v8, 0
	s_delay_alu instid0(VALU_DEP_4) | instskip(NEXT) | instid1(VALU_DEP_2)
	v_mad_u64_u32 v[8:9], null, 0xd2511f53, v20, 0
	v_xor3_b32 v7, v29, v7, v5
	s_delay_alu instid0(VALU_DEP_2) | instskip(NEXT) | instid1(VALU_DEP_2)
	v_xor3_b32 v9, v28, v9, v4
	v_mad_u64_u32 v[4:5], null, 0xd2511f53, v7, 0
	s_delay_alu instid0(VALU_DEP_2) | instskip(NEXT) | instid1(VALU_DEP_2)
	v_mad_u64_u32 v[20:21], null, 0xcd9e8d57, v9, 0
	v_xor3_b32 v7, v31, v5, v8
	s_delay_alu instid0(VALU_DEP_2) | instskip(NEXT) | instid1(VALU_DEP_2)
	v_xor3_b32 v9, v30, v21, v6
	v_mad_u64_u32 v[5:6], null, 0xcd9e8d57, v7, 0
	s_delay_alu instid0(VALU_DEP_2) | instskip(NEXT) | instid1(VALU_DEP_2)
	;; [unrolled: 6-line block ×8, first 2 shown]
	v_mad_u64_u32 v[20:21], null, 0xd2511f53, v4, 0
	v_xor3_b32 v23, v9, v23, v44
	s_delay_alu instid0(VALU_DEP_2)
	v_xor3_b32 v9, v21, v5, v45
                                        ; implicit-def: $vgpr4_vgpr5_vgpr6_vgpr7
	v_cmpx_lt_i32_e32 1, v46
	s_xor_b32 s0, exec_lo, s0
	s_cbranch_execz .LBB28_12
; %bb.7:                                ;   in Loop: Header=BB28_6 Depth=1
	s_mov_b32 s1, exec_lo
                                        ; implicit-def: $vgpr4_vgpr5_vgpr6_vgpr7
	v_cmpx_lt_i32_e32 2, v46
	s_xor_b32 s1, exec_lo, s1
; %bb.8:                                ;   in Loop: Header=BB28_6 Depth=1
	v_mov_b32_e32 v6, v3
	v_mov_b32_e32 v7, v23
                                        ; implicit-def: $vgpr0_vgpr1_vgpr2_vgpr3
	s_delay_alu instid0(VALU_DEP_2) | instskip(NEXT) | instid1(VALU_DEP_2)
	v_mov_b32_e32 v4, v6
	v_dual_mov_b32 v5, v7 :: v_dual_mov_b32 v6, v8
	v_mov_b32_e32 v7, v9
; %bb.9:                                ;   in Loop: Header=BB28_6 Depth=1
	s_and_not1_saveexec_b32 s1, s1
; %bb.10:                               ;   in Loop: Header=BB28_6 Depth=1
	v_dual_mov_b32 v4, v2 :: v_dual_mov_b32 v5, v3
	v_dual_mov_b32 v6, v23 :: v_dual_mov_b32 v7, v8
; %bb.11:                               ;   in Loop: Header=BB28_6 Depth=1
	s_or_b32 exec_lo, exec_lo, s1
                                        ; implicit-def: $vgpr0_vgpr1_vgpr2_vgpr3
.LBB28_12:                              ;   in Loop: Header=BB28_6 Depth=1
	s_and_not1_saveexec_b32 s0, s0
	s_cbranch_execz .LBB28_16
; %bb.13:                               ;   in Loop: Header=BB28_6 Depth=1
	s_mov_b32 s1, exec_lo
	v_cmpx_eq_u32_e32 1, v46
; %bb.14:                               ;   in Loop: Header=BB28_6 Depth=1
	v_dual_mov_b32 v0, v1 :: v_dual_mov_b32 v1, v2
	v_mov_b32_e32 v2, v3
	v_mov_b32_e32 v3, v23
; %bb.15:                               ;   in Loop: Header=BB28_6 Depth=1
	s_or_b32 exec_lo, exec_lo, s1
	s_delay_alu instid0(VALU_DEP_1)
	v_dual_mov_b32 v7, v3 :: v_dual_mov_b32 v6, v2
	v_dual_mov_b32 v5, v1 :: v_dual_mov_b32 v4, v0
.LBB28_16:                              ;   in Loop: Header=BB28_6 Depth=1
	s_or_b32 exec_lo, exec_lo, s0
	v_add_nc_u32_e32 v2, 2, v27
	s_mov_b32 s0, exec_lo
	s_delay_alu instid0(VALU_DEP_1) | instskip(SKIP_2) | instid1(VALU_DEP_1)
	v_cmp_eq_u32_e32 vcc_lo, 0, v2
	v_cndmask_b32_e64 v0, 0, 1, vcc_lo
	v_add_co_ci_u32_e32 v24, vcc_lo, 0, v13, vcc_lo
	v_cmp_eq_u32_e32 vcc_lo, 0, v24
	s_delay_alu instid0(VALU_DEP_3) | instskip(SKIP_1) | instid1(VALU_DEP_2)
	v_cndmask_b32_e32 v3, 0, v0, vcc_lo
	v_mad_u64_u32 v[0:1], null, 0xd2511f53, v2, 0
	v_add_nc_u32_e32 v25, v3, v25
	s_delay_alu instid0(VALU_DEP_2) | instskip(NEXT) | instid1(VALU_DEP_2)
	v_xor_b32_e32 v1, v1, v11
	v_cmp_eq_u32_e32 vcc_lo, 0, v25
	v_cndmask_b32_e32 v13, 0, v3, vcc_lo
	v_mad_u64_u32 v[2:3], null, 0xcd9e8d57, v25, 0
	s_delay_alu instid0(VALU_DEP_2) | instskip(NEXT) | instid1(VALU_DEP_2)
	v_add_nc_u32_e32 v26, v13, v22
	v_xor3_b32 v3, v3, v10, v24
	s_delay_alu instid0(VALU_DEP_2) | instskip(NEXT) | instid1(VALU_DEP_2)
	v_xor_b32_e32 v1, v26, v1
	v_mad_u64_u32 v[21:22], null, 0xd2511f53, v3, 0
	s_delay_alu instid0(VALU_DEP_2) | instskip(NEXT) | instid1(VALU_DEP_2)
	v_mad_u64_u32 v[47:48], null, 0xcd9e8d57, v1, 0
	v_xor3_b32 v3, v28, v22, v0
	s_delay_alu instid0(VALU_DEP_2) | instskip(NEXT) | instid1(VALU_DEP_2)
	v_xor3_b32 v13, v29, v48, v2
	v_mad_u64_u32 v[0:1], null, 0xcd9e8d57, v3, 0
	s_delay_alu instid0(VALU_DEP_2) | instskip(NEXT) | instid1(VALU_DEP_2)
	v_mad_u64_u32 v[2:3], null, 0xd2511f53, v13, 0
	v_xor3_b32 v1, v30, v1, v47
	s_delay_alu instid0(VALU_DEP_2) | instskip(NEXT) | instid1(VALU_DEP_2)
	v_xor3_b32 v3, v31, v3, v21
	;; [unrolled: 6-line block ×5, first 2 shown]
	v_mad_u64_u32 v[0:1], null, 0xcd9e8d57, v2, 0
	s_delay_alu instid0(VALU_DEP_2) | instskip(NEXT) | instid1(VALU_DEP_2)
	v_mad_u64_u32 v[2:3], null, 0xd2511f53, v13, 0
                                        ; implicit-def: $vgpr13
	v_xor3_b32 v1, v38, v1, v47
	s_delay_alu instid0(VALU_DEP_2) | instskip(NEXT) | instid1(VALU_DEP_2)
	v_xor3_b32 v3, v39, v3, v21
	v_mad_u64_u32 v[21:22], null, 0xd2511f53, v1, 0
	s_delay_alu instid0(VALU_DEP_2) | instskip(NEXT) | instid1(VALU_DEP_2)
	v_mad_u64_u32 v[47:48], null, 0xcd9e8d57, v3, 0
	v_xor3_b32 v1, v40, v22, v2
	s_delay_alu instid0(VALU_DEP_2) | instskip(NEXT) | instid1(VALU_DEP_2)
	v_xor3_b32 v0, v41, v48, v0
	v_mad_u64_u32 v[48:49], null, 0xcd9e8d57, v1, 0
	s_delay_alu instid0(VALU_DEP_2) | instskip(NEXT) | instid1(VALU_DEP_2)
	v_mad_u64_u32 v[2:3], null, 0xd2511f53, v0, 0
	v_xor3_b32 v0, v43, v49, v47
                                        ; implicit-def: $vgpr47
	s_delay_alu instid0(VALU_DEP_2) | instskip(NEXT) | instid1(VALU_DEP_2)
	v_xor3_b32 v3, v42, v3, v21
	v_mad_u64_u32 v[21:22], null, 0xd2511f53, v0, 0
	s_delay_alu instid0(VALU_DEP_2) | instskip(NEXT) | instid1(VALU_DEP_2)
	v_mad_u64_u32 v[0:1], null, 0xcd9e8d57, v3, 0
                                        ; implicit-def: $vgpr3
	v_xor3_b32 v2, v22, v2, v45
	s_delay_alu instid0(VALU_DEP_2)
	v_xor3_b32 v1, v1, v48, v44
	v_cmpx_lt_i32_e32 1, v46
	s_xor_b32 s0, exec_lo, s0
	s_cbranch_execz .LBB28_22
; %bb.17:                               ;   in Loop: Header=BB28_6 Depth=1
	s_mov_b32 s1, exec_lo
	v_cmpx_lt_i32_e32 2, v46
	s_xor_b32 s1, exec_lo, s1
; %bb.18:                               ;   in Loop: Header=BB28_6 Depth=1
                                        ; implicit-def: $vgpr9
; %bb.19:                               ;   in Loop: Header=BB28_6 Depth=1
	s_delay_alu instid0(SALU_CYCLE_1)
	s_or_saveexec_b32 s1, s1
	v_mov_b32_e32 v3, v2
	v_mov_b32_e32 v13, v0
	;; [unrolled: 1-line block ×3, first 2 shown]
	s_xor_b32 exec_lo, exec_lo, s1
; %bb.20:                               ;   in Loop: Header=BB28_6 Depth=1
	v_mov_b32_e32 v3, v0
	v_mov_b32_e32 v13, v1
	v_dual_mov_b32 v47, v20 :: v_dual_mov_b32 v20, v9
; %bb.21:                               ;   in Loop: Header=BB28_6 Depth=1
	s_or_b32 exec_lo, exec_lo, s1
                                        ; implicit-def: $vgpr9
                                        ; implicit-def: $vgpr23
.LBB28_22:                              ;   in Loop: Header=BB28_6 Depth=1
	s_and_not1_saveexec_b32 s0, s0
	s_cbranch_execz .LBB28_26
; %bb.23:                               ;   in Loop: Header=BB28_6 Depth=1
	s_delay_alu instid0(VALU_DEP_1)
	v_mov_b32_e32 v3, v20
	v_mov_b32_e32 v13, v9
	;; [unrolled: 1-line block ×3, first 2 shown]
	s_mov_b32 s1, exec_lo
	v_cmpx_eq_u32_e32 1, v46
; %bb.24:                               ;   in Loop: Header=BB28_6 Depth=1
	v_mov_b32_e32 v3, v1
	v_mov_b32_e32 v13, v20
	;; [unrolled: 1-line block ×4, first 2 shown]
; %bb.25:                               ;   in Loop: Header=BB28_6 Depth=1
	s_or_b32 exec_lo, exec_lo, s1
	s_delay_alu instid0(VALU_DEP_1)
	v_mov_b32_e32 v20, v23
.LBB28_26:                              ;   in Loop: Header=BB28_6 Depth=1
	s_or_b32 exec_lo, exec_lo, s0
	v_add_nc_u32_e32 v48, 3, v27
	s_mov_b32 s0, exec_lo
	s_delay_alu instid0(VALU_DEP_1) | instskip(SKIP_3) | instid1(VALU_DEP_3)
	v_cmp_eq_u32_e32 vcc_lo, 0, v48
	v_mad_u64_u32 v[22:23], null, 0xd2511f53, v48, 0
	v_cndmask_b32_e64 v9, 0, 1, vcc_lo
	v_add_co_ci_u32_e32 v8, vcc_lo, 0, v24, vcc_lo
	v_xor_b32_e32 v23, v23, v11
	s_delay_alu instid0(VALU_DEP_2) | instskip(NEXT) | instid1(VALU_DEP_4)
	v_cmp_eq_u32_e32 vcc_lo, 0, v8
	v_cndmask_b32_e32 v24, 0, v9, vcc_lo
	s_delay_alu instid0(VALU_DEP_1) | instskip(NEXT) | instid1(VALU_DEP_1)
	v_add_nc_u32_e32 v9, v24, v25
	v_cmp_eq_u32_e32 vcc_lo, 0, v9
	v_cndmask_b32_e32 v24, 0, v24, vcc_lo
	v_mad_u64_u32 v[48:49], null, 0xcd9e8d57, v9, 0
	s_delay_alu instid0(VALU_DEP_2) | instskip(NEXT) | instid1(VALU_DEP_2)
	v_add_nc_u32_e32 v24, v24, v26
	v_xor3_b32 v49, v49, v10, v8
	s_delay_alu instid0(VALU_DEP_2) | instskip(NEXT) | instid1(VALU_DEP_2)
	v_xor_b32_e32 v23, v24, v23
	v_mad_u64_u32 v[25:26], null, 0xd2511f53, v49, 0
	s_delay_alu instid0(VALU_DEP_2) | instskip(NEXT) | instid1(VALU_DEP_2)
	v_mad_u64_u32 v[49:50], null, 0xcd9e8d57, v23, 0
	v_xor3_b32 v26, v28, v26, v22
	s_delay_alu instid0(VALU_DEP_2) | instskip(NEXT) | instid1(VALU_DEP_2)
	v_xor3_b32 v48, v29, v50, v48
	v_mad_u64_u32 v[22:23], null, 0xcd9e8d57, v26, 0
	s_delay_alu instid0(VALU_DEP_2) | instskip(NEXT) | instid1(VALU_DEP_2)
	v_mad_u64_u32 v[50:51], null, 0xd2511f53, v48, 0
	v_xor3_b32 v23, v30, v23, v49
	s_delay_alu instid0(VALU_DEP_2) | instskip(NEXT) | instid1(VALU_DEP_2)
	v_xor3_b32 v51, v31, v51, v25
	;; [unrolled: 6-line block ×7, first 2 shown]
	v_mad_u64_u32 v[50:51], null, 0xcd9e8d57, v23, 0
	s_delay_alu instid0(VALU_DEP_2) | instskip(NEXT) | instid1(VALU_DEP_2)
	v_mad_u64_u32 v[52:53], null, 0xd2511f53, v22, 0
	v_xor3_b32 v26, v43, v51, v49
                                        ; implicit-def: $vgpr49
	s_delay_alu instid0(VALU_DEP_2) | instskip(NEXT) | instid1(VALU_DEP_2)
	v_xor3_b32 v48, v42, v53, v25
	v_mad_u64_u32 v[22:23], null, 0xd2511f53, v26, 0
	s_delay_alu instid0(VALU_DEP_2) | instskip(NEXT) | instid1(VALU_DEP_2)
	v_mad_u64_u32 v[25:26], null, 0xcd9e8d57, v48, 0
                                        ; implicit-def: $vgpr48
	v_xor3_b32 v53, v23, v52, v45
	s_delay_alu instid0(VALU_DEP_2)
	v_xor3_b32 v54, v26, v50, v44
                                        ; implicit-def: $vgpr50
	v_cmpx_lt_i32_e32 1, v46
	s_xor_b32 s0, exec_lo, s0
	s_cbranch_execz .LBB28_32
; %bb.27:                               ;   in Loop: Header=BB28_6 Depth=1
	s_mov_b32 s1, exec_lo
	v_cmpx_lt_i32_e32 2, v46
	s_xor_b32 s1, exec_lo, s1
; %bb.28:                               ;   in Loop: Header=BB28_6 Depth=1
                                        ; implicit-def: $vgpr2
; %bb.29:                               ;   in Loop: Header=BB28_6 Depth=1
	s_delay_alu instid0(SALU_CYCLE_1)
	s_or_saveexec_b32 s1, s1
	v_mov_b32_e32 v48, v53
	v_dual_mov_b32 v49, v25 :: v_dual_mov_b32 v50, v54
	s_xor_b32 exec_lo, exec_lo, s1
; %bb.30:                               ;   in Loop: Header=BB28_6 Depth=1
	v_dual_mov_b32 v48, v25 :: v_dual_mov_b32 v49, v54
	v_dual_mov_b32 v50, v21 :: v_dual_mov_b32 v21, v2
; %bb.31:                               ;   in Loop: Header=BB28_6 Depth=1
	s_or_b32 exec_lo, exec_lo, s1
                                        ; implicit-def: $vgpr2
                                        ; implicit-def: $vgpr0
                                        ; implicit-def: $vgpr1
.LBB28_32:                              ;   in Loop: Header=BB28_6 Depth=1
	s_and_not1_saveexec_b32 s0, s0
	s_cbranch_execz .LBB28_36
; %bb.33:                               ;   in Loop: Header=BB28_6 Depth=1
	s_delay_alu instid0(VALU_DEP_1)
	v_dual_mov_b32 v48, v21 :: v_dual_mov_b32 v49, v2
	v_mov_b32_e32 v50, v0
	s_mov_b32 s1, exec_lo
	v_cmpx_eq_u32_e32 1, v46
; %bb.34:                               ;   in Loop: Header=BB28_6 Depth=1
	v_dual_mov_b32 v48, v54 :: v_dual_mov_b32 v49, v21
	v_dual_mov_b32 v50, v2 :: v_dual_mov_b32 v1, v0
; %bb.35:                               ;   in Loop: Header=BB28_6 Depth=1
	s_or_b32 exec_lo, exec_lo, s1
	s_delay_alu instid0(VALU_DEP_1)
	v_mov_b32_e32 v21, v1
.LBB28_36:                              ;   in Loop: Header=BB28_6 Depth=1
	s_or_b32 exec_lo, exec_lo, s0
	v_add_nc_u32_e32 v27, 4, v27
	s_mov_b32 s0, exec_lo
	s_delay_alu instid0(VALU_DEP_1) | instskip(SKIP_2) | instid1(VALU_DEP_1)
	v_cmp_eq_u32_e32 vcc_lo, 0, v27
	v_cndmask_b32_e64 v0, 0, 1, vcc_lo
	v_add_co_ci_u32_e32 v26, vcc_lo, 0, v8, vcc_lo
	v_cmp_eq_u32_e32 vcc_lo, 0, v26
	s_delay_alu instid0(VALU_DEP_3) | instskip(NEXT) | instid1(VALU_DEP_1)
	v_cndmask_b32_e32 v0, 0, v0, vcc_lo
	v_add_nc_u32_e32 v8, v0, v9
	s_delay_alu instid0(VALU_DEP_1) | instskip(SKIP_1) | instid1(VALU_DEP_1)
	v_cmp_eq_u32_e32 vcc_lo, 0, v8
	v_cndmask_b32_e32 v0, 0, v0, vcc_lo
	v_add_nc_u32_e32 v9, v0, v24
	v_mad_u64_u32 v[0:1], null, 0xd2511f53, v27, 0
	v_mad_u64_u32 v[23:24], null, 0xcd9e8d57, v8, 0
	s_delay_alu instid0(VALU_DEP_2) | instskip(NEXT) | instid1(VALU_DEP_2)
	v_xor_b32_e32 v1, v1, v11
	v_xor3_b32 v24, v24, v10, v26
	s_delay_alu instid0(VALU_DEP_2) | instskip(NEXT) | instid1(VALU_DEP_1)
	v_xor_b32_e32 v51, v9, v1
	v_mad_u64_u32 v[1:2], null, 0xcd9e8d57, v51, 0
	s_delay_alu instid0(VALU_DEP_3) | instskip(NEXT) | instid1(VALU_DEP_2)
	v_mad_u64_u32 v[51:52], null, 0xd2511f53, v24, 0
	v_xor3_b32 v2, v29, v2, v23
	s_delay_alu instid0(VALU_DEP_2) | instskip(NEXT) | instid1(VALU_DEP_2)
	v_xor3_b32 v0, v28, v52, v0
	v_mad_u64_u32 v[23:24], null, 0xd2511f53, v2, 0
	s_delay_alu instid0(VALU_DEP_2) | instskip(NEXT) | instid1(VALU_DEP_2)
	v_mad_u64_u32 v[55:56], null, 0xcd9e8d57, v0, 0
	v_xor3_b32 v2, v31, v24, v51
	s_delay_alu instid0(VALU_DEP_2) | instskip(NEXT) | instid1(VALU_DEP_2)
	v_xor3_b32 v24, v30, v56, v1
	v_mad_u64_u32 v[0:1], null, 0xcd9e8d57, v2, 0
	s_delay_alu instid0(VALU_DEP_2) | instskip(NEXT) | instid1(VALU_DEP_2)
	;; [unrolled: 6-line block ×6, first 2 shown]
	v_mad_u64_u32 v[51:52], null, 0xd2511f53, v24, 0
	v_xor3_b32 v2, v41, v2, v23
	s_delay_alu instid0(VALU_DEP_2) | instskip(NEXT) | instid1(VALU_DEP_2)
	v_xor3_b32 v0, v40, v52, v0
                                        ; implicit-def: $vgpr52
	v_mad_u64_u32 v[55:56], null, 0xd2511f53, v2, 0
	s_delay_alu instid0(VALU_DEP_2) | instskip(NEXT) | instid1(VALU_DEP_2)
	v_mad_u64_u32 v[57:58], null, 0xcd9e8d57, v0, 0
	v_xor3_b32 v0, v42, v56, v51
	s_delay_alu instid0(VALU_DEP_2) | instskip(NEXT) | instid1(VALU_DEP_2)
	v_xor3_b32 v51, v43, v58, v1
	v_mad_u64_u32 v[1:2], null, 0xcd9e8d57, v0, 0
	s_delay_alu instid0(VALU_DEP_2) | instskip(NEXT) | instid1(VALU_DEP_2)
	v_mad_u64_u32 v[23:24], null, 0xd2511f53, v51, 0
                                        ; implicit-def: $vgpr51
	v_xor3_b32 v0, v2, v57, v44
	s_delay_alu instid0(VALU_DEP_2)
	v_xor3_b32 v2, v24, v55, v45
                                        ; implicit-def: $vgpr24
	v_cmpx_lt_i32_e32 1, v46
	s_xor_b32 s0, exec_lo, s0
	s_cbranch_execz .LBB28_42
; %bb.37:                               ;   in Loop: Header=BB28_6 Depth=1
	s_mov_b32 s1, exec_lo
	v_cmpx_lt_i32_e32 2, v46
	s_xor_b32 s1, exec_lo, s1
; %bb.38:                               ;   in Loop: Header=BB28_6 Depth=1
                                        ; implicit-def: $vgpr53
; %bb.39:                               ;   in Loop: Header=BB28_6 Depth=1
	s_delay_alu instid0(SALU_CYCLE_1)
	s_or_saveexec_b32 s1, s1
	v_dual_mov_b32 v24, v2 :: v_dual_mov_b32 v51, v1
	v_mov_b32_e32 v52, v0
	s_xor_b32 exec_lo, exec_lo, s1
; %bb.40:                               ;   in Loop: Header=BB28_6 Depth=1
	v_dual_mov_b32 v24, v1 :: v_dual_mov_b32 v51, v0
	v_mov_b32_e32 v52, v22
	v_mov_b32_e32 v22, v53
; %bb.41:                               ;   in Loop: Header=BB28_6 Depth=1
	s_or_b32 exec_lo, exec_lo, s1
                                        ; implicit-def: $vgpr53
                                        ; implicit-def: $vgpr25
                                        ; implicit-def: $vgpr54
.LBB28_42:                              ;   in Loop: Header=BB28_6 Depth=1
	s_and_not1_saveexec_b32 s0, s0
	s_cbranch_execz .LBB28_5
; %bb.43:                               ;   in Loop: Header=BB28_6 Depth=1
	s_delay_alu instid0(VALU_DEP_1)
	v_dual_mov_b32 v24, v22 :: v_dual_mov_b32 v51, v53
	v_mov_b32_e32 v52, v25
	s_mov_b32 s1, exec_lo
	v_cmpx_eq_u32_e32 1, v46
	s_cbranch_execz .LBB28_4
; %bb.44:                               ;   in Loop: Header=BB28_6 Depth=1
	v_dual_mov_b32 v24, v0 :: v_dual_mov_b32 v51, v22
	v_mov_b32_e32 v52, v53
	v_mov_b32_e32 v54, v25
	s_branch .LBB28_4
.LBB28_45:
	s_endpgm
	.section	.rodata,"a",@progbits
	.p2align	6, 0x0
	.amdhsa_kernel _ZN2at6native12_GLOBAL__N_124fused_dropout_kernel_vecIddmLi1ELi16EbEEvNS_4cuda6detail10TensorInfoIKT_T1_EENS5_IS6_S8_EENS5_IT4_S8_EES8_T0_NS_15PhiloxCudaStateE
		.amdhsa_group_segment_fixed_size 0
		.amdhsa_private_segment_fixed_size 0
		.amdhsa_kernarg_size 1552
		.amdhsa_user_sgpr_count 15
		.amdhsa_user_sgpr_dispatch_ptr 0
		.amdhsa_user_sgpr_queue_ptr 0
		.amdhsa_user_sgpr_kernarg_segment_ptr 1
		.amdhsa_user_sgpr_dispatch_id 0
		.amdhsa_user_sgpr_private_segment_size 0
		.amdhsa_wavefront_size32 1
		.amdhsa_uses_dynamic_stack 0
		.amdhsa_enable_private_segment 0
		.amdhsa_system_sgpr_workgroup_id_x 1
		.amdhsa_system_sgpr_workgroup_id_y 0
		.amdhsa_system_sgpr_workgroup_id_z 0
		.amdhsa_system_sgpr_workgroup_info 0
		.amdhsa_system_vgpr_workitem_id 0
		.amdhsa_next_free_vgpr 93
		.amdhsa_next_free_sgpr 30
		.amdhsa_reserve_vcc 1
		.amdhsa_float_round_mode_32 0
		.amdhsa_float_round_mode_16_64 0
		.amdhsa_float_denorm_mode_32 3
		.amdhsa_float_denorm_mode_16_64 3
		.amdhsa_dx10_clamp 1
		.amdhsa_ieee_mode 1
		.amdhsa_fp16_overflow 0
		.amdhsa_workgroup_processor_mode 1
		.amdhsa_memory_ordered 1
		.amdhsa_forward_progress 0
		.amdhsa_shared_vgpr_count 0
		.amdhsa_exception_fp_ieee_invalid_op 0
		.amdhsa_exception_fp_denorm_src 0
		.amdhsa_exception_fp_ieee_div_zero 0
		.amdhsa_exception_fp_ieee_overflow 0
		.amdhsa_exception_fp_ieee_underflow 0
		.amdhsa_exception_fp_ieee_inexact 0
		.amdhsa_exception_int_div_zero 0
	.end_amdhsa_kernel
	.section	.text._ZN2at6native12_GLOBAL__N_124fused_dropout_kernel_vecIddmLi1ELi16EbEEvNS_4cuda6detail10TensorInfoIKT_T1_EENS5_IS6_S8_EENS5_IT4_S8_EES8_T0_NS_15PhiloxCudaStateE,"axG",@progbits,_ZN2at6native12_GLOBAL__N_124fused_dropout_kernel_vecIddmLi1ELi16EbEEvNS_4cuda6detail10TensorInfoIKT_T1_EENS5_IS6_S8_EENS5_IT4_S8_EES8_T0_NS_15PhiloxCudaStateE,comdat
.Lfunc_end28:
	.size	_ZN2at6native12_GLOBAL__N_124fused_dropout_kernel_vecIddmLi1ELi16EbEEvNS_4cuda6detail10TensorInfoIKT_T1_EENS5_IS6_S8_EENS5_IT4_S8_EES8_T0_NS_15PhiloxCudaStateE, .Lfunc_end28-_ZN2at6native12_GLOBAL__N_124fused_dropout_kernel_vecIddmLi1ELi16EbEEvNS_4cuda6detail10TensorInfoIKT_T1_EENS5_IS6_S8_EENS5_IT4_S8_EES8_T0_NS_15PhiloxCudaStateE
                                        ; -- End function
	.section	.AMDGPU.csdata,"",@progbits
; Kernel info:
; codeLenInByte = 5260
; NumSgprs: 32
; NumVgprs: 93
; ScratchSize: 0
; MemoryBound: 0
; FloatMode: 240
; IeeeMode: 1
; LDSByteSize: 0 bytes/workgroup (compile time only)
; SGPRBlocks: 3
; VGPRBlocks: 11
; NumSGPRsForWavesPerEU: 32
; NumVGPRsForWavesPerEU: 93
; Occupancy: 16
; WaveLimiterHint : 1
; COMPUTE_PGM_RSRC2:SCRATCH_EN: 0
; COMPUTE_PGM_RSRC2:USER_SGPR: 15
; COMPUTE_PGM_RSRC2:TRAP_HANDLER: 0
; COMPUTE_PGM_RSRC2:TGID_X_EN: 1
; COMPUTE_PGM_RSRC2:TGID_Y_EN: 0
; COMPUTE_PGM_RSRC2:TGID_Z_EN: 0
; COMPUTE_PGM_RSRC2:TIDIG_COMP_CNT: 0
	.section	.text._ZN2at6native12_GLOBAL__N_124fused_dropout_kernel_vecIddmLi1ELi8EbEEvNS_4cuda6detail10TensorInfoIKT_T1_EENS5_IS6_S8_EENS5_IT4_S8_EES8_T0_NS_15PhiloxCudaStateE,"axG",@progbits,_ZN2at6native12_GLOBAL__N_124fused_dropout_kernel_vecIddmLi1ELi8EbEEvNS_4cuda6detail10TensorInfoIKT_T1_EENS5_IS6_S8_EENS5_IT4_S8_EES8_T0_NS_15PhiloxCudaStateE,comdat
	.globl	_ZN2at6native12_GLOBAL__N_124fused_dropout_kernel_vecIddmLi1ELi8EbEEvNS_4cuda6detail10TensorInfoIKT_T1_EENS5_IS6_S8_EENS5_IT4_S8_EES8_T0_NS_15PhiloxCudaStateE ; -- Begin function _ZN2at6native12_GLOBAL__N_124fused_dropout_kernel_vecIddmLi1ELi8EbEEvNS_4cuda6detail10TensorInfoIKT_T1_EENS5_IS6_S8_EENS5_IT4_S8_EES8_T0_NS_15PhiloxCudaStateE
	.p2align	8
	.type	_ZN2at6native12_GLOBAL__N_124fused_dropout_kernel_vecIddmLi1ELi8EbEEvNS_4cuda6detail10TensorInfoIKT_T1_EENS5_IS6_S8_EENS5_IT4_S8_EES8_T0_NS_15PhiloxCudaStateE,@function
_ZN2at6native12_GLOBAL__N_124fused_dropout_kernel_vecIddmLi1ELi8EbEEvNS_4cuda6detail10TensorInfoIKT_T1_EENS5_IS6_S8_EENS5_IT4_S8_EES8_T0_NS_15PhiloxCudaStateE: ; @_ZN2at6native12_GLOBAL__N_124fused_dropout_kernel_vecIddmLi1ELi8EbEEvNS_4cuda6detail10TensorInfoIKT_T1_EENS5_IS6_S8_EENS5_IT4_S8_EES8_T0_NS_15PhiloxCudaStateE
; %bb.0:
	s_clause 0x1
	s_load_b256 s[16:23], s[0:1], 0x4e0
	s_load_b32 s2, s[0:1], 0x508
	s_waitcnt lgkmcnt(0)
	v_dual_mov_b32 v3, s22 :: v_dual_mov_b32 v4, s23
	v_dual_mov_b32 v10, s20 :: v_dual_mov_b32 v11, s21
	s_bitcmp0_b32 s2, 0
	s_cbranch_scc1 .LBB29_2
; %bb.1:
	v_dual_mov_b32 v1, s22 :: v_dual_mov_b32 v2, s23
	v_dual_mov_b32 v3, s20 :: v_dual_mov_b32 v4, s21
	s_load_b64 s[2:3], s[0:1], 0x500
	flat_load_b64 v[1:2], v[1:2]
	flat_load_b64 v[10:11], v[3:4]
	s_waitcnt vmcnt(1) lgkmcnt(0)
	v_add_co_u32 v3, vcc_lo, v1, s2
	v_add_co_ci_u32_e32 v4, vcc_lo, s3, v2, vcc_lo
.LBB29_2:
	s_load_b32 s4, s[0:1], 0x51c
	s_add_u32 s2, s0, 0x510
	s_addc_u32 s3, s1, 0
	v_mov_b32_e32 v12, 0
	s_mov_b32 s5, exec_lo
	s_waitcnt lgkmcnt(0)
	s_and_b32 s4, s4, 0xffff
	s_delay_alu instid0(SALU_CYCLE_1) | instskip(SKIP_1) | instid1(VALU_DEP_1)
	v_mad_u64_u32 v[20:21], null, s15, s4, v[0:1]
	v_mov_b32_e32 v21, v12
	v_lshlrev_b64 v[14:15], 3, v[20:21]
	s_delay_alu instid0(VALU_DEP_1)
	v_cmpx_gt_u64_e64 s[16:17], v[14:15]
	s_cbranch_execz .LBB29_25
; %bb.3:
	v_div_scale_f64 v[0:1], null, s[18:19], s[18:19], 1.0
	v_div_scale_f64 v[16:17], vcc_lo, 1.0, s[18:19], 1.0
	v_alignbit_b32 v24, v4, v3, 2
	v_mad_u64_u32 v[18:19], null, 0xcd9e8d57, v20, 0
	v_lshrrev_b32_e32 v44, 2, v4
	s_waitcnt vmcnt(0)
	v_dual_mov_b32 v13, v11 :: v_dual_add_nc_u32 v42, 0x96a522ad, v11
	v_mad_u64_u32 v[22:23], null, 0xd2511f53, v24, 0
	v_add_co_u32 v26, null, 0x9e3779b9, v10
	v_xor3_b32 v2, v10, v19, v44
	s_delay_alu instid0(VALU_DEP_4) | instskip(SKIP_2) | instid1(VALU_DEP_4)
	v_add_co_u32 v25, null, 0xbb67ae85, v13
	v_add_co_u32 v27, null, 0x3c6ef372, v10
	v_xor_b32_e32 v4, v23, v11
	v_mad_u64_u32 v[29:30], null, 0xd2511f53, v2, 0
	v_add_co_u32 v28, null, 0x76cf5d0a, v13
	s_delay_alu instid0(VALU_DEP_3) | instskip(SKIP_1) | instid1(VALU_DEP_4)
	v_mad_u64_u32 v[31:32], null, 0xcd9e8d57, v4, 0
	v_add_co_u32 v35, null, 0xb54cda56, v10
	v_xor3_b32 v2, v25, v30, v22
	v_add_co_u32 v30, null, 0xdaa66d2b, v10
	v_add_co_u32 v36, null, 0x646e171e, v13
	v_xor3_b32 v4, v32, v26, v18
	s_delay_alu instid0(VALU_DEP_4) | instskip(SKIP_2) | instid1(VALU_DEP_3)
	v_mad_u64_u32 v[18:19], null, 0xcd9e8d57, v2, 0
	v_add_co_u32 v32, null, 0xed9eba14, v13
	v_rcp_f64_e32 v[5:6], v[0:1]
	v_mad_u64_u32 v[22:23], null, 0xd2511f53, v4, 0
	v_add_co_u32 v37, null, 0x1fd5c5a3, v13
	s_delay_alu instid0(VALU_DEP_4)
	v_xor3_b32 v2, v27, v19, v31
	v_add_co_u32 v31, null, 0x78dde6e4, v10
	v_add_co_u32 v38, null, 0x5384540f, v10
	v_xor3_b32 v4, v23, v28, v29
	v_add_co_u32 v29, null, 0x32370b8f, v13
	s_load_b32 s2, s[2:3], 0x0
	v_add_co_u32 v39, null, 0xdb3d7428, v13
	s_delay_alu instid0(VALU_DEP_3)
	v_mad_u64_u32 v[33:34], null, 0xcd9e8d57, v4, 0
	v_add_co_u32 v40, null, 0xf1bbcdc8, v10
	s_clause 0x2
	s_load_b64 s[8:9], s[0:1], 0x0
	s_load_b64 s[10:11], s[0:1], 0x1a0
	;; [unrolled: 1-line block ×3, first 2 shown]
	v_add_nc_u32_e32 v41, 0x8ff34781, v10
	v_and_b32_e32 v43, 3, v3
	v_mov_b32_e32 v45, 0
	v_xor3_b32 v4, v34, v30, v18
	v_add_co_u32 v34, null, 0x1715609d, v10
	s_mov_b32 s15, 0
	s_waitcnt lgkmcnt(0)
	s_mul_i32 s2, s2, s4
	s_delay_alu instid0(SALU_CYCLE_1) | instskip(NEXT) | instid1(SALU_CYCLE_1)
	s_lshl_b32 s14, s2, 3
	s_lshl_b64 s[20:21], s[14:15], 3
	s_delay_alu instid0(TRANS32_DEP_1) | instskip(NEXT) | instid1(VALU_DEP_1)
	v_fma_f64 v[7:8], -v[0:1], v[5:6], 1.0
	v_fma_f64 v[5:6], v[5:6], v[7:8], v[5:6]
	s_delay_alu instid0(VALU_DEP_1) | instskip(NEXT) | instid1(VALU_DEP_1)
	v_fma_f64 v[7:8], -v[0:1], v[5:6], 1.0
	v_fma_f64 v[5:6], v[5:6], v[7:8], v[5:6]
	s_delay_alu instid0(VALU_DEP_1) | instskip(NEXT) | instid1(VALU_DEP_1)
	v_mul_f64 v[7:8], v[16:17], v[5:6]
	v_fma_f64 v[0:1], -v[0:1], v[7:8], v[16:17]
	v_mad_u64_u32 v[16:17], null, 0xd2511f53, v2, 0
	s_delay_alu instid0(VALU_DEP_1) | instskip(SKIP_1) | instid1(VALU_DEP_2)
	v_xor3_b32 v2, v29, v17, v22
	v_mad_u64_u32 v[22:23], null, 0xd2511f53, v4, 0
	v_mad_u64_u32 v[17:18], null, 0xcd9e8d57, v2, 0
	s_delay_alu instid0(VALU_DEP_2) | instskip(NEXT) | instid1(VALU_DEP_2)
	v_xor3_b32 v9, v23, v32, v16
	v_xor3_b32 v2, v31, v18, v33
	v_add_co_u32 v33, null, 0xa9066899, v13
	v_lshlrev_b64 v[18:19], 6, v[20:21]
	v_div_fmas_f64 v[0:1], v[0:1], v[5:6], v[7:8]
	s_delay_alu instid0(VALU_DEP_4) | instskip(SKIP_1) | instid1(VALU_DEP_2)
	v_mad_u64_u32 v[4:5], null, 0xd2511f53, v2, 0
	v_mad_u64_u32 v[6:7], null, 0xcd9e8d57, v9, 0
	v_xor3_b32 v2, v33, v5, v22
	s_delay_alu instid0(VALU_DEP_2) | instskip(NEXT) | instid1(VALU_DEP_2)
	v_xor3_b32 v5, v7, v34, v17
	v_mad_u64_u32 v[7:8], null, 0xcd9e8d57, v2, 0
	s_delay_alu instid0(VALU_DEP_2) | instskip(NEXT) | instid1(VALU_DEP_2)
	v_mad_u64_u32 v[16:17], null, 0xd2511f53, v5, 0
	v_xor3_b32 v2, v35, v8, v6
	s_delay_alu instid0(VALU_DEP_2) | instskip(NEXT) | instid1(VALU_DEP_2)
	v_xor3_b32 v6, v17, v36, v4
	v_mad_u64_u32 v[4:5], null, 0xd2511f53, v2, 0
	s_delay_alu instid0(VALU_DEP_2) | instskip(NEXT) | instid1(VALU_DEP_2)
	v_mad_u64_u32 v[8:9], null, 0xcd9e8d57, v6, 0
	v_xor3_b32 v2, v37, v5, v16
	s_delay_alu instid0(VALU_DEP_2) | instskip(SKIP_1) | instid1(VALU_DEP_3)
	v_xor3_b32 v7, v9, v38, v7
	v_div_fixup_f64 v[16:17], v[0:1], s[18:19], 1.0
	v_mad_u64_u32 v[0:1], null, 0xcd9e8d57, v2, 0
	s_delay_alu instid0(VALU_DEP_3) | instskip(NEXT) | instid1(VALU_DEP_2)
	v_mad_u64_u32 v[5:6], null, 0xd2511f53, v7, 0
	v_xor3_b32 v8, v40, v1, v8
	s_delay_alu instid0(VALU_DEP_2) | instskip(NEXT) | instid1(VALU_DEP_2)
	v_xor3_b32 v4, v6, v39, v4
	v_mad_u64_u32 v[6:7], null, 0xd2511f53, v8, 0
	s_delay_alu instid0(VALU_DEP_2) | instskip(NEXT) | instid1(VALU_DEP_2)
	v_mad_u64_u32 v[1:2], null, 0xcd9e8d57, v4, 0
	v_mov_b32_e32 v3, v6
	s_delay_alu instid0(VALU_DEP_2) | instskip(NEXT) | instid1(VALU_DEP_4)
	v_xor3_b32 v0, v0, v2, v41
	v_xor3_b32 v2, v7, v5, v42
	s_branch .LBB29_6
.LBB29_4:                               ;   in Loop: Header=BB29_6 Depth=1
	s_or_b32 exec_lo, exec_lo, s1
	s_delay_alu instid0(VALU_DEP_1)
	v_mov_b32_e32 v21, v13
.LBB29_5:                               ;   in Loop: Header=BB29_6 Depth=1
	s_or_b32 exec_lo, exec_lo, s0
	v_add_co_u32 v8, vcc_lo, s8, v18
	v_add_co_ci_u32_e32 v9, vcc_lo, s9, v19, vcc_lo
	v_cvt_f32_u32_e32 v4, v4
	v_cvt_f32_u32_e32 v13, v7
	;; [unrolled: 1-line block ×3, first 2 shown]
	s_clause 0x3
	global_load_b128 v[47:50], v[8:9], off
	global_load_b128 v[51:54], v[8:9], off offset:16
	global_load_b128 v[55:58], v[8:9], off offset:32
	;; [unrolled: 1-line block ×3, first 2 shown]
	v_cvt_f32_u32_e32 v8, v5
	v_dual_fmaak_f32 v4, 0x2f800000, v4, 0x2f800000 :: v_dual_fmaak_f32 v13, 0x2f800000, v13, 0x2f800000
	v_cvt_f32_u32_e32 v6, v6
	s_delay_alu instid0(VALU_DEP_3) | instskip(NEXT) | instid1(VALU_DEP_3)
	v_fmaak_f32 v8, 0x2f800000, v8, 0x2f800000
	v_cvt_f64_f32_e32 v[4:5], v4
	s_delay_alu instid0(VALU_DEP_4) | instskip(SKIP_4) | instid1(VALU_DEP_4)
	v_cvt_f64_f32_e32 v[63:64], v13
	v_fmaak_f32 v13, 0x2f800000, v21, 0x2f800000
	v_cvt_f32_u32_e32 v21, v46
	v_cvt_f64_f32_e32 v[8:9], v8
	v_fmaak_f32 v6, 0x2f800000, v6, 0x2f800000
	v_cvt_f64_f32_e32 v[65:66], v13
	s_delay_alu instid0(VALU_DEP_4) | instskip(SKIP_1) | instid1(VALU_DEP_4)
	v_fmaak_f32 v13, 0x2f800000, v21, 0x2f800000
	v_cvt_f32_u32_e32 v21, v23
	v_cvt_f64_f32_e32 v[6:7], v6
	v_cvt_f32_u32_e32 v23, v3
	s_delay_alu instid0(VALU_DEP_4) | instskip(NEXT) | instid1(VALU_DEP_4)
	v_cvt_f64_f32_e32 v[67:68], v13
	v_fmaak_f32 v3, 0x2f800000, v21, 0x2f800000
	v_add_co_u32 v21, s7, s10, v18
	s_add_u32 s10, s10, s20
	v_cmp_gt_f64_e32 vcc_lo, s[18:19], v[4:5]
	s_delay_alu instid0(VALU_DEP_3) | instskip(SKIP_3) | instid1(VALU_DEP_3)
	v_cvt_f64_f32_e32 v[3:4], v3
	v_fmaak_f32 v5, 0x2f800000, v23, 0x2f800000
	v_cmp_gt_f64_e64 s2, s[18:19], v[63:64]
	v_cmp_gt_f64_e64 s0, s[18:19], v[8:9]
	v_cvt_f64_f32_e32 v[8:9], v5
	v_cmp_gt_f64_e64 s3, s[18:19], v[65:66]
	v_cmp_gt_f64_e64 s1, s[18:19], v[6:7]
	v_cmp_gt_f64_e64 s4, s[18:19], v[67:68]
	v_cndmask_b32_e64 v13, 0, 0x3ff00000, vcc_lo
	v_cmp_gt_f64_e64 s5, s[18:19], v[3:4]
	v_cndmask_b32_e64 v23, 0, 1, vcc_lo
	v_cmp_gt_f64_e64 s6, s[18:19], v[8:9]
	s_delay_alu instid0(VALU_DEP_3) | instskip(SKIP_3) | instid1(VALU_DEP_1)
	v_cndmask_b32_e64 v63, 0, 1, s5
	s_waitcnt vmcnt(3)
	v_mul_f64 v[46:47], v[47:48], v[12:13]
	v_cndmask_b32_e64 v13, 0, 0x3ff00000, s0
	v_mul_f64 v[48:49], v[49:50], v[12:13]
	v_cndmask_b32_e64 v13, 0, 0x3ff00000, s1
	s_waitcnt vmcnt(2)
	s_delay_alu instid0(VALU_DEP_1) | instskip(SKIP_1) | instid1(VALU_DEP_1)
	v_mul_f64 v[50:51], v[51:52], v[12:13]
	v_cndmask_b32_e64 v13, 0, 0x3ff00000, s2
	v_mul_f64 v[52:53], v[53:54], v[12:13]
	v_cndmask_b32_e64 v13, 0, 0x3ff00000, s3
	s_waitcnt vmcnt(1)
	s_delay_alu instid0(VALU_DEP_1) | instskip(SKIP_1) | instid1(VALU_DEP_1)
	v_mul_f64 v[54:55], v[55:56], v[12:13]
	v_cndmask_b32_e64 v13, 0, 0x3ff00000, s4
	v_mul_f64 v[56:57], v[57:58], v[12:13]
	v_cndmask_b32_e64 v13, 0, 0x3ff00000, s5
	s_waitcnt vmcnt(0)
	s_delay_alu instid0(VALU_DEP_1) | instskip(SKIP_3) | instid1(VALU_DEP_3)
	v_mul_f64 v[58:59], v[59:60], v[12:13]
	v_cndmask_b32_e64 v13, 0, 0x3ff00000, s6
	v_mul_f64 v[4:5], v[16:17], v[46:47]
	v_cndmask_b32_e64 v60, 0, 1, s4
	v_mul_f64 v[8:9], v[61:62], v[12:13]
	v_cndmask_b32_e64 v13, 0, 1, s0
	v_mul_f64 v[6:7], v[16:17], v[48:49]
	v_cndmask_b32_e64 v62, 0, 1, s3
	v_lshlrev_b16 v60, 8, v60
	v_cndmask_b32_e64 v61, 0, 1, s6
	v_lshlrev_b16 v13, 8, v13
	v_mul_f64 v[46:47], v[16:17], v[50:51]
	s_delay_alu instid0(VALU_DEP_3) | instskip(NEXT) | instid1(VALU_DEP_3)
	v_lshlrev_b16 v61, 8, v61
	v_or_b32_e32 v13, v23, v13
	v_mul_f64 v[48:49], v[16:17], v[52:53]
	s_delay_alu instid0(VALU_DEP_2)
	v_and_b32_e32 v13, 0xffff, v13
	v_mul_f64 v[50:51], v[16:17], v[54:55]
	v_mul_f64 v[52:53], v[16:17], v[56:57]
	;; [unrolled: 1-line block ×3, first 2 shown]
	v_cndmask_b32_e64 v59, 0, 1, s2
	v_cndmask_b32_e64 v58, 0, 1, s1
	v_mul_f64 v[56:57], v[16:17], v[8:9]
	s_delay_alu instid0(VALU_DEP_3) | instskip(NEXT) | instid1(VALU_DEP_1)
	v_lshlrev_b16 v59, 8, v59
	v_or_b32_e32 v23, v58, v59
	v_or_b32_e32 v58, v62, v60
	v_mov_b32_e32 v3, v22
	v_add_co_ci_u32_e64 v22, s7, s11, v19, s7
	v_add_co_u32 v8, s7, s12, v14
	s_delay_alu instid0(VALU_DEP_4) | instskip(SKIP_2) | instid1(VALU_DEP_1)
	v_and_b32_e32 v60, 0xffff, v58
	v_add_co_ci_u32_e64 v9, s7, s13, v15, s7
	v_add_co_u32 v14, s7, v14, s14
	v_add_co_ci_u32_e64 v15, s7, 0, v15, s7
	v_or_b32_e32 v59, v63, v61
	v_lshlrev_b32_e32 v23, 16, v23
	s_addc_u32 s11, s11, s21
	s_delay_alu instid0(VALU_DEP_3)
	v_cmp_le_u64_e32 vcc_lo, s[16:17], v[14:15]
	s_add_u32 s8, s8, s20
	v_lshlrev_b32_e32 v59, 16, v59
	s_addc_u32 s9, s9, s21
	v_or_b32_e32 v58, v13, v23
	s_or_b32 s15, vcc_lo, s15
	s_delay_alu instid0(VALU_DEP_2)
	v_or_b32_e32 v59, v60, v59
	s_clause 0x3
	global_store_b128 v[21:22], v[4:7], off
	global_store_b128 v[21:22], v[46:49], off offset:16
	global_store_b128 v[21:22], v[50:53], off offset:32
	;; [unrolled: 1-line block ×3, first 2 shown]
	global_store_b64 v[8:9], v[58:59], off
	s_waitcnt_vscnt null, 0x0
	s_barrier
	buffer_gl0_inv
	s_and_not1_b32 exec_lo, exec_lo, s15
	s_cbranch_execz .LBB29_25
.LBB29_6:                               ; =>This Inner Loop Header: Depth=1
	v_add_co_u32 v6, vcc_lo, v24, 1
	s_delay_alu instid0(VALU_DEP_1) | instskip(SKIP_2) | instid1(VALU_DEP_1)
	v_cndmask_b32_e64 v4, 0, 1, vcc_lo
	v_add_co_ci_u32_e32 v23, vcc_lo, 0, v44, vcc_lo
	s_mov_b32 s0, exec_lo
	v_cmp_eq_u32_e32 vcc_lo, 0, v23
	s_delay_alu instid0(VALU_DEP_3) | instskip(SKIP_1) | instid1(VALU_DEP_2)
	v_cndmask_b32_e32 v7, 0, v4, vcc_lo
	v_mad_u64_u32 v[4:5], null, 0xd2511f53, v6, 0
	v_add_nc_u32_e32 v20, v7, v20
	s_delay_alu instid0(VALU_DEP_2) | instskip(NEXT) | instid1(VALU_DEP_2)
	v_xor_b32_e32 v8, v5, v11
	v_cmp_eq_u32_e32 vcc_lo, 0, v20
	v_cndmask_b32_e32 v7, 0, v7, vcc_lo
	v_mad_u64_u32 v[5:6], null, 0xcd9e8d57, v20, 0
	s_delay_alu instid0(VALU_DEP_2) | instskip(NEXT) | instid1(VALU_DEP_2)
	v_add_nc_u32_e32 v45, v7, v45
	v_xor3_b32 v13, v6, v10, v23
	s_delay_alu instid0(VALU_DEP_2) | instskip(NEXT) | instid1(VALU_DEP_1)
	v_xor_b32_e32 v8, v45, v8
	v_mad_u64_u32 v[6:7], null, 0xcd9e8d57, v8, 0
	s_delay_alu instid0(VALU_DEP_3) | instskip(NEXT) | instid1(VALU_DEP_2)
	v_mad_u64_u32 v[8:9], null, 0xd2511f53, v13, 0
	v_xor3_b32 v7, v26, v7, v5
	s_delay_alu instid0(VALU_DEP_2) | instskip(NEXT) | instid1(VALU_DEP_2)
	v_xor3_b32 v9, v25, v9, v4
	v_mad_u64_u32 v[4:5], null, 0xd2511f53, v7, 0
	s_delay_alu instid0(VALU_DEP_2) | instskip(NEXT) | instid1(VALU_DEP_2)
	v_mad_u64_u32 v[21:22], null, 0xcd9e8d57, v9, 0
	v_xor3_b32 v7, v28, v5, v8
	s_delay_alu instid0(VALU_DEP_2) | instskip(NEXT) | instid1(VALU_DEP_2)
	v_xor3_b32 v9, v27, v22, v6
	v_mad_u64_u32 v[5:6], null, 0xcd9e8d57, v7, 0
	s_delay_alu instid0(VALU_DEP_2) | instskip(NEXT) | instid1(VALU_DEP_2)
	;; [unrolled: 6-line block ×8, first 2 shown]
	v_mad_u64_u32 v[21:22], null, 0xd2511f53, v4, 0
	v_xor3_b32 v13, v9, v46, v41
	s_delay_alu instid0(VALU_DEP_2)
	v_xor3_b32 v9, v22, v5, v42
                                        ; implicit-def: $vgpr4_vgpr5_vgpr6_vgpr7
	v_cmpx_lt_i32_e32 1, v43
	s_xor_b32 s0, exec_lo, s0
	s_cbranch_execz .LBB29_12
; %bb.7:                                ;   in Loop: Header=BB29_6 Depth=1
	s_mov_b32 s1, exec_lo
                                        ; implicit-def: $vgpr4_vgpr5_vgpr6_vgpr7
	v_cmpx_lt_i32_e32 2, v43
	s_xor_b32 s1, exec_lo, s1
; %bb.8:                                ;   in Loop: Header=BB29_6 Depth=1
	v_dual_mov_b32 v6, v3 :: v_dual_mov_b32 v7, v13
                                        ; implicit-def: $vgpr0_vgpr1_vgpr2_vgpr3
	s_delay_alu instid0(VALU_DEP_1) | instskip(NEXT) | instid1(VALU_DEP_2)
	v_mov_b32_e32 v4, v6
	v_dual_mov_b32 v5, v7 :: v_dual_mov_b32 v6, v8
	v_mov_b32_e32 v7, v9
; %bb.9:                                ;   in Loop: Header=BB29_6 Depth=1
	s_and_not1_saveexec_b32 s1, s1
; %bb.10:                               ;   in Loop: Header=BB29_6 Depth=1
	v_dual_mov_b32 v4, v2 :: v_dual_mov_b32 v5, v3
	v_dual_mov_b32 v6, v13 :: v_dual_mov_b32 v7, v8
; %bb.11:                               ;   in Loop: Header=BB29_6 Depth=1
	s_or_b32 exec_lo, exec_lo, s1
                                        ; implicit-def: $vgpr0_vgpr1_vgpr2_vgpr3
.LBB29_12:                              ;   in Loop: Header=BB29_6 Depth=1
	s_and_not1_saveexec_b32 s0, s0
	s_cbranch_execz .LBB29_16
; %bb.13:                               ;   in Loop: Header=BB29_6 Depth=1
	s_mov_b32 s1, exec_lo
	v_cmpx_eq_u32_e32 1, v43
; %bb.14:                               ;   in Loop: Header=BB29_6 Depth=1
	v_dual_mov_b32 v0, v1 :: v_dual_mov_b32 v1, v2
	v_dual_mov_b32 v2, v3 :: v_dual_mov_b32 v3, v13
; %bb.15:                               ;   in Loop: Header=BB29_6 Depth=1
	s_or_b32 exec_lo, exec_lo, s1
	s_delay_alu instid0(VALU_DEP_1) | instskip(NEXT) | instid1(VALU_DEP_3)
	v_dual_mov_b32 v7, v3 :: v_dual_mov_b32 v6, v2
	v_dual_mov_b32 v5, v1 :: v_dual_mov_b32 v4, v0
.LBB29_16:                              ;   in Loop: Header=BB29_6 Depth=1
	s_or_b32 exec_lo, exec_lo, s0
	v_add_nc_u32_e32 v24, 2, v24
	s_mov_b32 s0, exec_lo
	s_delay_alu instid0(VALU_DEP_1) | instskip(SKIP_2) | instid1(VALU_DEP_1)
	v_cmp_eq_u32_e32 vcc_lo, 0, v24
	v_cndmask_b32_e64 v0, 0, 1, vcc_lo
	v_add_co_ci_u32_e32 v44, vcc_lo, 0, v23, vcc_lo
	v_cmp_eq_u32_e32 vcc_lo, 0, v44
	s_delay_alu instid0(VALU_DEP_3) | instskip(NEXT) | instid1(VALU_DEP_1)
	v_cndmask_b32_e32 v0, 0, v0, vcc_lo
	v_add_nc_u32_e32 v20, v0, v20
	s_delay_alu instid0(VALU_DEP_1) | instskip(SKIP_2) | instid1(VALU_DEP_2)
	v_cmp_eq_u32_e32 vcc_lo, 0, v20
	v_mad_u64_u32 v[2:3], null, 0xcd9e8d57, v20, 0
	v_cndmask_b32_e32 v0, 0, v0, vcc_lo
	v_xor3_b32 v3, v3, v10, v44
	s_delay_alu instid0(VALU_DEP_2) | instskip(SKIP_1) | instid1(VALU_DEP_3)
	v_add_nc_u32_e32 v45, v0, v45
	v_mad_u64_u32 v[0:1], null, 0xd2511f53, v24, 0
	v_mad_u64_u32 v[46:47], null, 0xd2511f53, v3, 0
	s_delay_alu instid0(VALU_DEP_2) | instskip(NEXT) | instid1(VALU_DEP_1)
	v_xor_b32_e32 v1, v1, v11
	v_xor_b32_e32 v1, v45, v1
	s_delay_alu instid0(VALU_DEP_1) | instskip(NEXT) | instid1(VALU_DEP_1)
	v_mad_u64_u32 v[22:23], null, 0xcd9e8d57, v1, 0
	v_xor3_b32 v2, v26, v23, v2
	v_xor3_b32 v23, v25, v47, v0
	s_delay_alu instid0(VALU_DEP_2) | instskip(NEXT) | instid1(VALU_DEP_2)
	v_mad_u64_u32 v[0:1], null, 0xd2511f53, v2, 0
	v_mad_u64_u32 v[2:3], null, 0xcd9e8d57, v23, 0
	s_delay_alu instid0(VALU_DEP_2) | instskip(NEXT) | instid1(VALU_DEP_2)
	v_xor3_b32 v1, v28, v1, v46
	v_xor3_b32 v3, v27, v3, v22
	s_delay_alu instid0(VALU_DEP_2) | instskip(NEXT) | instid1(VALU_DEP_2)
	v_mad_u64_u32 v[22:23], null, 0xcd9e8d57, v1, 0
	v_mad_u64_u32 v[46:47], null, 0xd2511f53, v3, 0
	s_delay_alu instid0(VALU_DEP_2) | instskip(NEXT) | instid1(VALU_DEP_2)
	;; [unrolled: 6-line block ×7, first 2 shown]
	v_xor3_b32 v3, v39, v48, v46
	v_xor3_b32 v46, v40, v1, v22
	s_delay_alu instid0(VALU_DEP_2) | instskip(NEXT) | instid1(VALU_DEP_2)
	v_mad_u64_u32 v[1:2], null, 0xcd9e8d57, v3, 0
	v_mad_u64_u32 v[22:23], null, 0xd2511f53, v46, 0
                                        ; implicit-def: $vgpr3
                                        ; implicit-def: $vgpr46
	s_delay_alu instid0(VALU_DEP_2) | instskip(NEXT) | instid1(VALU_DEP_2)
	v_xor3_b32 v0, v2, v0, v41
	v_xor3_b32 v2, v23, v47, v42
                                        ; implicit-def: $vgpr23
	v_cmpx_lt_i32_e32 1, v43
	s_xor_b32 s0, exec_lo, s0
	s_cbranch_execz .LBB29_22
; %bb.17:                               ;   in Loop: Header=BB29_6 Depth=1
	s_mov_b32 s1, exec_lo
	v_cmpx_lt_i32_e32 2, v43
	s_xor_b32 s1, exec_lo, s1
; %bb.18:                               ;   in Loop: Header=BB29_6 Depth=1
                                        ; implicit-def: $vgpr9
; %bb.19:                               ;   in Loop: Header=BB29_6 Depth=1
	s_delay_alu instid0(SALU_CYCLE_1)
	s_or_saveexec_b32 s1, s1
	v_dual_mov_b32 v3, v2 :: v_dual_mov_b32 v46, v0
	v_mov_b32_e32 v23, v1
	s_xor_b32 exec_lo, exec_lo, s1
; %bb.20:                               ;   in Loop: Header=BB29_6 Depth=1
	v_mov_b32_e32 v3, v1
	v_dual_mov_b32 v23, v0 :: v_dual_mov_b32 v46, v21
	v_mov_b32_e32 v21, v9
; %bb.21:                               ;   in Loop: Header=BB29_6 Depth=1
	s_or_b32 exec_lo, exec_lo, s1
                                        ; implicit-def: $vgpr9
                                        ; implicit-def: $vgpr13
.LBB29_22:                              ;   in Loop: Header=BB29_6 Depth=1
	s_and_not1_saveexec_b32 s0, s0
	s_cbranch_execz .LBB29_5
; %bb.23:                               ;   in Loop: Header=BB29_6 Depth=1
	s_delay_alu instid0(VALU_DEP_1)
	v_dual_mov_b32 v3, v21 :: v_dual_mov_b32 v46, v8
	v_mov_b32_e32 v23, v9
	s_mov_b32 s1, exec_lo
	v_cmpx_eq_u32_e32 1, v43
	s_cbranch_execz .LBB29_4
; %bb.24:                               ;   in Loop: Header=BB29_6 Depth=1
	v_dual_mov_b32 v3, v0 :: v_dual_mov_b32 v46, v9
	v_mov_b32_e32 v23, v21
	v_mov_b32_e32 v13, v8
	s_branch .LBB29_4
.LBB29_25:
	s_endpgm
	.section	.rodata,"a",@progbits
	.p2align	6, 0x0
	.amdhsa_kernel _ZN2at6native12_GLOBAL__N_124fused_dropout_kernel_vecIddmLi1ELi8EbEEvNS_4cuda6detail10TensorInfoIKT_T1_EENS5_IS6_S8_EENS5_IT4_S8_EES8_T0_NS_15PhiloxCudaStateE
		.amdhsa_group_segment_fixed_size 0
		.amdhsa_private_segment_fixed_size 0
		.amdhsa_kernarg_size 1552
		.amdhsa_user_sgpr_count 15
		.amdhsa_user_sgpr_dispatch_ptr 0
		.amdhsa_user_sgpr_queue_ptr 0
		.amdhsa_user_sgpr_kernarg_segment_ptr 1
		.amdhsa_user_sgpr_dispatch_id 0
		.amdhsa_user_sgpr_private_segment_size 0
		.amdhsa_wavefront_size32 1
		.amdhsa_uses_dynamic_stack 0
		.amdhsa_enable_private_segment 0
		.amdhsa_system_sgpr_workgroup_id_x 1
		.amdhsa_system_sgpr_workgroup_id_y 0
		.amdhsa_system_sgpr_workgroup_id_z 0
		.amdhsa_system_sgpr_workgroup_info 0
		.amdhsa_system_vgpr_workitem_id 0
		.amdhsa_next_free_vgpr 69
		.amdhsa_next_free_sgpr 24
		.amdhsa_reserve_vcc 1
		.amdhsa_float_round_mode_32 0
		.amdhsa_float_round_mode_16_64 0
		.amdhsa_float_denorm_mode_32 3
		.amdhsa_float_denorm_mode_16_64 3
		.amdhsa_dx10_clamp 1
		.amdhsa_ieee_mode 1
		.amdhsa_fp16_overflow 0
		.amdhsa_workgroup_processor_mode 1
		.amdhsa_memory_ordered 1
		.amdhsa_forward_progress 0
		.amdhsa_shared_vgpr_count 0
		.amdhsa_exception_fp_ieee_invalid_op 0
		.amdhsa_exception_fp_denorm_src 0
		.amdhsa_exception_fp_ieee_div_zero 0
		.amdhsa_exception_fp_ieee_overflow 0
		.amdhsa_exception_fp_ieee_underflow 0
		.amdhsa_exception_fp_ieee_inexact 0
		.amdhsa_exception_int_div_zero 0
	.end_amdhsa_kernel
	.section	.text._ZN2at6native12_GLOBAL__N_124fused_dropout_kernel_vecIddmLi1ELi8EbEEvNS_4cuda6detail10TensorInfoIKT_T1_EENS5_IS6_S8_EENS5_IT4_S8_EES8_T0_NS_15PhiloxCudaStateE,"axG",@progbits,_ZN2at6native12_GLOBAL__N_124fused_dropout_kernel_vecIddmLi1ELi8EbEEvNS_4cuda6detail10TensorInfoIKT_T1_EENS5_IS6_S8_EENS5_IT4_S8_EES8_T0_NS_15PhiloxCudaStateE,comdat
.Lfunc_end29:
	.size	_ZN2at6native12_GLOBAL__N_124fused_dropout_kernel_vecIddmLi1ELi8EbEEvNS_4cuda6detail10TensorInfoIKT_T1_EENS5_IS6_S8_EENS5_IT4_S8_EES8_T0_NS_15PhiloxCudaStateE, .Lfunc_end29-_ZN2at6native12_GLOBAL__N_124fused_dropout_kernel_vecIddmLi1ELi8EbEEvNS_4cuda6detail10TensorInfoIKT_T1_EENS5_IS6_S8_EENS5_IT4_S8_EES8_T0_NS_15PhiloxCudaStateE
                                        ; -- End function
	.section	.AMDGPU.csdata,"",@progbits
; Kernel info:
; codeLenInByte = 3232
; NumSgprs: 26
; NumVgprs: 69
; ScratchSize: 0
; MemoryBound: 0
; FloatMode: 240
; IeeeMode: 1
; LDSByteSize: 0 bytes/workgroup (compile time only)
; SGPRBlocks: 3
; VGPRBlocks: 8
; NumSGPRsForWavesPerEU: 26
; NumVGPRsForWavesPerEU: 69
; Occupancy: 16
; WaveLimiterHint : 1
; COMPUTE_PGM_RSRC2:SCRATCH_EN: 0
; COMPUTE_PGM_RSRC2:USER_SGPR: 15
; COMPUTE_PGM_RSRC2:TRAP_HANDLER: 0
; COMPUTE_PGM_RSRC2:TGID_X_EN: 1
; COMPUTE_PGM_RSRC2:TGID_Y_EN: 0
; COMPUTE_PGM_RSRC2:TGID_Z_EN: 0
; COMPUTE_PGM_RSRC2:TIDIG_COMP_CNT: 0
	.section	.text._ZN2at6native12_GLOBAL__N_124fused_dropout_kernel_vecIddmLi1ELi4EbEEvNS_4cuda6detail10TensorInfoIKT_T1_EENS5_IS6_S8_EENS5_IT4_S8_EES8_T0_NS_15PhiloxCudaStateE,"axG",@progbits,_ZN2at6native12_GLOBAL__N_124fused_dropout_kernel_vecIddmLi1ELi4EbEEvNS_4cuda6detail10TensorInfoIKT_T1_EENS5_IS6_S8_EENS5_IT4_S8_EES8_T0_NS_15PhiloxCudaStateE,comdat
	.globl	_ZN2at6native12_GLOBAL__N_124fused_dropout_kernel_vecIddmLi1ELi4EbEEvNS_4cuda6detail10TensorInfoIKT_T1_EENS5_IS6_S8_EENS5_IT4_S8_EES8_T0_NS_15PhiloxCudaStateE ; -- Begin function _ZN2at6native12_GLOBAL__N_124fused_dropout_kernel_vecIddmLi1ELi4EbEEvNS_4cuda6detail10TensorInfoIKT_T1_EENS5_IS6_S8_EENS5_IT4_S8_EES8_T0_NS_15PhiloxCudaStateE
	.p2align	8
	.type	_ZN2at6native12_GLOBAL__N_124fused_dropout_kernel_vecIddmLi1ELi4EbEEvNS_4cuda6detail10TensorInfoIKT_T1_EENS5_IS6_S8_EENS5_IT4_S8_EES8_T0_NS_15PhiloxCudaStateE,@function
_ZN2at6native12_GLOBAL__N_124fused_dropout_kernel_vecIddmLi1ELi4EbEEvNS_4cuda6detail10TensorInfoIKT_T1_EENS5_IS6_S8_EENS5_IT4_S8_EES8_T0_NS_15PhiloxCudaStateE: ; @_ZN2at6native12_GLOBAL__N_124fused_dropout_kernel_vecIddmLi1ELi4EbEEvNS_4cuda6detail10TensorInfoIKT_T1_EENS5_IS6_S8_EENS5_IT4_S8_EES8_T0_NS_15PhiloxCudaStateE
; %bb.0:
	s_clause 0x1
	s_load_b256 s[4:11], s[0:1], 0x4e0
	s_load_b32 s2, s[0:1], 0x508
	s_waitcnt lgkmcnt(0)
	v_dual_mov_b32 v1, s10 :: v_dual_mov_b32 v2, s11
	v_dual_mov_b32 v8, s8 :: v_dual_mov_b32 v9, s9
	s_bitcmp0_b32 s2, 0
	s_cbranch_scc1 .LBB30_2
; %bb.1:
	v_dual_mov_b32 v1, s10 :: v_dual_mov_b32 v2, s11
	v_dual_mov_b32 v3, s8 :: v_dual_mov_b32 v4, s9
	s_load_b64 s[2:3], s[0:1], 0x500
	flat_load_b64 v[1:2], v[1:2]
	flat_load_b64 v[8:9], v[3:4]
	s_waitcnt vmcnt(1) lgkmcnt(0)
	v_add_co_u32 v1, vcc_lo, v1, s2
	v_add_co_ci_u32_e32 v2, vcc_lo, s3, v2, vcc_lo
.LBB30_2:
	s_load_b32 s8, s[0:1], 0x51c
	s_add_u32 s2, s0, 0x510
	s_addc_u32 s3, s1, 0
	v_mov_b32_e32 v10, 0
	s_waitcnt lgkmcnt(0)
	s_and_b32 s14, s8, 0xffff
	s_mov_b32 s8, exec_lo
	v_mad_u64_u32 v[12:13], null, s15, s14, v[0:1]
	v_mov_b32_e32 v13, v10
	s_delay_alu instid0(VALU_DEP_1) | instskip(NEXT) | instid1(VALU_DEP_1)
	v_lshlrev_b64 v[14:15], 2, v[12:13]
	v_cmpx_gt_u64_e64 s[4:5], v[14:15]
	s_cbranch_execz .LBB30_15
; %bb.3:
	v_div_scale_f64 v[3:4], null, s[6:7], s[6:7], 1.0
	v_div_scale_f64 v[18:19], vcc_lo, 1.0, s[6:7], 1.0
	v_alignbit_b32 v22, v2, v1, 2
	v_mad_u64_u32 v[20:21], null, 0xcd9e8d57, v12, 0
	v_lshrrev_b32_e32 v23, 2, v2
	s_waitcnt vmcnt(0)
	v_dual_mov_b32 v11, v9 :: v_dual_add_nc_u32 v40, 0x8ff34781, v8
	v_mad_u64_u32 v[26:27], null, 0xd2511f53, v22, 0
	v_add_co_u32 v25, null, 0x9e3779b9, v8
	v_xor3_b32 v0, v8, v21, v23
	s_delay_alu instid0(VALU_DEP_4) | instskip(SKIP_2) | instid1(VALU_DEP_4)
	v_add_co_u32 v24, null, 0xbb67ae85, v11
	v_add_co_u32 v36, null, 0x1fd5c5a3, v11
	v_xor_b32_e32 v2, v27, v9
	v_mad_u64_u32 v[28:29], null, 0xd2511f53, v0, 0
	v_add_co_u32 v27, null, 0x76cf5d0a, v11
	s_delay_alu instid0(VALU_DEP_3) | instskip(SKIP_1) | instid1(VALU_DEP_4)
	v_mad_u64_u32 v[30:31], null, 0xcd9e8d57, v2, 0
	v_add_co_u32 v37, null, 0x5384540f, v8
	v_xor3_b32 v0, v24, v29, v26
	v_add_co_u32 v26, null, 0x3c6ef372, v8
	v_add_co_u32 v29, null, 0xdaa66d2b, v8
	v_xor3_b32 v2, v31, v25, v20
	s_delay_alu instid0(VALU_DEP_4) | instskip(SKIP_4) | instid1(VALU_DEP_3)
	v_mad_u64_u32 v[20:21], null, 0xcd9e8d57, v0, 0
	s_load_b32 s2, s[2:3], 0x0
	v_add_co_u32 v38, null, 0xdb3d7428, v11
	v_rcp_f64_e32 v[5:6], v[3:4]
	v_mad_u64_u32 v[31:32], null, 0xd2511f53, v2, 0
	v_xor3_b32 v0, v26, v21, v30
	v_add_co_u32 v30, null, 0x78dde6e4, v8
	v_add_co_u32 v39, null, 0xf1bbcdc8, v8
	s_clause 0x2
	s_load_b64 s[8:9], s[0:1], 0x0
	s_load_b64 s[10:11], s[0:1], 0x1a0
	;; [unrolled: 1-line block ×3, first 2 shown]
	v_add_nc_u32_e32 v41, 0x96a522ad, v9
	v_and_b32_e32 v42, 3, v1
	s_mov_b32 s15, 0
	s_waitcnt lgkmcnt(0)
	s_mul_i32 s2, s2, s14
	s_delay_alu instid0(SALU_CYCLE_1) | instskip(NEXT) | instid1(SALU_CYCLE_1)
	s_lshl_b32 s14, s2, 2
	s_lshl_b64 s[16:17], s[14:15], 3
	s_delay_alu instid0(TRANS32_DEP_1) | instskip(NEXT) | instid1(VALU_DEP_1)
	v_fma_f64 v[16:17], -v[3:4], v[5:6], 1.0
	v_fma_f64 v[5:6], v[5:6], v[16:17], v[5:6]
	s_delay_alu instid0(VALU_DEP_1) | instskip(NEXT) | instid1(VALU_DEP_1)
	v_fma_f64 v[16:17], -v[3:4], v[5:6], 1.0
	v_fma_f64 v[5:6], v[5:6], v[16:17], v[5:6]
	s_delay_alu instid0(VALU_DEP_1) | instskip(NEXT) | instid1(VALU_DEP_1)
	v_mul_f64 v[16:17], v[18:19], v[5:6]
	v_fma_f64 v[2:3], -v[3:4], v[16:17], v[18:19]
	v_xor3_b32 v4, v32, v27, v28
	v_mad_u64_u32 v[18:19], null, 0xd2511f53, v0, 0
	v_add_co_u32 v28, null, 0x32370b8f, v11
	s_delay_alu instid0(VALU_DEP_3) | instskip(NEXT) | instid1(VALU_DEP_2)
	v_mad_u64_u32 v[32:33], null, 0xcd9e8d57, v4, 0
	v_xor3_b32 v0, v28, v19, v31
	v_add_co_u32 v31, null, 0xed9eba14, v11
	s_delay_alu instid0(VALU_DEP_3) | instskip(NEXT) | instid1(VALU_DEP_3)
	v_xor3_b32 v4, v33, v29, v20
	v_mad_u64_u32 v[19:20], null, 0xcd9e8d57, v0, 0
	v_add_co_u32 v33, null, 0x1715609d, v8
	s_delay_alu instid0(VALU_DEP_3) | instskip(NEXT) | instid1(VALU_DEP_3)
	v_mad_u64_u32 v[34:35], null, 0xd2511f53, v4, 0
	v_xor3_b32 v0, v30, v20, v32
	v_add_co_u32 v32, null, 0xa9066899, v11
	s_delay_alu instid0(VALU_DEP_3) | instskip(SKIP_3) | instid1(VALU_DEP_4)
	v_xor3_b32 v18, v35, v31, v18
	v_add_co_u32 v35, null, 0x646e171e, v11
	v_div_fmas_f64 v[2:3], v[2:3], v[5:6], v[16:17]
	v_mad_u64_u32 v[4:5], null, 0xd2511f53, v0, 0
	v_mad_u64_u32 v[6:7], null, 0xcd9e8d57, v18, 0
	s_delay_alu instid0(VALU_DEP_2) | instskip(SKIP_1) | instid1(VALU_DEP_3)
	v_xor3_b32 v0, v32, v5, v34
	v_add_co_u32 v34, null, 0xb54cda56, v8
	v_xor3_b32 v5, v7, v33, v19
	s_delay_alu instid0(VALU_DEP_3) | instskip(NEXT) | instid1(VALU_DEP_2)
	v_mad_u64_u32 v[18:19], null, 0xcd9e8d57, v0, 0
	v_mad_u64_u32 v[16:17], null, 0xd2511f53, v5, 0
	s_delay_alu instid0(VALU_DEP_2) | instskip(NEXT) | instid1(VALU_DEP_2)
	v_xor3_b32 v0, v34, v19, v6
	v_xor3_b32 v17, v17, v35, v4
	s_delay_alu instid0(VALU_DEP_2) | instskip(NEXT) | instid1(VALU_DEP_2)
	v_mad_u64_u32 v[4:5], null, 0xd2511f53, v0, 0
	v_mad_u64_u32 v[6:7], null, 0xcd9e8d57, v17, 0
	s_delay_alu instid0(VALU_DEP_2) | instskip(NEXT) | instid1(VALU_DEP_2)
	v_xor3_b32 v0, v36, v5, v16
	v_xor3_b32 v5, v7, v37, v18
	v_div_fixup_f64 v[16:17], v[2:3], s[6:7], 1.0
	s_delay_alu instid0(VALU_DEP_3) | instskip(NEXT) | instid1(VALU_DEP_3)
	v_mad_u64_u32 v[2:3], null, 0xcd9e8d57, v0, 0
	v_mad_u64_u32 v[18:19], null, 0xd2511f53, v5, 0
	s_delay_alu instid0(VALU_DEP_2) | instskip(NEXT) | instid1(VALU_DEP_2)
	v_xor3_b32 v3, v39, v3, v6
	v_xor3_b32 v0, v19, v38, v4
	s_delay_alu instid0(VALU_DEP_2) | instskip(NEXT) | instid1(VALU_DEP_2)
	v_mad_u64_u32 v[6:7], null, 0xd2511f53, v3, 0
	v_mad_u64_u32 v[4:5], null, 0xcd9e8d57, v0, 0
	s_delay_alu instid0(VALU_DEP_1) | instskip(NEXT) | instid1(VALU_DEP_3)
	v_xor3_b32 v3, v2, v5, v40
	v_xor3_b32 v5, v7, v18, v41
	v_lshlrev_b64 v[18:19], 5, v[12:13]
	v_mov_b32_e32 v13, 0
	s_branch .LBB30_6
.LBB30_4:                               ;   in Loop: Header=BB30_6 Depth=1
	s_or_b32 exec_lo, exec_lo, s1
.LBB30_5:                               ;   in Loop: Header=BB30_6 Depth=1
	s_delay_alu instid0(SALU_CYCLE_1)
	s_or_b32 exec_lo, exec_lo, s0
	v_add_co_u32 v47, vcc_lo, s8, v18
	v_add_co_ci_u32_e32 v48, vcc_lo, s9, v19, vcc_lo
	v_cvt_f32_u32_e32 v3, v3
	v_cvt_f32_u32_e32 v7, v4
	;; [unrolled: 1-line block ×3, first 2 shown]
	s_clause 0x1
	global_load_b128 v[43:46], v[47:48], off
	global_load_b128 v[47:50], v[47:48], off offset:16
	v_fmaak_f32 v3, 0x2f800000, v3, 0x2f800000
	v_fmaak_f32 v5, 0x2f800000, v5, 0x2f800000
	s_delay_alu instid0(VALU_DEP_2) | instskip(NEXT) | instid1(VALU_DEP_1)
	v_cvt_f64_f32_e32 v[3:4], v3
	v_cmp_gt_f64_e32 vcc_lo, s[6:7], v[3:4]
	v_cndmask_b32_e64 v11, 0, 0x3ff00000, vcc_lo
	s_waitcnt vmcnt(1)
	s_delay_alu instid0(VALU_DEP_1) | instskip(NEXT) | instid1(VALU_DEP_1)
	v_mul_f64 v[3:4], v[43:44], v[10:11]
	v_mul_f64 v[43:44], v[16:17], v[3:4]
	v_mov_b32_e32 v3, v20
	v_fmaak_f32 v7, 0x2f800000, v7, 0x2f800000
	s_delay_alu instid0(VALU_DEP_1) | instskip(SKIP_2) | instid1(VALU_DEP_2)
	v_cvt_f64_f32_e32 v[51:52], v7
	v_cvt_f32_u32_e32 v7, v6
	v_cvt_f64_f32_e32 v[5:6], v5
	v_fmaak_f32 v7, 0x2f800000, v7, 0x2f800000
	s_delay_alu instid0(VALU_DEP_1) | instskip(SKIP_1) | instid1(VALU_DEP_4)
	v_cvt_f64_f32_e32 v[53:54], v7
	v_cmp_gt_f64_e64 s0, s[6:7], v[51:52]
	v_cmp_gt_f64_e64 s1, s[6:7], v[5:6]
	s_delay_alu instid0(VALU_DEP_3) | instskip(NEXT) | instid1(VALU_DEP_3)
	v_cmp_gt_f64_e64 s2, s[6:7], v[53:54]
	v_cndmask_b32_e64 v11, 0, 0x3ff00000, s0
	v_cndmask_b32_e64 v4, 0, 1, s0
	s_delay_alu instid0(VALU_DEP_4) | instskip(SKIP_1) | instid1(VALU_DEP_4)
	v_cndmask_b32_e64 v7, 0, 1, s1
	v_add_co_u32 v20, s0, s12, v14
	v_mul_f64 v[45:46], v[45:46], v[10:11]
	v_cndmask_b32_e64 v11, 0, 0x3ff00000, s1
	v_lshlrev_b16 v4, 8, v4
	v_add_co_ci_u32_e64 v21, s0, s13, v15, s0
	s_waitcnt vmcnt(0)
	s_delay_alu instid0(VALU_DEP_3) | instskip(SKIP_1) | instid1(VALU_DEP_1)
	v_mul_f64 v[5:6], v[47:48], v[10:11]
	v_cndmask_b32_e64 v11, 0, 0x3ff00000, s2
	v_mul_f64 v[49:50], v[49:50], v[10:11]
	v_mul_f64 v[45:46], v[16:17], v[45:46]
	s_delay_alu instid0(VALU_DEP_4)
	v_mul_f64 v[47:48], v[16:17], v[5:6]
	v_cndmask_b32_e64 v5, 0, 1, s2
	v_cndmask_b32_e64 v6, 0, 1, vcc_lo
	v_add_co_u32 v14, vcc_lo, v14, s14
	v_add_co_ci_u32_e32 v15, vcc_lo, 0, v15, vcc_lo
	v_mul_f64 v[49:50], v[16:17], v[49:50]
	v_lshlrev_b16 v5, 8, v5
	v_or_b32_e32 v4, v6, v4
	v_add_co_u32 v51, vcc_lo, s10, v18
	v_add_co_ci_u32_e32 v52, vcc_lo, s11, v19, vcc_lo
	s_delay_alu instid0(VALU_DEP_4) | instskip(NEXT) | instid1(VALU_DEP_4)
	v_or_b32_e32 v5, v7, v5
	v_and_b32_e32 v4, 0xffff, v4
	v_cmp_le_u64_e32 vcc_lo, s[4:5], v[14:15]
	s_add_u32 s10, s10, s16
	s_addc_u32 s11, s11, s17
	v_lshlrev_b32_e32 v5, 16, v5
	s_add_u32 s8, s8, s16
	s_addc_u32 s9, s9, s17
	s_or_b32 s15, vcc_lo, s15
	s_delay_alu instid0(VALU_DEP_1)
	v_or_b32_e32 v7, v4, v5
	v_mov_b32_e32 v6, v3
	v_dual_mov_b32 v5, v2 :: v_dual_mov_b32 v4, v1
	v_mov_b32_e32 v3, v0
	s_clause 0x1
	global_store_b128 v[51:52], v[43:46], off
	global_store_b128 v[51:52], v[47:50], off offset:16
	global_store_b32 v[20:21], v7, off
	s_waitcnt_vscnt null, 0x0
	s_barrier
	buffer_gl0_inv
	s_and_not1_b32 exec_lo, exec_lo, s15
	s_cbranch_execz .LBB30_15
.LBB30_6:                               ; =>This Inner Loop Header: Depth=1
	v_add_co_u32 v22, vcc_lo, v22, 1
	s_delay_alu instid0(VALU_DEP_1) | instskip(SKIP_2) | instid1(VALU_DEP_1)
	v_cndmask_b32_e64 v0, 0, 1, vcc_lo
	v_add_co_ci_u32_e32 v23, vcc_lo, 0, v23, vcc_lo
	s_mov_b32 s0, exec_lo
	v_cmp_eq_u32_e32 vcc_lo, 0, v23
	s_delay_alu instid0(VALU_DEP_3) | instskip(NEXT) | instid1(VALU_DEP_1)
	v_cndmask_b32_e32 v0, 0, v0, vcc_lo
	v_add_nc_u32_e32 v12, v0, v12
	s_delay_alu instid0(VALU_DEP_1) | instskip(SKIP_2) | instid1(VALU_DEP_2)
	v_cmp_eq_u32_e32 vcc_lo, 0, v12
	v_mad_u64_u32 v[20:21], null, 0xcd9e8d57, v12, 0
	v_cndmask_b32_e32 v0, 0, v0, vcc_lo
	v_xor3_b32 v7, v21, v8, v23
	s_delay_alu instid0(VALU_DEP_2) | instskip(SKIP_1) | instid1(VALU_DEP_1)
	v_add_nc_u32_e32 v13, v0, v13
	v_mad_u64_u32 v[0:1], null, 0xd2511f53, v22, 0
	v_xor_b32_e32 v1, v1, v9
	s_delay_alu instid0(VALU_DEP_1) | instskip(SKIP_1) | instid1(VALU_DEP_2)
	v_xor_b32_e32 v11, v13, v1
	v_mad_u64_u32 v[1:2], null, 0xd2511f53, v7, 0
	v_mad_u64_u32 v[43:44], null, 0xcd9e8d57, v11, 0
	s_delay_alu instid0(VALU_DEP_2) | instskip(NEXT) | instid1(VALU_DEP_2)
	v_xor3_b32 v0, v24, v2, v0
	v_xor3_b32 v2, v25, v44, v20
	s_delay_alu instid0(VALU_DEP_2) | instskip(NEXT) | instid1(VALU_DEP_2)
	v_mad_u64_u32 v[20:21], null, 0xcd9e8d57, v0, 0
	v_mad_u64_u32 v[44:45], null, 0xd2511f53, v2, 0
	s_delay_alu instid0(VALU_DEP_2) | instskip(NEXT) | instid1(VALU_DEP_2)
	v_xor3_b32 v2, v26, v21, v43
	v_xor3_b32 v7, v27, v45, v1
	s_delay_alu instid0(VALU_DEP_2) | instskip(NEXT) | instid1(VALU_DEP_2)
	;; [unrolled: 6-line block ×8, first 2 shown]
	v_mad_u64_u32 v[20:21], null, 0xd2511f53, v0, 0
	v_mad_u64_u32 v[1:2], null, 0xcd9e8d57, v7, 0
	s_delay_alu instid0(VALU_DEP_2) | instskip(NEXT) | instid1(VALU_DEP_2)
	v_xor3_b32 v7, v21, v46, v41
	v_xor3_b32 v0, v2, v44, v40
	s_delay_alu instid0(VALU_DEP_2)
	v_mov_b32_e32 v2, v7
	v_cmpx_lt_i32_e32 1, v42
	s_xor_b32 s0, exec_lo, s0
	s_cbranch_execz .LBB30_12
; %bb.7:                                ;   in Loop: Header=BB30_6 Depth=1
	s_mov_b32 s1, exec_lo
	v_cmpx_lt_i32_e32 2, v42
	s_xor_b32 s1, exec_lo, s1
; %bb.8:                                ;   in Loop: Header=BB30_6 Depth=1
	v_dual_mov_b32 v4, v6 :: v_dual_mov_b32 v5, v0
	v_mov_b32_e32 v6, v1
	s_delay_alu instid0(VALU_DEP_2) | instskip(NEXT) | instid1(VALU_DEP_3)
	v_mov_b32_e32 v3, v4
	v_mov_b32_e32 v4, v5
	s_delay_alu instid0(VALU_DEP_3)
	v_mov_b32_e32 v5, v6
	v_mov_b32_e32 v6, v7
; %bb.9:                                ;   in Loop: Header=BB30_6 Depth=1
	s_and_not1_saveexec_b32 s1, s1
; %bb.10:                               ;   in Loop: Header=BB30_6 Depth=1
	s_delay_alu instid0(VALU_DEP_1)
	v_dual_mov_b32 v3, v5 :: v_dual_mov_b32 v4, v6
	v_dual_mov_b32 v5, v0 :: v_dual_mov_b32 v6, v1
; %bb.11:                               ;   in Loop: Header=BB30_6 Depth=1
	s_or_b32 exec_lo, exec_lo, s1
.LBB30_12:                              ;   in Loop: Header=BB30_6 Depth=1
	s_and_not1_saveexec_b32 s0, s0
	s_cbranch_execz .LBB30_5
; %bb.13:                               ;   in Loop: Header=BB30_6 Depth=1
	s_mov_b32 s1, exec_lo
	v_cmpx_eq_u32_e32 1, v42
	s_cbranch_execz .LBB30_4
; %bb.14:                               ;   in Loop: Header=BB30_6 Depth=1
	v_dual_mov_b32 v3, v4 :: v_dual_mov_b32 v4, v5
	v_dual_mov_b32 v5, v6 :: v_dual_mov_b32 v6, v0
	s_branch .LBB30_4
.LBB30_15:
	s_endpgm
	.section	.rodata,"a",@progbits
	.p2align	6, 0x0
	.amdhsa_kernel _ZN2at6native12_GLOBAL__N_124fused_dropout_kernel_vecIddmLi1ELi4EbEEvNS_4cuda6detail10TensorInfoIKT_T1_EENS5_IS6_S8_EENS5_IT4_S8_EES8_T0_NS_15PhiloxCudaStateE
		.amdhsa_group_segment_fixed_size 0
		.amdhsa_private_segment_fixed_size 0
		.amdhsa_kernarg_size 1552
		.amdhsa_user_sgpr_count 15
		.amdhsa_user_sgpr_dispatch_ptr 0
		.amdhsa_user_sgpr_queue_ptr 0
		.amdhsa_user_sgpr_kernarg_segment_ptr 1
		.amdhsa_user_sgpr_dispatch_id 0
		.amdhsa_user_sgpr_private_segment_size 0
		.amdhsa_wavefront_size32 1
		.amdhsa_uses_dynamic_stack 0
		.amdhsa_enable_private_segment 0
		.amdhsa_system_sgpr_workgroup_id_x 1
		.amdhsa_system_sgpr_workgroup_id_y 0
		.amdhsa_system_sgpr_workgroup_id_z 0
		.amdhsa_system_sgpr_workgroup_info 0
		.amdhsa_system_vgpr_workitem_id 0
		.amdhsa_next_free_vgpr 55
		.amdhsa_next_free_sgpr 18
		.amdhsa_reserve_vcc 1
		.amdhsa_float_round_mode_32 0
		.amdhsa_float_round_mode_16_64 0
		.amdhsa_float_denorm_mode_32 3
		.amdhsa_float_denorm_mode_16_64 3
		.amdhsa_dx10_clamp 1
		.amdhsa_ieee_mode 1
		.amdhsa_fp16_overflow 0
		.amdhsa_workgroup_processor_mode 1
		.amdhsa_memory_ordered 1
		.amdhsa_forward_progress 0
		.amdhsa_shared_vgpr_count 0
		.amdhsa_exception_fp_ieee_invalid_op 0
		.amdhsa_exception_fp_denorm_src 0
		.amdhsa_exception_fp_ieee_div_zero 0
		.amdhsa_exception_fp_ieee_overflow 0
		.amdhsa_exception_fp_ieee_underflow 0
		.amdhsa_exception_fp_ieee_inexact 0
		.amdhsa_exception_int_div_zero 0
	.end_amdhsa_kernel
	.section	.text._ZN2at6native12_GLOBAL__N_124fused_dropout_kernel_vecIddmLi1ELi4EbEEvNS_4cuda6detail10TensorInfoIKT_T1_EENS5_IS6_S8_EENS5_IT4_S8_EES8_T0_NS_15PhiloxCudaStateE,"axG",@progbits,_ZN2at6native12_GLOBAL__N_124fused_dropout_kernel_vecIddmLi1ELi4EbEEvNS_4cuda6detail10TensorInfoIKT_T1_EENS5_IS6_S8_EENS5_IT4_S8_EES8_T0_NS_15PhiloxCudaStateE,comdat
.Lfunc_end30:
	.size	_ZN2at6native12_GLOBAL__N_124fused_dropout_kernel_vecIddmLi1ELi4EbEEvNS_4cuda6detail10TensorInfoIKT_T1_EENS5_IS6_S8_EENS5_IT4_S8_EES8_T0_NS_15PhiloxCudaStateE, .Lfunc_end30-_ZN2at6native12_GLOBAL__N_124fused_dropout_kernel_vecIddmLi1ELi4EbEEvNS_4cuda6detail10TensorInfoIKT_T1_EENS5_IS6_S8_EENS5_IT4_S8_EES8_T0_NS_15PhiloxCudaStateE
                                        ; -- End function
	.section	.AMDGPU.csdata,"",@progbits
; Kernel info:
; codeLenInByte = 2224
; NumSgprs: 20
; NumVgprs: 55
; ScratchSize: 0
; MemoryBound: 0
; FloatMode: 240
; IeeeMode: 1
; LDSByteSize: 0 bytes/workgroup (compile time only)
; SGPRBlocks: 2
; VGPRBlocks: 6
; NumSGPRsForWavesPerEU: 20
; NumVGPRsForWavesPerEU: 55
; Occupancy: 16
; WaveLimiterHint : 1
; COMPUTE_PGM_RSRC2:SCRATCH_EN: 0
; COMPUTE_PGM_RSRC2:USER_SGPR: 15
; COMPUTE_PGM_RSRC2:TRAP_HANDLER: 0
; COMPUTE_PGM_RSRC2:TGID_X_EN: 1
; COMPUTE_PGM_RSRC2:TGID_Y_EN: 0
; COMPUTE_PGM_RSRC2:TGID_Z_EN: 0
; COMPUTE_PGM_RSRC2:TIDIG_COMP_CNT: 0
	.section	.text._ZN2at6native12_GLOBAL__N_124fused_dropout_kernel_vecIddmLi1ELi2EbEEvNS_4cuda6detail10TensorInfoIKT_T1_EENS5_IS6_S8_EENS5_IT4_S8_EES8_T0_NS_15PhiloxCudaStateE,"axG",@progbits,_ZN2at6native12_GLOBAL__N_124fused_dropout_kernel_vecIddmLi1ELi2EbEEvNS_4cuda6detail10TensorInfoIKT_T1_EENS5_IS6_S8_EENS5_IT4_S8_EES8_T0_NS_15PhiloxCudaStateE,comdat
	.globl	_ZN2at6native12_GLOBAL__N_124fused_dropout_kernel_vecIddmLi1ELi2EbEEvNS_4cuda6detail10TensorInfoIKT_T1_EENS5_IS6_S8_EENS5_IT4_S8_EES8_T0_NS_15PhiloxCudaStateE ; -- Begin function _ZN2at6native12_GLOBAL__N_124fused_dropout_kernel_vecIddmLi1ELi2EbEEvNS_4cuda6detail10TensorInfoIKT_T1_EENS5_IS6_S8_EENS5_IT4_S8_EES8_T0_NS_15PhiloxCudaStateE
	.p2align	8
	.type	_ZN2at6native12_GLOBAL__N_124fused_dropout_kernel_vecIddmLi1ELi2EbEEvNS_4cuda6detail10TensorInfoIKT_T1_EENS5_IS6_S8_EENS5_IT4_S8_EES8_T0_NS_15PhiloxCudaStateE,@function
_ZN2at6native12_GLOBAL__N_124fused_dropout_kernel_vecIddmLi1ELi2EbEEvNS_4cuda6detail10TensorInfoIKT_T1_EENS5_IS6_S8_EENS5_IT4_S8_EES8_T0_NS_15PhiloxCudaStateE: ; @_ZN2at6native12_GLOBAL__N_124fused_dropout_kernel_vecIddmLi1ELi2EbEEvNS_4cuda6detail10TensorInfoIKT_T1_EENS5_IS6_S8_EENS5_IT4_S8_EES8_T0_NS_15PhiloxCudaStateE
; %bb.0:
	s_clause 0x1
	s_load_b256 s[4:11], s[0:1], 0x4e0
	s_load_b32 s2, s[0:1], 0x508
	s_waitcnt lgkmcnt(0)
	v_dual_mov_b32 v3, s10 :: v_dual_mov_b32 v4, s11
	v_dual_mov_b32 v8, s8 :: v_dual_mov_b32 v9, s9
	s_bitcmp0_b32 s2, 0
	s_cbranch_scc1 .LBB31_2
; %bb.1:
	v_dual_mov_b32 v1, s10 :: v_dual_mov_b32 v2, s11
	v_dual_mov_b32 v3, s8 :: v_dual_mov_b32 v4, s9
	s_load_b64 s[2:3], s[0:1], 0x500
	flat_load_b64 v[1:2], v[1:2]
	flat_load_b64 v[8:9], v[3:4]
	s_waitcnt vmcnt(1) lgkmcnt(0)
	v_add_co_u32 v3, vcc_lo, v1, s2
	v_add_co_ci_u32_e32 v4, vcc_lo, s3, v2, vcc_lo
.LBB31_2:
	s_load_b32 s8, s[0:1], 0x51c
	s_add_u32 s2, s0, 0x510
	s_addc_u32 s3, s1, 0
	v_mov_b32_e32 v10, 0
	s_waitcnt lgkmcnt(0)
	s_and_b32 s12, s8, 0xffff
	s_mov_b32 s8, exec_lo
	v_mad_u64_u32 v[12:13], null, s15, s12, v[0:1]
	v_mov_b32_e32 v13, v10
	s_delay_alu instid0(VALU_DEP_1) | instskip(NEXT) | instid1(VALU_DEP_1)
	v_lshlrev_b64 v[14:15], 1, v[12:13]
	v_cmpx_gt_u64_e64 s[4:5], v[14:15]
	s_cbranch_execz .LBB31_15
; %bb.3:
	v_div_scale_f64 v[0:1], null, s[6:7], s[6:7], 1.0
	v_div_scale_f64 v[18:19], vcc_lo, 1.0, s[6:7], 1.0
	v_alignbit_b32 v22, v4, v3, 2
	v_mad_u64_u32 v[20:21], null, 0xcd9e8d57, v12, 0
	v_lshrrev_b32_e32 v23, 2, v4
	s_waitcnt vmcnt(0)
	v_dual_mov_b32 v11, v9 :: v_dual_add_nc_u32 v40, 0x8ff34781, v8
	v_mad_u64_u32 v[26:27], null, 0xd2511f53, v22, 0
	v_add_co_u32 v25, null, 0x9e3779b9, v8
	v_xor3_b32 v2, v8, v21, v23
	s_delay_alu instid0(VALU_DEP_4) | instskip(SKIP_2) | instid1(VALU_DEP_4)
	v_add_co_u32 v24, null, 0xbb67ae85, v11
	v_add_co_u32 v36, null, 0x1fd5c5a3, v11
	v_xor_b32_e32 v4, v27, v9
	v_mad_u64_u32 v[28:29], null, 0xd2511f53, v2, 0
	v_add_co_u32 v27, null, 0x76cf5d0a, v11
	s_delay_alu instid0(VALU_DEP_3) | instskip(SKIP_1) | instid1(VALU_DEP_4)
	v_mad_u64_u32 v[30:31], null, 0xcd9e8d57, v4, 0
	v_add_co_u32 v37, null, 0x5384540f, v8
	v_xor3_b32 v2, v24, v29, v26
	v_add_co_u32 v26, null, 0x3c6ef372, v8
	v_add_co_u32 v29, null, 0xdaa66d2b, v8
	v_xor3_b32 v4, v31, v25, v20
	s_delay_alu instid0(VALU_DEP_4) | instskip(SKIP_4) | instid1(VALU_DEP_3)
	v_mad_u64_u32 v[20:21], null, 0xcd9e8d57, v2, 0
	s_load_b32 s14, s[2:3], 0x0
	v_add_co_u32 v38, null, 0xdb3d7428, v11
	v_rcp_f64_e32 v[5:6], v[0:1]
	v_mad_u64_u32 v[31:32], null, 0xd2511f53, v4, 0
	v_xor3_b32 v2, v26, v21, v30
	v_add_co_u32 v30, null, 0x78dde6e4, v8
	v_add_co_u32 v39, null, 0xf1bbcdc8, v8
	s_clause 0x2
	s_load_b64 s[2:3], s[0:1], 0x0
	s_load_b64 s[8:9], s[0:1], 0x1a0
	;; [unrolled: 1-line block ×3, first 2 shown]
	v_xor3_b32 v4, v32, v27, v28
	v_add_co_u32 v28, null, 0x32370b8f, v11
	v_dual_mov_b32 v42, 0 :: v_dual_add_nc_u32 v41, 0x96a522ad, v9
	s_delay_alu instid0(VALU_DEP_3) | instskip(SKIP_3) | instid1(SALU_CYCLE_1)
	v_mad_u64_u32 v[32:33], null, 0xcd9e8d57, v4, 0
	s_mov_b32 s13, 0
	s_waitcnt lgkmcnt(0)
	s_mul_i32 s14, s14, s12
	s_lshl_b32 s12, s14, 1
	s_delay_alu instid0(SALU_CYCLE_1) | instskip(NEXT) | instid1(VALU_DEP_1)
	s_lshl_b64 s[14:15], s[12:13], 3
	v_xor3_b32 v4, v33, v29, v20
	v_add_co_u32 v33, null, 0x1715609d, v8
	s_delay_alu instid0(VALU_DEP_2) | instskip(NEXT) | instid1(TRANS32_DEP_1)
	v_mad_u64_u32 v[34:35], null, 0xd2511f53, v4, 0
	v_fma_f64 v[16:17], -v[0:1], v[5:6], 1.0
	s_delay_alu instid0(VALU_DEP_1) | instskip(NEXT) | instid1(VALU_DEP_1)
	v_fma_f64 v[5:6], v[5:6], v[16:17], v[5:6]
	v_fma_f64 v[16:17], -v[0:1], v[5:6], 1.0
	s_delay_alu instid0(VALU_DEP_1) | instskip(NEXT) | instid1(VALU_DEP_1)
	v_fma_f64 v[5:6], v[5:6], v[16:17], v[5:6]
	v_mul_f64 v[16:17], v[18:19], v[5:6]
	s_delay_alu instid0(VALU_DEP_1) | instskip(SKIP_1) | instid1(VALU_DEP_1)
	v_fma_f64 v[0:1], -v[0:1], v[16:17], v[18:19]
	v_mad_u64_u32 v[18:19], null, 0xd2511f53, v2, 0
	v_xor3_b32 v2, v28, v19, v31
	v_add_co_u32 v31, null, 0xed9eba14, v11
	s_delay_alu instid0(VALU_DEP_2) | instskip(NEXT) | instid1(VALU_DEP_2)
	v_mad_u64_u32 v[19:20], null, 0xcd9e8d57, v2, 0
	v_xor3_b32 v18, v35, v31, v18
	v_add_co_u32 v35, null, 0x646e171e, v11
	s_delay_alu instid0(VALU_DEP_3) | instskip(SKIP_2) | instid1(VALU_DEP_3)
	v_xor3_b32 v2, v30, v20, v32
	v_add_co_u32 v32, null, 0xa9066899, v11
	v_div_fmas_f64 v[0:1], v[0:1], v[5:6], v[16:17]
	v_mad_u64_u32 v[4:5], null, 0xd2511f53, v2, 0
	v_mad_u64_u32 v[6:7], null, 0xcd9e8d57, v18, 0
	s_delay_alu instid0(VALU_DEP_2) | instskip(SKIP_1) | instid1(VALU_DEP_3)
	v_xor3_b32 v2, v32, v5, v34
	v_add_co_u32 v34, null, 0xb54cda56, v8
	v_xor3_b32 v5, v7, v33, v19
	s_delay_alu instid0(VALU_DEP_3) | instskip(NEXT) | instid1(VALU_DEP_2)
	v_mad_u64_u32 v[18:19], null, 0xcd9e8d57, v2, 0
	v_mad_u64_u32 v[16:17], null, 0xd2511f53, v5, 0
	s_delay_alu instid0(VALU_DEP_2) | instskip(NEXT) | instid1(VALU_DEP_2)
	v_xor3_b32 v2, v34, v19, v6
	v_xor3_b32 v17, v17, v35, v4
	s_delay_alu instid0(VALU_DEP_2) | instskip(NEXT) | instid1(VALU_DEP_2)
	v_mad_u64_u32 v[4:5], null, 0xd2511f53, v2, 0
	v_mad_u64_u32 v[6:7], null, 0xcd9e8d57, v17, 0
	s_delay_alu instid0(VALU_DEP_2) | instskip(NEXT) | instid1(VALU_DEP_2)
	v_xor3_b32 v2, v36, v5, v16
	v_xor3_b32 v5, v7, v37, v18
	v_div_fixup_f64 v[16:17], v[0:1], s[6:7], 1.0
	s_delay_alu instid0(VALU_DEP_3) | instskip(SKIP_1) | instid1(VALU_DEP_4)
	v_mad_u64_u32 v[0:1], null, 0xcd9e8d57, v2, 0
	v_lshlrev_b64 v[18:19], 4, v[12:13]
	v_mad_u64_u32 v[20:21], null, 0xd2511f53, v5, 0
	v_and_b32_e32 v13, 3, v3
	s_delay_alu instid0(VALU_DEP_4) | instskip(NEXT) | instid1(VALU_DEP_4)
	v_xor3_b32 v6, v39, v1, v6
	v_or_b32_e32 v18, 8, v18
	s_delay_alu instid0(VALU_DEP_4) | instskip(NEXT) | instid1(VALU_DEP_1)
	v_xor3_b32 v4, v21, v38, v4
	v_mad_u64_u32 v[1:2], null, 0xcd9e8d57, v4, 0
	s_delay_alu instid0(VALU_DEP_4) | instskip(NEXT) | instid1(VALU_DEP_2)
	v_mad_u64_u32 v[4:5], null, 0xd2511f53, v6, 0
	v_xor3_b32 v0, v0, v2, v40
	s_delay_alu instid0(VALU_DEP_2) | instskip(NEXT) | instid1(VALU_DEP_3)
	v_xor3_b32 v2, v5, v20, v41
	v_mov_b32_e32 v3, v4
	s_branch .LBB31_6
.LBB31_4:                               ;   in Loop: Header=BB31_6 Depth=1
	s_or_b32 exec_lo, exec_lo, s1
.LBB31_5:                               ;   in Loop: Header=BB31_6 Depth=1
	s_delay_alu instid0(SALU_CYCLE_1)
	s_or_b32 exec_lo, exec_lo, s0
	v_add_co_u32 v2, vcc_lo, s2, v18
	v_add_co_ci_u32_e32 v3, vcc_lo, s3, v19, vcc_lo
	v_cvt_f32_u32_e32 v0, v0
	v_mov_b32_e32 v7, v20
	v_add_co_u32 v20, s1, s10, v14
	global_load_b128 v[43:46], v[2:3], off offset:-8
	v_fmaak_f32 v0, 0x2f800000, v0, 0x2f800000
	v_cvt_f32_u32_e32 v2, v1
	v_add_co_ci_u32_e64 v21, s1, s11, v15, s1
	s_delay_alu instid0(VALU_DEP_3) | instskip(NEXT) | instid1(VALU_DEP_3)
	v_cvt_f64_f32_e32 v[0:1], v0
	v_fmaak_f32 v2, 0x2f800000, v2, 0x2f800000
	s_delay_alu instid0(VALU_DEP_1) | instskip(NEXT) | instid1(VALU_DEP_3)
	v_cvt_f64_f32_e32 v[2:3], v2
	v_cmp_gt_f64_e32 vcc_lo, s[6:7], v[0:1]
	s_delay_alu instid0(VALU_DEP_2) | instskip(SKIP_2) | instid1(VALU_DEP_1)
	v_cmp_gt_f64_e64 s0, s[6:7], v[2:3]
	v_cndmask_b32_e64 v11, 0, 0x3ff00000, vcc_lo
	s_waitcnt vmcnt(0)
	v_mul_f64 v[0:1], v[43:44], v[10:11]
	s_delay_alu instid0(VALU_DEP_3) | instskip(NEXT) | instid1(VALU_DEP_1)
	v_cndmask_b32_e64 v11, 0, 0x3ff00000, s0
	v_mul_f64 v[2:3], v[45:46], v[10:11]
	s_delay_alu instid0(VALU_DEP_3) | instskip(SKIP_2) | instid1(VALU_DEP_1)
	v_mul_f64 v[43:44], v[16:17], v[0:1]
	v_cndmask_b32_e64 v0, 0, 1, s0
	v_add_co_u32 v14, s0, v14, s12
	v_add_co_ci_u32_e64 v15, s0, 0, v15, s0
	v_mul_f64 v[45:46], v[16:17], v[2:3]
	v_cndmask_b32_e64 v1, 0, 1, vcc_lo
	v_lshlrev_b16 v0, 8, v0
	v_add_co_u32 v47, vcc_lo, s8, v18
	v_add_co_ci_u32_e32 v48, vcc_lo, s9, v19, vcc_lo
	v_cmp_le_u64_e32 vcc_lo, s[4:5], v[14:15]
	v_add_co_u32 v18, s0, v18, s14
	v_or_b32_e32 v11, v1, v0
	v_dual_mov_b32 v0, v4 :: v_dual_mov_b32 v3, v7
	v_add_co_ci_u32_e64 v19, s0, s15, v19, s0
	v_dual_mov_b32 v1, v5 :: v_dual_mov_b32 v2, v6
	s_or_b32 s13, vcc_lo, s13
	global_store_b128 v[47:48], v[43:46], off offset:-8
	global_store_b16 v[20:21], v11, off
	s_waitcnt_vscnt null, 0x0
	s_barrier
	buffer_gl0_inv
	s_and_not1_b32 exec_lo, exec_lo, s13
	s_cbranch_execz .LBB31_15
.LBB31_6:                               ; =>This Inner Loop Header: Depth=1
	v_add_co_u32 v22, vcc_lo, v22, 1
	s_delay_alu instid0(VALU_DEP_1) | instskip(SKIP_2) | instid1(VALU_DEP_1)
	v_cndmask_b32_e64 v4, 0, 1, vcc_lo
	v_add_co_ci_u32_e32 v23, vcc_lo, 0, v23, vcc_lo
	s_mov_b32 s0, exec_lo
	v_cmp_eq_u32_e32 vcc_lo, 0, v23
	s_delay_alu instid0(VALU_DEP_3) | instskip(NEXT) | instid1(VALU_DEP_1)
	v_cndmask_b32_e32 v4, 0, v4, vcc_lo
	v_add_nc_u32_e32 v12, v4, v12
	s_delay_alu instid0(VALU_DEP_1) | instskip(SKIP_2) | instid1(VALU_DEP_2)
	v_cmp_eq_u32_e32 vcc_lo, 0, v12
	v_mad_u64_u32 v[6:7], null, 0xcd9e8d57, v12, 0
	v_cndmask_b32_e32 v4, 0, v4, vcc_lo
	v_xor3_b32 v7, v7, v8, v23
	s_delay_alu instid0(VALU_DEP_2) | instskip(SKIP_1) | instid1(VALU_DEP_3)
	v_add_nc_u32_e32 v42, v4, v42
	v_mad_u64_u32 v[4:5], null, 0xd2511f53, v22, 0
	v_mad_u64_u32 v[43:44], null, 0xd2511f53, v7, 0
	s_delay_alu instid0(VALU_DEP_2) | instskip(NEXT) | instid1(VALU_DEP_2)
	v_xor_b32_e32 v5, v5, v9
	v_xor3_b32 v11, v24, v44, v4
	s_delay_alu instid0(VALU_DEP_2) | instskip(NEXT) | instid1(VALU_DEP_1)
	v_xor_b32_e32 v5, v42, v5
	v_mad_u64_u32 v[20:21], null, 0xcd9e8d57, v5, 0
	s_delay_alu instid0(VALU_DEP_1) | instskip(NEXT) | instid1(VALU_DEP_1)
	v_xor3_b32 v6, v25, v21, v6
	v_mad_u64_u32 v[4:5], null, 0xd2511f53, v6, 0
	v_mad_u64_u32 v[6:7], null, 0xcd9e8d57, v11, 0
	s_delay_alu instid0(VALU_DEP_2) | instskip(NEXT) | instid1(VALU_DEP_2)
	v_xor3_b32 v5, v27, v5, v43
	v_xor3_b32 v7, v26, v7, v20
	s_delay_alu instid0(VALU_DEP_2) | instskip(NEXT) | instid1(VALU_DEP_2)
	v_mad_u64_u32 v[20:21], null, 0xcd9e8d57, v5, 0
	v_mad_u64_u32 v[43:44], null, 0xd2511f53, v7, 0
	s_delay_alu instid0(VALU_DEP_2) | instskip(NEXT) | instid1(VALU_DEP_2)
	v_xor3_b32 v6, v29, v21, v6
	v_xor3_b32 v11, v28, v44, v4
	s_delay_alu instid0(VALU_DEP_2) | instskip(NEXT) | instid1(VALU_DEP_2)
	v_mad_u64_u32 v[4:5], null, 0xd2511f53, v6, 0
	v_mad_u64_u32 v[6:7], null, 0xcd9e8d57, v11, 0
	s_delay_alu instid0(VALU_DEP_2) | instskip(NEXT) | instid1(VALU_DEP_2)
	v_xor3_b32 v5, v31, v5, v43
	v_xor3_b32 v7, v30, v7, v20
	s_delay_alu instid0(VALU_DEP_2) | instskip(NEXT) | instid1(VALU_DEP_2)
	v_mad_u64_u32 v[20:21], null, 0xcd9e8d57, v5, 0
	v_mad_u64_u32 v[43:44], null, 0xd2511f53, v7, 0
	s_delay_alu instid0(VALU_DEP_2) | instskip(NEXT) | instid1(VALU_DEP_2)
	v_xor3_b32 v6, v33, v21, v6
	v_xor3_b32 v11, v32, v44, v4
	s_delay_alu instid0(VALU_DEP_2) | instskip(NEXT) | instid1(VALU_DEP_2)
	v_mad_u64_u32 v[4:5], null, 0xd2511f53, v6, 0
	v_mad_u64_u32 v[6:7], null, 0xcd9e8d57, v11, 0
	s_delay_alu instid0(VALU_DEP_2) | instskip(NEXT) | instid1(VALU_DEP_2)
	v_xor3_b32 v5, v35, v5, v43
	v_xor3_b32 v7, v34, v7, v20
	s_delay_alu instid0(VALU_DEP_2) | instskip(NEXT) | instid1(VALU_DEP_2)
	v_mad_u64_u32 v[20:21], null, 0xcd9e8d57, v5, 0
	v_mad_u64_u32 v[43:44], null, 0xd2511f53, v7, 0
	s_delay_alu instid0(VALU_DEP_2) | instskip(NEXT) | instid1(VALU_DEP_2)
	v_xor3_b32 v5, v37, v21, v6
	v_xor3_b32 v6, v36, v44, v4
	s_delay_alu instid0(VALU_DEP_2) | instskip(NEXT) | instid1(VALU_DEP_2)
	v_mad_u64_u32 v[44:45], null, 0xd2511f53, v5, 0
	v_mad_u64_u32 v[4:5], null, 0xcd9e8d57, v6, 0
	s_delay_alu instid0(VALU_DEP_2) | instskip(NEXT) | instid1(VALU_DEP_2)
	v_xor3_b32 v7, v38, v45, v43
	v_xor3_b32 v11, v39, v5, v20
	s_delay_alu instid0(VALU_DEP_2) | instskip(NEXT) | instid1(VALU_DEP_2)
	v_mad_u64_u32 v[5:6], null, 0xcd9e8d57, v7, 0
	v_mad_u64_u32 v[20:21], null, 0xd2511f53, v11, 0
	s_delay_alu instid0(VALU_DEP_2) | instskip(NEXT) | instid1(VALU_DEP_2)
	v_xor3_b32 v4, v6, v4, v40
	v_xor3_b32 v6, v21, v44, v41
	v_cmpx_lt_i32_e32 1, v13
	s_xor_b32 s0, exec_lo, s0
	s_cbranch_execz .LBB31_12
; %bb.7:                                ;   in Loop: Header=BB31_6 Depth=1
	s_mov_b32 s1, exec_lo
	v_cmpx_lt_i32_e32 2, v13
	s_xor_b32 s1, exec_lo, s1
; %bb.8:                                ;   in Loop: Header=BB31_6 Depth=1
	v_dual_mov_b32 v0, v3 :: v_dual_mov_b32 v1, v4
; %bb.9:                                ;   in Loop: Header=BB31_6 Depth=1
	s_and_not1_saveexec_b32 s1, s1
; %bb.10:                               ;   in Loop: Header=BB31_6 Depth=1
	v_dual_mov_b32 v0, v2 :: v_dual_mov_b32 v1, v3
; %bb.11:                               ;   in Loop: Header=BB31_6 Depth=1
	s_or_b32 exec_lo, exec_lo, s1
.LBB31_12:                              ;   in Loop: Header=BB31_6 Depth=1
	s_and_not1_saveexec_b32 s0, s0
	s_cbranch_execz .LBB31_5
; %bb.13:                               ;   in Loop: Header=BB31_6 Depth=1
	s_mov_b32 s1, exec_lo
	v_cmpx_eq_u32_e32 1, v13
	s_cbranch_execz .LBB31_4
; %bb.14:                               ;   in Loop: Header=BB31_6 Depth=1
	v_dual_mov_b32 v0, v1 :: v_dual_mov_b32 v1, v2
	s_branch .LBB31_4
.LBB31_15:
	s_endpgm
	.section	.rodata,"a",@progbits
	.p2align	6, 0x0
	.amdhsa_kernel _ZN2at6native12_GLOBAL__N_124fused_dropout_kernel_vecIddmLi1ELi2EbEEvNS_4cuda6detail10TensorInfoIKT_T1_EENS5_IS6_S8_EENS5_IT4_S8_EES8_T0_NS_15PhiloxCudaStateE
		.amdhsa_group_segment_fixed_size 0
		.amdhsa_private_segment_fixed_size 0
		.amdhsa_kernarg_size 1552
		.amdhsa_user_sgpr_count 15
		.amdhsa_user_sgpr_dispatch_ptr 0
		.amdhsa_user_sgpr_queue_ptr 0
		.amdhsa_user_sgpr_kernarg_segment_ptr 1
		.amdhsa_user_sgpr_dispatch_id 0
		.amdhsa_user_sgpr_private_segment_size 0
		.amdhsa_wavefront_size32 1
		.amdhsa_uses_dynamic_stack 0
		.amdhsa_enable_private_segment 0
		.amdhsa_system_sgpr_workgroup_id_x 1
		.amdhsa_system_sgpr_workgroup_id_y 0
		.amdhsa_system_sgpr_workgroup_id_z 0
		.amdhsa_system_sgpr_workgroup_info 0
		.amdhsa_system_vgpr_workitem_id 0
		.amdhsa_next_free_vgpr 49
		.amdhsa_next_free_sgpr 16
		.amdhsa_reserve_vcc 1
		.amdhsa_float_round_mode_32 0
		.amdhsa_float_round_mode_16_64 0
		.amdhsa_float_denorm_mode_32 3
		.amdhsa_float_denorm_mode_16_64 3
		.amdhsa_dx10_clamp 1
		.amdhsa_ieee_mode 1
		.amdhsa_fp16_overflow 0
		.amdhsa_workgroup_processor_mode 1
		.amdhsa_memory_ordered 1
		.amdhsa_forward_progress 0
		.amdhsa_shared_vgpr_count 0
		.amdhsa_exception_fp_ieee_invalid_op 0
		.amdhsa_exception_fp_denorm_src 0
		.amdhsa_exception_fp_ieee_div_zero 0
		.amdhsa_exception_fp_ieee_overflow 0
		.amdhsa_exception_fp_ieee_underflow 0
		.amdhsa_exception_fp_ieee_inexact 0
		.amdhsa_exception_int_div_zero 0
	.end_amdhsa_kernel
	.section	.text._ZN2at6native12_GLOBAL__N_124fused_dropout_kernel_vecIddmLi1ELi2EbEEvNS_4cuda6detail10TensorInfoIKT_T1_EENS5_IS6_S8_EENS5_IT4_S8_EES8_T0_NS_15PhiloxCudaStateE,"axG",@progbits,_ZN2at6native12_GLOBAL__N_124fused_dropout_kernel_vecIddmLi1ELi2EbEEvNS_4cuda6detail10TensorInfoIKT_T1_EENS5_IS6_S8_EENS5_IT4_S8_EES8_T0_NS_15PhiloxCudaStateE,comdat
.Lfunc_end31:
	.size	_ZN2at6native12_GLOBAL__N_124fused_dropout_kernel_vecIddmLi1ELi2EbEEvNS_4cuda6detail10TensorInfoIKT_T1_EENS5_IS6_S8_EENS5_IT4_S8_EES8_T0_NS_15PhiloxCudaStateE, .Lfunc_end31-_ZN2at6native12_GLOBAL__N_124fused_dropout_kernel_vecIddmLi1ELi2EbEEvNS_4cuda6detail10TensorInfoIKT_T1_EENS5_IS6_S8_EENS5_IT4_S8_EES8_T0_NS_15PhiloxCudaStateE
                                        ; -- End function
	.section	.AMDGPU.csdata,"",@progbits
; Kernel info:
; codeLenInByte = 1988
; NumSgprs: 18
; NumVgprs: 49
; ScratchSize: 0
; MemoryBound: 0
; FloatMode: 240
; IeeeMode: 1
; LDSByteSize: 0 bytes/workgroup (compile time only)
; SGPRBlocks: 2
; VGPRBlocks: 6
; NumSGPRsForWavesPerEU: 18
; NumVGPRsForWavesPerEU: 49
; Occupancy: 16
; WaveLimiterHint : 1
; COMPUTE_PGM_RSRC2:SCRATCH_EN: 0
; COMPUTE_PGM_RSRC2:USER_SGPR: 15
; COMPUTE_PGM_RSRC2:TRAP_HANDLER: 0
; COMPUTE_PGM_RSRC2:TGID_X_EN: 1
; COMPUTE_PGM_RSRC2:TGID_Y_EN: 0
; COMPUTE_PGM_RSRC2:TGID_Z_EN: 0
; COMPUTE_PGM_RSRC2:TIDIG_COMP_CNT: 0
	.section	.text._ZN2at6native12_GLOBAL__N_120fused_dropout_kernelIddmLi1ELi1EbEEvNS_4cuda6detail10TensorInfoIKT_T1_EENS5_IS6_S8_EENS5_IT4_S8_EES8_T0_NS_15PhiloxCudaStateE,"axG",@progbits,_ZN2at6native12_GLOBAL__N_120fused_dropout_kernelIddmLi1ELi1EbEEvNS_4cuda6detail10TensorInfoIKT_T1_EENS5_IS6_S8_EENS5_IT4_S8_EES8_T0_NS_15PhiloxCudaStateE,comdat
	.globl	_ZN2at6native12_GLOBAL__N_120fused_dropout_kernelIddmLi1ELi1EbEEvNS_4cuda6detail10TensorInfoIKT_T1_EENS5_IS6_S8_EENS5_IT4_S8_EES8_T0_NS_15PhiloxCudaStateE ; -- Begin function _ZN2at6native12_GLOBAL__N_120fused_dropout_kernelIddmLi1ELi1EbEEvNS_4cuda6detail10TensorInfoIKT_T1_EENS5_IS6_S8_EENS5_IT4_S8_EES8_T0_NS_15PhiloxCudaStateE
	.p2align	8
	.type	_ZN2at6native12_GLOBAL__N_120fused_dropout_kernelIddmLi1ELi1EbEEvNS_4cuda6detail10TensorInfoIKT_T1_EENS5_IS6_S8_EENS5_IT4_S8_EES8_T0_NS_15PhiloxCudaStateE,@function
_ZN2at6native12_GLOBAL__N_120fused_dropout_kernelIddmLi1ELi1EbEEvNS_4cuda6detail10TensorInfoIKT_T1_EENS5_IS6_S8_EENS5_IT4_S8_EES8_T0_NS_15PhiloxCudaStateE: ; @_ZN2at6native12_GLOBAL__N_120fused_dropout_kernelIddmLi1ELi1EbEEvNS_4cuda6detail10TensorInfoIKT_T1_EENS5_IS6_S8_EENS5_IT4_S8_EES8_T0_NS_15PhiloxCudaStateE
; %bb.0:
	s_clause 0x1
	s_load_b256 s[4:11], s[0:1], 0x4e0
	s_load_b32 s2, s[0:1], 0x508
	s_waitcnt lgkmcnt(0)
	v_dual_mov_b32 v1, s10 :: v_dual_mov_b32 v2, s11
	v_dual_mov_b32 v20, s9 :: v_dual_mov_b32 v19, s8
	s_bitcmp0_b32 s2, 0
	s_mov_b32 s2, 0
	s_cbranch_scc1 .LBB32_2
; %bb.1:
	v_dual_mov_b32 v1, s10 :: v_dual_mov_b32 v2, s11
	v_dual_mov_b32 v3, s8 :: v_dual_mov_b32 v4, s9
	s_load_b64 s[8:9], s[0:1], 0x500
	flat_load_b64 v[1:2], v[1:2]
	flat_load_b64 v[19:20], v[3:4]
	s_waitcnt vmcnt(1) lgkmcnt(0)
	v_add_co_u32 v1, vcc_lo, v1, s8
	v_add_co_ci_u32_e32 v2, vcc_lo, s9, v2, vcc_lo
.LBB32_2:
	s_clause 0x1
	s_load_b32 s3, s[0:1], 0x51c
	s_load_b32 s8, s[0:1], 0x510
	s_waitcnt lgkmcnt(0)
	s_and_b32 s9, s3, 0xffff
	s_add_u32 s10, s4, -1
	s_mul_i32 s22, s8, s9
	s_addc_u32 s3, s5, -1
	s_lshl_b32 s23, s22, 2
	s_cmp_lg_u64 s[2:3], 0
	s_cbranch_scc0 .LBB32_35
; %bb.3:
	v_cvt_f32_u32_e32 v3, s23
	s_sub_u32 s12, 0, s23
	s_subb_u32 s13, 0, 0
	s_delay_alu instid0(VALU_DEP_1) | instskip(NEXT) | instid1(VALU_DEP_1)
	v_fmamk_f32 v3, 0, 0x4f800000, v3
	v_rcp_f32_e32 v3, v3
	s_waitcnt_depctr 0xfff
	v_mul_f32_e32 v3, 0x5f7ffffc, v3
	s_delay_alu instid0(VALU_DEP_1) | instskip(NEXT) | instid1(VALU_DEP_1)
	v_mul_f32_e32 v4, 0x2f800000, v3
	v_trunc_f32_e32 v4, v4
	s_delay_alu instid0(VALU_DEP_1) | instskip(SKIP_1) | instid1(VALU_DEP_2)
	v_fmamk_f32 v3, v4, 0xcf800000, v3
	v_cvt_u32_f32_e32 v4, v4
	v_cvt_u32_f32_e32 v3, v3
	s_delay_alu instid0(VALU_DEP_2) | instskip(NEXT) | instid1(VALU_DEP_2)
	v_readfirstlane_b32 s2, v4
	v_readfirstlane_b32 s11, v3
	s_delay_alu instid0(VALU_DEP_2) | instskip(NEXT) | instid1(VALU_DEP_1)
	s_mul_i32 s14, s12, s2
	s_mul_hi_u32 s17, s12, s11
	s_mul_i32 s16, s13, s11
	s_add_i32 s14, s17, s14
	s_mul_i32 s18, s12, s11
	s_add_i32 s14, s14, s16
	s_mul_hi_u32 s17, s11, s18
	s_mul_hi_u32 s19, s2, s18
	s_mul_i32 s16, s2, s18
	s_mul_hi_u32 s18, s11, s14
	s_mul_i32 s11, s11, s14
	s_mul_hi_u32 s20, s2, s14
	s_add_u32 s11, s17, s11
	s_addc_u32 s17, 0, s18
	s_add_u32 s11, s11, s16
	s_mul_i32 s14, s2, s14
	s_addc_u32 s11, s17, s19
	s_addc_u32 s16, s20, 0
	s_add_u32 s11, s11, s14
	s_addc_u32 s14, 0, s16
	v_add_co_u32 v3, s11, v3, s11
	s_delay_alu instid0(VALU_DEP_1) | instskip(SKIP_1) | instid1(VALU_DEP_1)
	s_cmp_lg_u32 s11, 0
	s_addc_u32 s2, s2, s14
	v_readfirstlane_b32 s11, v3
	s_mul_i32 s14, s12, s2
	s_delay_alu instid0(VALU_DEP_1)
	s_mul_hi_u32 s16, s12, s11
	s_mul_i32 s13, s13, s11
	s_add_i32 s14, s16, s14
	s_mul_i32 s12, s12, s11
	s_add_i32 s14, s14, s13
	s_mul_hi_u32 s16, s2, s12
	s_mul_i32 s17, s2, s12
	s_mul_hi_u32 s12, s11, s12
	s_mul_hi_u32 s18, s11, s14
	s_mul_i32 s11, s11, s14
	s_mul_hi_u32 s13, s2, s14
	s_add_u32 s11, s12, s11
	s_addc_u32 s12, 0, s18
	s_add_u32 s11, s11, s17
	s_mul_i32 s14, s2, s14
	s_addc_u32 s11, s12, s16
	s_addc_u32 s12, s13, 0
	s_add_u32 s11, s11, s14
	s_addc_u32 s12, 0, s12
	v_add_co_u32 v3, s11, v3, s11
	s_delay_alu instid0(VALU_DEP_1) | instskip(SKIP_1) | instid1(VALU_DEP_1)
	s_cmp_lg_u32 s11, 0
	s_addc_u32 s2, s2, s12
	v_readfirstlane_b32 s11, v3
	s_mul_i32 s13, s10, s2
	s_mul_hi_u32 s12, s10, s2
	s_mul_hi_u32 s14, s3, s2
	s_mul_i32 s2, s3, s2
	s_mul_hi_u32 s16, s10, s11
	s_mul_hi_u32 s17, s3, s11
	s_mul_i32 s11, s3, s11
	s_add_u32 s13, s16, s13
	s_addc_u32 s12, 0, s12
	s_add_u32 s11, s13, s11
	s_addc_u32 s11, s12, s17
	s_addc_u32 s12, s14, 0
	s_add_u32 s2, s11, s2
	s_addc_u32 s12, 0, s12
	s_mul_i32 s13, s23, s2
	s_add_u32 s11, s2, 1
	v_sub_co_u32 v3, s13, s10, s13
	s_mul_hi_u32 s14, s23, s2
	s_addc_u32 s16, s12, 0
	s_mul_i32 s17, s23, s12
	s_delay_alu instid0(VALU_DEP_1)
	v_sub_co_u32 v4, s18, v3, s23
	s_add_u32 s19, s2, 2
	s_addc_u32 s20, s12, 0
	s_add_i32 s14, s14, s17
	s_cmp_lg_u32 s13, 0
	v_readfirstlane_b32 s13, v4
	s_subb_u32 s3, s3, s14
	s_cmp_lg_u32 s18, 0
	s_subb_u32 s14, s3, 0
	s_delay_alu instid0(VALU_DEP_1) | instskip(SKIP_4) | instid1(SALU_CYCLE_1)
	s_cmp_ge_u32 s13, s23
	s_cselect_b32 s13, -1, 0
	s_cmp_eq_u32 s14, 0
	v_readfirstlane_b32 s14, v3
	s_cselect_b32 s13, s13, -1
	s_cmp_lg_u32 s13, 0
	s_cselect_b32 s13, s19, s11
	s_cselect_b32 s16, s20, s16
	s_cmp_ge_u32 s14, s23
	s_cselect_b32 s11, -1, 0
	s_cmp_eq_u32 s3, 0
	s_cselect_b32 s3, s11, -1
	s_delay_alu instid0(SALU_CYCLE_1)
	s_cmp_lg_u32 s3, 0
	s_cselect_b32 s3, s16, s12
	s_cselect_b32 s2, s13, s2
	s_cbranch_execnz .LBB32_5
.LBB32_4:
	v_cvt_f32_u32_e32 v3, s23
	s_sub_i32 s3, 0, s23
	s_delay_alu instid0(VALU_DEP_1) | instskip(SKIP_2) | instid1(VALU_DEP_1)
	v_rcp_iflag_f32_e32 v3, v3
	s_waitcnt_depctr 0xfff
	v_mul_f32_e32 v3, 0x4f7ffffe, v3
	v_cvt_u32_f32_e32 v3, v3
	s_delay_alu instid0(VALU_DEP_1) | instskip(NEXT) | instid1(VALU_DEP_1)
	v_readfirstlane_b32 s2, v3
	s_mul_i32 s3, s3, s2
	s_delay_alu instid0(SALU_CYCLE_1) | instskip(NEXT) | instid1(SALU_CYCLE_1)
	s_mul_hi_u32 s3, s2, s3
	s_add_i32 s2, s2, s3
	s_delay_alu instid0(SALU_CYCLE_1) | instskip(NEXT) | instid1(SALU_CYCLE_1)
	s_mul_hi_u32 s2, s10, s2
	s_mul_i32 s3, s2, s23
	s_delay_alu instid0(SALU_CYCLE_1)
	s_sub_i32 s3, s10, s3
	s_add_i32 s10, s2, 1
	s_sub_i32 s11, s3, s23
	s_cmp_ge_u32 s3, s23
	s_cselect_b32 s2, s10, s2
	s_cselect_b32 s3, s11, s3
	s_add_i32 s10, s2, 1
	s_cmp_ge_u32 s3, s23
	s_mov_b32 s3, 0
	s_cselect_b32 s2, s10, s2
.LBB32_5:
	s_delay_alu instid0(SALU_CYCLE_1)
	s_add_u32 s2, s2, 1
	s_addc_u32 s3, s3, 0
	v_mov_b32_e32 v23, 0
	v_mad_u64_u32 v[21:22], null, s15, s9, v[0:1]
	s_mul_i32 s3, s22, s3
	s_mul_hi_u32 s10, s22, s2
	s_mul_hi_u32 s8, s8, s9
	s_add_i32 s3, s10, s3
	s_mul_i32 s8, s8, s2
	v_mov_b32_e32 v22, v23
	s_add_i32 s3, s3, s8
	s_mul_i32 s2, s22, s2
	s_delay_alu instid0(SALU_CYCLE_1)
	s_lshl_b64 s[8:9], s[2:3], 2
	s_mov_b32 s2, exec_lo
	v_cmpx_gt_u64_e64 s[8:9], v[21:22]
	s_cbranch_execz .LBB32_34
; %bb.6:
	v_div_scale_f64 v[3:4], null, s[6:7], s[6:7], 1.0
	v_div_scale_f64 v[9:10], vcc_lo, 1.0, s[6:7], 1.0
	v_alignbit_b32 v55, v2, v1, 2
	v_lshrrev_b32_e32 v56, 2, v2
	s_waitcnt vmcnt(0)
	v_dual_mov_b32 v16, v20 :: v_dual_and_b32 v57, 3, v1
	v_add_co_u32 v62, null, 0x9e3779b9, v19
	v_mad_u64_u32 v[11:12], null, 0xd2511f53, v55, 0
	s_delay_alu instid0(VALU_DEP_3)
	v_add_co_u32 v60, null, 0xbb67ae85, v16
	v_add_co_u32 v64, null, 0x3c6ef372, v19
	;; [unrolled: 1-line block ×10, first 2 shown]
	s_clause 0x3
	s_load_b64 s[10:11], s[0:1], 0x0
	s_load_b64 s[2:3], s[0:1], 0xd0
	;; [unrolled: 1-line block ×4, first 2 shown]
	v_add_co_u32 v74, null, 0x646e171e, v16
	v_add_co_u32 v69, null, 0x5384540f, v19
	;; [unrolled: 1-line block ×3, first 2 shown]
	v_rcp_f64_e32 v[5:6], v[3:4]
	s_mul_i32 s26, s22, 3
	s_load_b64 s[14:15], s[0:1], 0x340
	v_add_co_u32 v17, s0, s26, v21
	v_add_co_u32 v70, null, 0xf1bbcdc8, v19
	v_add_co_ci_u32_e64 v18, null, 0, 0, s0
	v_add_co_u32 v75, null, 0xdb3d7428, v16
	s_waitcnt lgkmcnt(0)
	v_mul_lo_u32 v41, s3, v17
	s_delay_alu instid0(VALU_DEP_3)
	v_mul_lo_u32 v42, s2, v18
	v_mad_u64_u32 v[25:26], null, s18, v21, 0
	v_add_nc_u32_e32 v59, 0x96a522ad, v20
	v_mul_lo_u32 v29, s18, v18
	v_mad_u64_u32 v[27:28], null, s18, v17, 0
	s_lshl_b32 s25, s22, 1
	s_mul_hi_u32 s1, s18, s23
	v_add_co_u32 v24, s0, s25, v21
	s_delay_alu instid0(VALU_DEP_1) | instskip(SKIP_1) | instid1(VALU_DEP_2)
	v_add_co_ci_u32_e64 v35, null, 0, 0, s0
	s_mul_i32 s0, s19, s23
	v_mad_u64_u32 v[33:34], null, s18, v24, 0
	s_add_i32 s17, s1, s0
	s_mul_i32 s20, s3, s23
	s_mul_hi_u32 s21, s2, s23
	v_dual_mov_b32 v52, v22 :: v_dual_mov_b32 v51, v21
	v_mov_b32_e32 v22, 0
	s_mul_i32 s16, s18, s23
	s_add_i32 s1, s21, s20
	s_mov_b32 s24, 0
	s_delay_alu instid0(TRANS32_DEP_1) | instskip(NEXT) | instid1(VALU_DEP_1)
	v_fma_f64 v[7:8], -v[3:4], v[5:6], 1.0
	v_fma_f64 v[5:6], v[5:6], v[7:8], v[5:6]
	s_delay_alu instid0(VALU_DEP_1) | instskip(NEXT) | instid1(VALU_DEP_1)
	v_fma_f64 v[7:8], -v[3:4], v[5:6], 1.0
	v_fma_f64 v[5:6], v[5:6], v[7:8], v[5:6]
	v_mad_u64_u32 v[7:8], null, 0xcd9e8d57, v21, 0
	s_delay_alu instid0(VALU_DEP_1) | instskip(NEXT) | instid1(VALU_DEP_1)
	v_xor3_b32 v2, v19, v8, v56
	v_mad_u64_u32 v[0:1], null, 0xd2511f53, v2, 0
	v_xor_b32_e32 v2, v12, v20
	s_delay_alu instid0(VALU_DEP_1) | instskip(NEXT) | instid1(VALU_DEP_3)
	v_mad_u64_u32 v[12:13], null, 0xcd9e8d57, v2, 0
	v_xor3_b32 v8, v60, v1, v11
	s_delay_alu instid0(VALU_DEP_1) | instskip(NEXT) | instid1(VALU_DEP_3)
	v_mad_u64_u32 v[1:2], null, 0xcd9e8d57, v8, 0
	v_xor3_b32 v11, v13, v62, v7
	;; [unrolled: 3-line block ×3, first 2 shown]
	v_mul_f64 v[7:8], v[9:10], v[5:6]
	s_delay_alu instid0(VALU_DEP_2) | instskip(NEXT) | instid1(VALU_DEP_4)
	v_mad_u64_u32 v[11:12], null, 0xd2511f53, v2, 0
	v_xor3_b32 v0, v14, v66, v0
	s_delay_alu instid0(VALU_DEP_1) | instskip(NEXT) | instid1(VALU_DEP_3)
	v_mad_u64_u32 v[14:15], null, 0xcd9e8d57, v0, 0
	v_xor3_b32 v0, v68, v12, v13
	s_delay_alu instid0(VALU_DEP_1) | instskip(NEXT) | instid1(VALU_DEP_3)
	v_mad_u64_u32 v[12:13], null, 0xcd9e8d57, v0, 0
	v_xor3_b32 v2, v15, v65, v1
	s_delay_alu instid0(VALU_DEP_1) | instskip(NEXT) | instid1(VALU_DEP_3)
	v_mad_u64_u32 v[0:1], null, 0xd2511f53, v2, 0
	v_xor3_b32 v13, v63, v13, v14
	s_delay_alu instid0(VALU_DEP_2) | instskip(SKIP_1) | instid1(VALU_DEP_3)
	v_xor3_b32 v1, v1, v71, v11
	v_fma_f64 v[2:3], -v[3:4], v[7:8], v[9:10]
	v_mad_u64_u32 v[9:10], null, 0xd2511f53, v13, 0
	s_delay_alu instid0(VALU_DEP_3) | instskip(NEXT) | instid1(VALU_DEP_2)
	v_mad_u64_u32 v[13:14], null, 0xcd9e8d57, v1, 0
	v_xor3_b32 v4, v72, v10, v0
	s_delay_alu instid0(VALU_DEP_1) | instskip(NEXT) | instid1(VALU_DEP_3)
	v_mad_u64_u32 v[0:1], null, 0xcd9e8d57, v4, 0
	v_xor3_b32 v4, v14, v67, v12
	s_delay_alu instid0(VALU_DEP_1) | instskip(NEXT) | instid1(VALU_DEP_3)
	v_mad_u64_u32 v[10:11], null, 0xd2511f53, v4, 0
	v_xor3_b32 v1, v61, v1, v13
	v_mad_u64_u32 v[12:13], null, s2, v21, 0
	s_delay_alu instid0(VALU_DEP_2) | instskip(NEXT) | instid1(VALU_DEP_4)
	v_mad_u64_u32 v[14:15], null, 0xd2511f53, v1, 0
	v_xor3_b32 v9, v11, v74, v9
	v_mul_lo_u32 v11, s19, v17
	v_div_fmas_f64 v[1:2], v[2:3], v[5:6], v[7:8]
	s_delay_alu instid0(VALU_DEP_3)
	v_mad_u64_u32 v[3:4], null, 0xcd9e8d57, v9, 0
	v_xor3_b32 v6, v73, v15, v10
	v_mad_u64_u32 v[15:16], null, s2, v17, 0
	v_mov_b32_e32 v8, v13
	v_add3_u32 v28, v28, v29, v11
	v_xor3_b32 v0, v4, v69, v0
	v_mad_u64_u32 v[4:5], null, 0xcd9e8d57, v6, 0
	v_add3_u32 v16, v16, v42, v41
	s_delay_alu instid0(VALU_DEP_4) | instskip(NEXT) | instid1(VALU_DEP_4)
	v_lshlrev_b64 v[39:40], 3, v[27:28]
	v_mad_u64_u32 v[6:7], null, 0xd2511f53, v0, 0
	v_mov_b32_e32 v0, v26
	s_delay_alu instid0(VALU_DEP_4) | instskip(NEXT) | instid1(VALU_DEP_2)
	v_lshlrev_b64 v[41:42], 3, v[15:16]
	v_mad_u64_u32 v[17:18], null, s19, v21, v[0:1]
	v_xor3_b32 v0, v70, v5, v3
	v_xor3_b32 v3, v7, v75, v14
	v_mad_u64_u32 v[13:14], null, s3, v21, v[8:9]
	v_add_co_u32 v7, s0, s22, v21
	s_delay_alu instid0(VALU_DEP_4) | instskip(NEXT) | instid1(VALU_DEP_4)
	v_mad_u64_u32 v[31:32], null, 0xd2511f53, v0, 0
	v_mad_u64_u32 v[9:10], null, 0xcd9e8d57, v3, 0
	v_add_nc_u32_e32 v58, 0x8ff34781, v19
	v_mov_b32_e32 v26, v17
	v_mul_lo_u32 v5, s19, v24
	v_mul_lo_u32 v14, s2, v35
	v_mov_b32_e32 v11, v31
	v_mul_lo_u32 v17, s19, v7
	v_xor3_b32 v8, v4, v10, v58
	v_xor3_b32 v10, v32, v6, v59
	v_div_fixup_f64 v[31:32], v[1:2], s[6:7], 1.0
	v_add_co_ci_u32_e64 v2, null, 0, 0, s0
	v_mul_lo_u32 v4, s18, v35
	v_mul_lo_u32 v6, s3, v24
	v_mad_u64_u32 v[0:1], null, s2, v24, 0
	s_delay_alu instid0(VALU_DEP_4)
	v_mul_lo_u32 v18, s18, v2
	v_mad_u64_u32 v[35:36], null, s18, v7, 0
	v_mul_lo_u32 v24, s3, v7
	v_mul_lo_u32 v43, s2, v2
	v_mad_u64_u32 v[2:3], null, s2, v7, 0
	v_add3_u32 v34, v34, v4, v5
	v_add3_u32 v1, v1, v14, v6
	;; [unrolled: 1-line block ×3, first 2 shown]
	v_lshlrev_b64 v[29:30], 3, v[25:26]
	v_lshlrev_b64 v[37:38], 3, v[12:13]
	s_mul_i32 s0, s2, s23
	v_add3_u32 v3, v3, v43, v24
	v_lshlrev_b64 v[43:44], 3, v[33:34]
	v_lshlrev_b64 v[45:46], 3, v[0:1]
	;; [unrolled: 1-line block ×3, first 2 shown]
	s_lshl_b64 s[18:19], s[16:17], 3
	v_lshlrev_b64 v[49:50], 3, v[2:3]
	s_lshl_b64 s[20:21], s[0:1], 3
                                        ; implicit-def: $vgpr0_vgpr1_vgpr2_vgpr3_vgpr4_vgpr5_vgpr6_vgpr7
	s_branch .LBB32_8
.LBB32_7:                               ;   in Loop: Header=BB32_8 Depth=1
	s_or_b32 exec_lo, exec_lo, s1
	v_add_co_u32 v51, vcc_lo, v51, s23
	v_add_co_ci_u32_e32 v52, vcc_lo, 0, v52, vcc_lo
	v_mov_b32_e32 v15, v53
	s_add_u32 s12, s12, s18
	s_addc_u32 s13, s13, s19
	s_delay_alu instid0(VALU_DEP_2)
	v_cmp_le_u64_e32 vcc_lo, s[8:9], v[51:52]
	s_add_u32 s14, s14, s16
	v_dual_mov_b32 v8, v12 :: v_dual_mov_b32 v9, v13
	s_addc_u32 s15, s15, s17
	v_dual_mov_b32 v10, v14 :: v_dual_mov_b32 v11, v15
	s_add_u32 s10, s10, s20
	s_addc_u32 s11, s11, s21
	s_or_b32 s24, vcc_lo, s24
	s_waitcnt vmcnt(0)
	s_waitcnt_vscnt null, 0x0
	s_barrier
	buffer_gl0_inv
	s_and_not1_b32 exec_lo, exec_lo, s24
	s_cbranch_execz .LBB32_34
.LBB32_8:                               ; =>This Inner Loop Header: Depth=1
	v_add_co_u32 v55, vcc_lo, v55, 1
	s_delay_alu instid0(VALU_DEP_1) | instskip(SKIP_2) | instid1(VALU_DEP_1)
	v_cndmask_b32_e64 v12, 0, 1, vcc_lo
	v_add_co_ci_u32_e32 v56, vcc_lo, 0, v56, vcc_lo
	s_mov_b32 s0, exec_lo
	v_cmp_eq_u32_e32 vcc_lo, 0, v56
	s_delay_alu instid0(VALU_DEP_3) | instskip(NEXT) | instid1(VALU_DEP_1)
	v_cndmask_b32_e32 v12, 0, v12, vcc_lo
	v_add_nc_u32_e32 v21, v12, v21
	s_delay_alu instid0(VALU_DEP_1) | instskip(SKIP_2) | instid1(VALU_DEP_2)
	v_cmp_eq_u32_e32 vcc_lo, 0, v21
	v_cndmask_b32_e32 v12, 0, v12, vcc_lo
	v_mad_u64_u32 v[14:15], null, 0xcd9e8d57, v21, 0
	v_add_nc_u32_e32 v22, v12, v22
	v_mad_u64_u32 v[12:13], null, 0xd2511f53, v55, 0
	s_delay_alu instid0(VALU_DEP_3) | instskip(NEXT) | instid1(VALU_DEP_2)
	v_xor3_b32 v17, v15, v19, v56
	v_xor_b32_e32 v13, v13, v20
	s_delay_alu instid0(VALU_DEP_2) | instskip(NEXT) | instid1(VALU_DEP_2)
	v_mad_u64_u32 v[15:16], null, 0xd2511f53, v17, 0
	v_xor_b32_e32 v13, v22, v13
	s_delay_alu instid0(VALU_DEP_2) | instskip(NEXT) | instid1(VALU_DEP_2)
	v_xor3_b32 v16, v60, v16, v12
	v_mad_u64_u32 v[17:18], null, 0xcd9e8d57, v13, 0
	s_delay_alu instid0(VALU_DEP_2) | instskip(NEXT) | instid1(VALU_DEP_2)
	v_mad_u64_u32 v[12:13], null, 0xcd9e8d57, v16, 0
	v_xor3_b32 v14, v62, v18, v14
	s_delay_alu instid0(VALU_DEP_2) | instskip(NEXT) | instid1(VALU_DEP_2)
	v_xor3_b32 v16, v64, v13, v17
	v_mad_u64_u32 v[53:54], null, 0xd2511f53, v14, 0
	s_delay_alu instid0(VALU_DEP_2) | instskip(NEXT) | instid1(VALU_DEP_2)
	v_mad_u64_u32 v[13:14], null, 0xd2511f53, v16, 0
	v_xor3_b32 v17, v66, v54, v15
	s_delay_alu instid0(VALU_DEP_2) | instskip(NEXT) | instid1(VALU_DEP_2)
	v_xor3_b32 v14, v68, v14, v53
	v_mad_u64_u32 v[15:16], null, 0xcd9e8d57, v17, 0
	s_delay_alu instid0(VALU_DEP_1) | instskip(NEXT) | instid1(VALU_DEP_3)
	v_xor3_b32 v12, v65, v16, v12
	v_mad_u64_u32 v[16:17], null, 0xcd9e8d57, v14, 0
	s_delay_alu instid0(VALU_DEP_2) | instskip(NEXT) | instid1(VALU_DEP_2)
	v_mad_u64_u32 v[53:54], null, 0xd2511f53, v12, 0
	v_xor3_b32 v14, v63, v17, v15
	s_delay_alu instid0(VALU_DEP_2) | instskip(NEXT) | instid1(VALU_DEP_2)
	v_xor3_b32 v17, v71, v54, v13
	v_mad_u64_u32 v[12:13], null, 0xd2511f53, v14, 0
	s_delay_alu instid0(VALU_DEP_2) | instskip(NEXT) | instid1(VALU_DEP_2)
	v_mad_u64_u32 v[14:15], null, 0xcd9e8d57, v17, 0
	v_xor3_b32 v13, v72, v13, v53
	s_delay_alu instid0(VALU_DEP_2) | instskip(NEXT) | instid1(VALU_DEP_2)
	;; [unrolled: 6-line block ×6, first 2 shown]
	v_xor3_b32 v12, v14, v15, v58
	v_mov_b32_e32 v14, v18
	v_cmpx_lt_i32_e32 1, v57
	s_xor_b32 s0, exec_lo, s0
	s_cbranch_execnz .LBB32_21
; %bb.9:                                ;   in Loop: Header=BB32_8 Depth=1
	s_and_not1_saveexec_b32 s0, s0
	s_cbranch_execnz .LBB32_26
.LBB32_10:                              ;   in Loop: Header=BB32_8 Depth=1
	s_or_b32 exec_lo, exec_lo, s0
	v_cmp_gt_u64_e64 s2, s[4:5], v[51:52]
	s_delay_alu instid0(VALU_DEP_1)
	s_and_saveexec_b32 s0, s2
	s_cbranch_execz .LBB32_12
.LBB32_11:                              ;   in Loop: Header=BB32_8 Depth=1
	v_add_co_u32 v0, vcc_lo, s10, v37
	v_add_co_ci_u32_e32 v1, vcc_lo, s11, v38, vcc_lo
	global_load_b64 v[0:1], v[0:1], off
.LBB32_12:                              ;   in Loop: Header=BB32_8 Depth=1
	s_or_b32 exec_lo, exec_lo, s0
	v_add_co_u32 v15, vcc_lo, s22, v51
	v_add_co_ci_u32_e32 v16, vcc_lo, 0, v52, vcc_lo
	s_delay_alu instid0(VALU_DEP_1) | instskip(NEXT) | instid1(VALU_DEP_1)
	v_cmp_gt_u64_e64 s1, s[4:5], v[15:16]
	s_and_saveexec_b32 s0, s1
	s_cbranch_execz .LBB32_14
; %bb.13:                               ;   in Loop: Header=BB32_8 Depth=1
	v_add_co_u32 v2, vcc_lo, s10, v49
	v_add_co_ci_u32_e32 v3, vcc_lo, s11, v50, vcc_lo
	global_load_b64 v[2:3], v[2:3], off
.LBB32_14:                              ;   in Loop: Header=BB32_8 Depth=1
	s_or_b32 exec_lo, exec_lo, s0
	v_add_co_u32 v15, vcc_lo, s25, v51
	v_add_co_ci_u32_e32 v16, vcc_lo, 0, v52, vcc_lo
	s_delay_alu instid0(VALU_DEP_1) | instskip(NEXT) | instid1(VALU_DEP_1)
	v_cmp_gt_u64_e64 s0, s[4:5], v[15:16]
	s_and_saveexec_b32 s3, s0
	s_cbranch_execz .LBB32_16
; %bb.15:                               ;   in Loop: Header=BB32_8 Depth=1
	v_add_co_u32 v4, vcc_lo, s10, v45
	v_add_co_ci_u32_e32 v5, vcc_lo, s11, v46, vcc_lo
	global_load_b64 v[4:5], v[4:5], off
.LBB32_16:                              ;   in Loop: Header=BB32_8 Depth=1
	s_or_b32 exec_lo, exec_lo, s3
	v_add_co_u32 v15, vcc_lo, s26, v51
	v_add_co_ci_u32_e32 v16, vcc_lo, 0, v52, vcc_lo
	s_delay_alu instid0(VALU_DEP_1)
	v_cmp_gt_u64_e32 vcc_lo, s[4:5], v[15:16]
	s_and_saveexec_b32 s27, vcc_lo
	s_cbranch_execnz .LBB32_29
; %bb.17:                               ;   in Loop: Header=BB32_8 Depth=1
	s_or_b32 exec_lo, exec_lo, s27
	s_and_saveexec_b32 s27, s2
	s_cbranch_execnz .LBB32_30
.LBB32_18:                              ;   in Loop: Header=BB32_8 Depth=1
	s_or_b32 exec_lo, exec_lo, s27
	s_and_saveexec_b32 s3, s1
	s_cbranch_execnz .LBB32_31
.LBB32_19:                              ;   in Loop: Header=BB32_8 Depth=1
	s_or_b32 exec_lo, exec_lo, s3
	s_and_saveexec_b32 s2, s0
	s_cbranch_execnz .LBB32_32
.LBB32_20:                              ;   in Loop: Header=BB32_8 Depth=1
	s_or_b32 exec_lo, exec_lo, s2
	s_and_saveexec_b32 s1, vcc_lo
	s_cbranch_execz .LBB32_7
	s_branch .LBB32_33
.LBB32_21:                              ;   in Loop: Header=BB32_8 Depth=1
	s_mov_b32 s1, exec_lo
	v_cmpx_lt_i32_e32 2, v57
	s_xor_b32 s1, exec_lo, s1
; %bb.22:                               ;   in Loop: Header=BB32_8 Depth=1
	v_dual_mov_b32 v15, v11 :: v_dual_mov_b32 v16, v12
	v_mov_b32_e32 v17, v13
	s_delay_alu instid0(VALU_DEP_2) | instskip(NEXT) | instid1(VALU_DEP_2)
	v_dual_mov_b32 v8, v15 :: v_dual_mov_b32 v9, v16
	v_dual_mov_b32 v10, v17 :: v_dual_mov_b32 v11, v18
; %bb.23:                               ;   in Loop: Header=BB32_8 Depth=1
	s_and_not1_saveexec_b32 s1, s1
; %bb.24:                               ;   in Loop: Header=BB32_8 Depth=1
	s_delay_alu instid0(VALU_DEP_1)
	v_dual_mov_b32 v8, v10 :: v_dual_mov_b32 v9, v11
	v_dual_mov_b32 v10, v12 :: v_dual_mov_b32 v11, v13
; %bb.25:                               ;   in Loop: Header=BB32_8 Depth=1
	s_or_b32 exec_lo, exec_lo, s1
	s_and_not1_saveexec_b32 s0, s0
	s_cbranch_execz .LBB32_10
.LBB32_26:                              ;   in Loop: Header=BB32_8 Depth=1
	s_mov_b32 s1, exec_lo
	v_cmpx_eq_u32_e32 1, v57
; %bb.27:                               ;   in Loop: Header=BB32_8 Depth=1
	v_dual_mov_b32 v8, v9 :: v_dual_mov_b32 v9, v10
	v_dual_mov_b32 v10, v11 :: v_dual_mov_b32 v11, v12
; %bb.28:                               ;   in Loop: Header=BB32_8 Depth=1
	s_or_b32 exec_lo, exec_lo, s1
	s_delay_alu instid0(SALU_CYCLE_1) | instskip(SKIP_1) | instid1(VALU_DEP_1)
	s_or_b32 exec_lo, exec_lo, s0
	v_cmp_gt_u64_e64 s2, s[4:5], v[51:52]
	s_and_saveexec_b32 s0, s2
	s_cbranch_execnz .LBB32_11
	s_branch .LBB32_12
.LBB32_29:                              ;   in Loop: Header=BB32_8 Depth=1
	v_add_co_u32 v6, s3, s10, v41
	s_delay_alu instid0(VALU_DEP_1)
	v_add_co_ci_u32_e64 v7, s3, s11, v42, s3
	global_load_b64 v[6:7], v[6:7], off
	s_or_b32 exec_lo, exec_lo, s27
	s_and_saveexec_b32 s27, s2
	s_cbranch_execz .LBB32_18
.LBB32_30:                              ;   in Loop: Header=BB32_8 Depth=1
	v_cvt_f32_u32_e32 v8, v8
	v_add_co_u32 v17, s3, s12, v29
	s_delay_alu instid0(VALU_DEP_1) | instskip(NEXT) | instid1(VALU_DEP_3)
	v_add_co_ci_u32_e64 v18, s3, s13, v30, s3
	v_fmaak_f32 v8, 0x2f800000, v8, 0x2f800000
	v_add_co_u32 v76, s3, s14, v25
	s_delay_alu instid0(VALU_DEP_1) | instskip(NEXT) | instid1(VALU_DEP_3)
	v_add_co_ci_u32_e64 v77, s3, s15, v26, s3
	v_cvt_f64_f32_e32 v[15:16], v8
	s_delay_alu instid0(VALU_DEP_1) | instskip(NEXT) | instid1(VALU_DEP_1)
	v_cmp_gt_f64_e64 s2, s[6:7], v[15:16]
	v_cndmask_b32_e64 v24, 0, 0x3ff00000, s2
	v_cndmask_b32_e64 v8, 0, 1, s2
	s_waitcnt vmcnt(0)
	s_delay_alu instid0(VALU_DEP_2) | instskip(NEXT) | instid1(VALU_DEP_1)
	v_mul_f64 v[15:16], v[0:1], v[23:24]
	v_mul_f64 v[15:16], v[31:32], v[15:16]
	global_store_b64 v[17:18], v[15:16], off
	global_store_b8 v[76:77], v8, off
	s_or_b32 exec_lo, exec_lo, s27
	s_and_saveexec_b32 s3, s1
	s_cbranch_execz .LBB32_19
.LBB32_31:                              ;   in Loop: Header=BB32_8 Depth=1
	v_cvt_f32_u32_e32 v8, v9
	v_add_co_u32 v15, s2, s12, v47
	s_delay_alu instid0(VALU_DEP_1) | instskip(NEXT) | instid1(VALU_DEP_3)
	v_add_co_ci_u32_e64 v16, s2, s13, v48, s2
	v_fmaak_f32 v8, 0x2f800000, v8, 0x2f800000
	v_add_co_u32 v17, s2, s14, v35
	s_delay_alu instid0(VALU_DEP_1) | instskip(NEXT) | instid1(VALU_DEP_3)
	v_add_co_ci_u32_e64 v18, s2, s15, v36, s2
	v_cvt_f64_f32_e32 v[8:9], v8
	s_delay_alu instid0(VALU_DEP_1) | instskip(NEXT) | instid1(VALU_DEP_1)
	v_cmp_gt_f64_e64 s1, s[6:7], v[8:9]
	v_cndmask_b32_e64 v24, 0, 0x3ff00000, s1
	s_waitcnt vmcnt(0)
	s_delay_alu instid0(VALU_DEP_1) | instskip(SKIP_1) | instid1(VALU_DEP_2)
	v_mul_f64 v[8:9], v[2:3], v[23:24]
	v_cndmask_b32_e64 v24, 0, 1, s1
	v_mul_f64 v[8:9], v[31:32], v[8:9]
	global_store_b64 v[15:16], v[8:9], off
	global_store_b8 v[17:18], v24, off
	s_or_b32 exec_lo, exec_lo, s3
	s_and_saveexec_b32 s2, s0
	s_cbranch_execz .LBB32_20
.LBB32_32:                              ;   in Loop: Header=BB32_8 Depth=1
	v_cvt_f32_u32_e32 v8, v10
	v_add_co_u32 v15, s1, s12, v43
	s_delay_alu instid0(VALU_DEP_1) | instskip(NEXT) | instid1(VALU_DEP_3)
	v_add_co_ci_u32_e64 v16, s1, s13, v44, s1
	v_fmaak_f32 v8, 0x2f800000, v8, 0x2f800000
	v_add_co_u32 v17, s1, s14, v33
	s_delay_alu instid0(VALU_DEP_1) | instskip(NEXT) | instid1(VALU_DEP_3)
	v_add_co_ci_u32_e64 v18, s1, s15, v34, s1
	v_cvt_f64_f32_e32 v[8:9], v8
	s_delay_alu instid0(VALU_DEP_1) | instskip(NEXT) | instid1(VALU_DEP_1)
	v_cmp_gt_f64_e64 s0, s[6:7], v[8:9]
	v_cndmask_b32_e64 v24, 0, 0x3ff00000, s0
	v_cndmask_b32_e64 v10, 0, 1, s0
	s_waitcnt vmcnt(0)
	s_delay_alu instid0(VALU_DEP_2) | instskip(NEXT) | instid1(VALU_DEP_1)
	v_mul_f64 v[8:9], v[4:5], v[23:24]
	v_mul_f64 v[8:9], v[31:32], v[8:9]
	global_store_b64 v[15:16], v[8:9], off
	global_store_b8 v[17:18], v10, off
	s_or_b32 exec_lo, exec_lo, s2
	s_and_saveexec_b32 s1, vcc_lo
	s_cbranch_execz .LBB32_7
.LBB32_33:                              ;   in Loop: Header=BB32_8 Depth=1
	v_cvt_f32_u32_e32 v8, v11
	v_add_co_u32 v10, s0, s12, v39
	s_delay_alu instid0(VALU_DEP_1) | instskip(NEXT) | instid1(VALU_DEP_3)
	v_add_co_ci_u32_e64 v11, s0, s13, v40, s0
	v_fmaak_f32 v8, 0x2f800000, v8, 0x2f800000
	v_add_co_u32 v15, s0, s14, v27
	s_delay_alu instid0(VALU_DEP_1) | instskip(NEXT) | instid1(VALU_DEP_3)
	v_add_co_ci_u32_e64 v16, s0, s15, v28, s0
	v_cvt_f64_f32_e32 v[8:9], v8
	s_delay_alu instid0(VALU_DEP_1) | instskip(SKIP_3) | instid1(VALU_DEP_2)
	v_cmp_gt_f64_e32 vcc_lo, s[6:7], v[8:9]
	v_cndmask_b32_e64 v24, 0, 0x3ff00000, vcc_lo
	v_cndmask_b32_e64 v17, 0, 1, vcc_lo
	s_waitcnt vmcnt(0)
	v_mul_f64 v[8:9], v[6:7], v[23:24]
	s_delay_alu instid0(VALU_DEP_1)
	v_mul_f64 v[8:9], v[31:32], v[8:9]
	global_store_b64 v[10:11], v[8:9], off
	global_store_b8 v[15:16], v17, off
	s_branch .LBB32_7
.LBB32_34:
	s_endpgm
.LBB32_35:
                                        ; implicit-def: $sgpr2_sgpr3
	s_branch .LBB32_4
	.section	.rodata,"a",@progbits
	.p2align	6, 0x0
	.amdhsa_kernel _ZN2at6native12_GLOBAL__N_120fused_dropout_kernelIddmLi1ELi1EbEEvNS_4cuda6detail10TensorInfoIKT_T1_EENS5_IS6_S8_EENS5_IT4_S8_EES8_T0_NS_15PhiloxCudaStateE
		.amdhsa_group_segment_fixed_size 0
		.amdhsa_private_segment_fixed_size 0
		.amdhsa_kernarg_size 1552
		.amdhsa_user_sgpr_count 15
		.amdhsa_user_sgpr_dispatch_ptr 0
		.amdhsa_user_sgpr_queue_ptr 0
		.amdhsa_user_sgpr_kernarg_segment_ptr 1
		.amdhsa_user_sgpr_dispatch_id 0
		.amdhsa_user_sgpr_private_segment_size 0
		.amdhsa_wavefront_size32 1
		.amdhsa_uses_dynamic_stack 0
		.amdhsa_enable_private_segment 0
		.amdhsa_system_sgpr_workgroup_id_x 1
		.amdhsa_system_sgpr_workgroup_id_y 0
		.amdhsa_system_sgpr_workgroup_id_z 0
		.amdhsa_system_sgpr_workgroup_info 0
		.amdhsa_system_vgpr_workitem_id 0
		.amdhsa_next_free_vgpr 78
		.amdhsa_next_free_sgpr 28
		.amdhsa_reserve_vcc 1
		.amdhsa_float_round_mode_32 0
		.amdhsa_float_round_mode_16_64 0
		.amdhsa_float_denorm_mode_32 3
		.amdhsa_float_denorm_mode_16_64 3
		.amdhsa_dx10_clamp 1
		.amdhsa_ieee_mode 1
		.amdhsa_fp16_overflow 0
		.amdhsa_workgroup_processor_mode 1
		.amdhsa_memory_ordered 1
		.amdhsa_forward_progress 0
		.amdhsa_shared_vgpr_count 0
		.amdhsa_exception_fp_ieee_invalid_op 0
		.amdhsa_exception_fp_denorm_src 0
		.amdhsa_exception_fp_ieee_div_zero 0
		.amdhsa_exception_fp_ieee_overflow 0
		.amdhsa_exception_fp_ieee_underflow 0
		.amdhsa_exception_fp_ieee_inexact 0
		.amdhsa_exception_int_div_zero 0
	.end_amdhsa_kernel
	.section	.text._ZN2at6native12_GLOBAL__N_120fused_dropout_kernelIddmLi1ELi1EbEEvNS_4cuda6detail10TensorInfoIKT_T1_EENS5_IS6_S8_EENS5_IT4_S8_EES8_T0_NS_15PhiloxCudaStateE,"axG",@progbits,_ZN2at6native12_GLOBAL__N_120fused_dropout_kernelIddmLi1ELi1EbEEvNS_4cuda6detail10TensorInfoIKT_T1_EENS5_IS6_S8_EENS5_IT4_S8_EES8_T0_NS_15PhiloxCudaStateE,comdat
.Lfunc_end32:
	.size	_ZN2at6native12_GLOBAL__N_120fused_dropout_kernelIddmLi1ELi1EbEEvNS_4cuda6detail10TensorInfoIKT_T1_EENS5_IS6_S8_EENS5_IT4_S8_EES8_T0_NS_15PhiloxCudaStateE, .Lfunc_end32-_ZN2at6native12_GLOBAL__N_120fused_dropout_kernelIddmLi1ELi1EbEEvNS_4cuda6detail10TensorInfoIKT_T1_EENS5_IS6_S8_EENS5_IT4_S8_EES8_T0_NS_15PhiloxCudaStateE
                                        ; -- End function
	.section	.AMDGPU.csdata,"",@progbits
; Kernel info:
; codeLenInByte = 3768
; NumSgprs: 30
; NumVgprs: 78
; ScratchSize: 0
; MemoryBound: 0
; FloatMode: 240
; IeeeMode: 1
; LDSByteSize: 0 bytes/workgroup (compile time only)
; SGPRBlocks: 3
; VGPRBlocks: 9
; NumSGPRsForWavesPerEU: 30
; NumVGPRsForWavesPerEU: 78
; Occupancy: 16
; WaveLimiterHint : 1
; COMPUTE_PGM_RSRC2:SCRATCH_EN: 0
; COMPUTE_PGM_RSRC2:USER_SGPR: 15
; COMPUTE_PGM_RSRC2:TRAP_HANDLER: 0
; COMPUTE_PGM_RSRC2:TGID_X_EN: 1
; COMPUTE_PGM_RSRC2:TGID_Y_EN: 0
; COMPUTE_PGM_RSRC2:TGID_Z_EN: 0
; COMPUTE_PGM_RSRC2:TIDIG_COMP_CNT: 0
	.section	.text._ZN2at6native12_GLOBAL__N_120fused_dropout_kernelIddmLin1ELi1EbEEvNS_4cuda6detail10TensorInfoIKT_T1_EENS5_IS6_S8_EENS5_IT4_S8_EES8_T0_NS_15PhiloxCudaStateE,"axG",@progbits,_ZN2at6native12_GLOBAL__N_120fused_dropout_kernelIddmLin1ELi1EbEEvNS_4cuda6detail10TensorInfoIKT_T1_EENS5_IS6_S8_EENS5_IT4_S8_EES8_T0_NS_15PhiloxCudaStateE,comdat
	.globl	_ZN2at6native12_GLOBAL__N_120fused_dropout_kernelIddmLin1ELi1EbEEvNS_4cuda6detail10TensorInfoIKT_T1_EENS5_IS6_S8_EENS5_IT4_S8_EES8_T0_NS_15PhiloxCudaStateE ; -- Begin function _ZN2at6native12_GLOBAL__N_120fused_dropout_kernelIddmLin1ELi1EbEEvNS_4cuda6detail10TensorInfoIKT_T1_EENS5_IS6_S8_EENS5_IT4_S8_EES8_T0_NS_15PhiloxCudaStateE
	.p2align	8
	.type	_ZN2at6native12_GLOBAL__N_120fused_dropout_kernelIddmLin1ELi1EbEEvNS_4cuda6detail10TensorInfoIKT_T1_EENS5_IS6_S8_EENS5_IT4_S8_EES8_T0_NS_15PhiloxCudaStateE,@function
_ZN2at6native12_GLOBAL__N_120fused_dropout_kernelIddmLin1ELi1EbEEvNS_4cuda6detail10TensorInfoIKT_T1_EENS5_IS6_S8_EENS5_IT4_S8_EES8_T0_NS_15PhiloxCudaStateE: ; @_ZN2at6native12_GLOBAL__N_120fused_dropout_kernelIddmLin1ELi1EbEEvNS_4cuda6detail10TensorInfoIKT_T1_EENS5_IS6_S8_EENS5_IT4_S8_EES8_T0_NS_15PhiloxCudaStateE
; %bb.0:
	s_clause 0x1
	s_load_b256 s[16:23], s[0:1], 0x4e0
	s_load_b32 s2, s[0:1], 0x508
	s_waitcnt lgkmcnt(0)
	v_dual_mov_b32 v1, s22 :: v_dual_mov_b32 v2, s23
	v_dual_mov_b32 v19, s20 :: v_dual_mov_b32 v20, s21
	s_bitcmp0_b32 s2, 0
	s_mov_b32 s2, 0
	s_cbranch_scc1 .LBB33_2
; %bb.1:
	v_dual_mov_b32 v1, s22 :: v_dual_mov_b32 v2, s23
	v_dual_mov_b32 v3, s20 :: v_dual_mov_b32 v4, s21
	s_load_b64 s[4:5], s[0:1], 0x500
	flat_load_b64 v[1:2], v[1:2]
	flat_load_b64 v[19:20], v[3:4]
	s_waitcnt vmcnt(1) lgkmcnt(0)
	v_add_co_u32 v1, vcc_lo, v1, s4
	v_add_co_ci_u32_e32 v2, vcc_lo, s5, v2, vcc_lo
.LBB33_2:
	s_clause 0x1
	s_load_b32 s3, s[0:1], 0x51c
	s_load_b32 s4, s[0:1], 0x510
	s_waitcnt lgkmcnt(0)
	s_and_b32 s5, s3, 0xffff
	s_add_u32 s6, s16, -1
	s_mul_i32 s28, s4, s5
	s_addc_u32 s3, s17, -1
	s_lshl_b32 s29, s28, 2
	s_cmp_lg_u64 s[2:3], 0
	s_cbranch_scc0 .LBB33_63
; %bb.3:
	v_cvt_f32_u32_e32 v3, s29
	s_sub_u32 s8, 0, s29
	s_subb_u32 s9, 0, 0
	s_delay_alu instid0(VALU_DEP_1) | instskip(NEXT) | instid1(VALU_DEP_1)
	v_fmamk_f32 v3, 0, 0x4f800000, v3
	v_rcp_f32_e32 v3, v3
	s_waitcnt_depctr 0xfff
	v_mul_f32_e32 v3, 0x5f7ffffc, v3
	s_delay_alu instid0(VALU_DEP_1) | instskip(NEXT) | instid1(VALU_DEP_1)
	v_mul_f32_e32 v4, 0x2f800000, v3
	v_trunc_f32_e32 v4, v4
	s_delay_alu instid0(VALU_DEP_1) | instskip(SKIP_1) | instid1(VALU_DEP_2)
	v_fmamk_f32 v3, v4, 0xcf800000, v3
	v_cvt_u32_f32_e32 v4, v4
	v_cvt_u32_f32_e32 v3, v3
	s_delay_alu instid0(VALU_DEP_2) | instskip(NEXT) | instid1(VALU_DEP_2)
	v_readfirstlane_b32 s2, v4
	v_readfirstlane_b32 s7, v3
	s_delay_alu instid0(VALU_DEP_2) | instskip(NEXT) | instid1(VALU_DEP_1)
	s_mul_i32 s10, s8, s2
	s_mul_hi_u32 s12, s8, s7
	s_mul_i32 s11, s9, s7
	s_add_i32 s10, s12, s10
	s_mul_i32 s13, s8, s7
	s_add_i32 s10, s10, s11
	s_mul_hi_u32 s12, s7, s13
	s_mul_hi_u32 s14, s2, s13
	s_mul_i32 s11, s2, s13
	s_mul_hi_u32 s13, s7, s10
	s_mul_i32 s7, s7, s10
	s_mul_hi_u32 s20, s2, s10
	s_add_u32 s7, s12, s7
	s_addc_u32 s12, 0, s13
	s_add_u32 s7, s7, s11
	s_mul_i32 s10, s2, s10
	s_addc_u32 s7, s12, s14
	s_addc_u32 s11, s20, 0
	s_add_u32 s7, s7, s10
	s_addc_u32 s10, 0, s11
	v_add_co_u32 v3, s7, v3, s7
	s_delay_alu instid0(VALU_DEP_1) | instskip(SKIP_1) | instid1(VALU_DEP_1)
	s_cmp_lg_u32 s7, 0
	s_addc_u32 s2, s2, s10
	v_readfirstlane_b32 s7, v3
	s_mul_i32 s10, s8, s2
	s_delay_alu instid0(VALU_DEP_1)
	s_mul_hi_u32 s11, s8, s7
	s_mul_i32 s9, s9, s7
	s_add_i32 s10, s11, s10
	s_mul_i32 s8, s8, s7
	s_add_i32 s10, s10, s9
	s_mul_hi_u32 s11, s2, s8
	s_mul_i32 s12, s2, s8
	s_mul_hi_u32 s8, s7, s8
	s_mul_hi_u32 s13, s7, s10
	s_mul_i32 s7, s7, s10
	s_mul_hi_u32 s9, s2, s10
	s_add_u32 s7, s8, s7
	s_addc_u32 s8, 0, s13
	s_add_u32 s7, s7, s12
	s_mul_i32 s10, s2, s10
	s_addc_u32 s7, s8, s11
	s_addc_u32 s8, s9, 0
	s_add_u32 s7, s7, s10
	s_addc_u32 s8, 0, s8
	v_add_co_u32 v3, s7, v3, s7
	s_delay_alu instid0(VALU_DEP_1) | instskip(SKIP_1) | instid1(VALU_DEP_1)
	s_cmp_lg_u32 s7, 0
	s_addc_u32 s2, s2, s8
	v_readfirstlane_b32 s7, v3
	s_mul_i32 s9, s6, s2
	s_mul_hi_u32 s8, s6, s2
	s_mul_hi_u32 s10, s3, s2
	s_mul_i32 s2, s3, s2
	s_mul_hi_u32 s11, s6, s7
	s_mul_hi_u32 s12, s3, s7
	s_mul_i32 s7, s3, s7
	s_add_u32 s9, s11, s9
	s_addc_u32 s8, 0, s8
	s_add_u32 s7, s9, s7
	s_addc_u32 s7, s8, s12
	s_addc_u32 s8, s10, 0
	s_add_u32 s2, s7, s2
	s_addc_u32 s8, 0, s8
	s_mul_i32 s9, s29, s2
	s_add_u32 s7, s2, 1
	v_sub_co_u32 v3, s9, s6, s9
	s_mul_hi_u32 s10, s29, s2
	s_addc_u32 s11, s8, 0
	s_mul_i32 s12, s29, s8
	s_delay_alu instid0(VALU_DEP_1)
	v_sub_co_u32 v4, s13, v3, s29
	s_add_u32 s14, s2, 2
	s_addc_u32 s20, s8, 0
	s_add_i32 s10, s10, s12
	s_cmp_lg_u32 s9, 0
	v_readfirstlane_b32 s9, v4
	s_subb_u32 s3, s3, s10
	s_cmp_lg_u32 s13, 0
	s_subb_u32 s10, s3, 0
	s_delay_alu instid0(VALU_DEP_1) | instskip(SKIP_4) | instid1(SALU_CYCLE_1)
	s_cmp_ge_u32 s9, s29
	s_cselect_b32 s9, -1, 0
	s_cmp_eq_u32 s10, 0
	v_readfirstlane_b32 s10, v3
	s_cselect_b32 s9, s9, -1
	s_cmp_lg_u32 s9, 0
	s_cselect_b32 s9, s14, s7
	s_cselect_b32 s11, s20, s11
	s_cmp_ge_u32 s10, s29
	s_cselect_b32 s7, -1, 0
	s_cmp_eq_u32 s3, 0
	s_cselect_b32 s3, s7, -1
	s_delay_alu instid0(SALU_CYCLE_1)
	s_cmp_lg_u32 s3, 0
	s_cselect_b32 s3, s11, s8
	s_cselect_b32 s2, s9, s2
	s_cbranch_execnz .LBB33_5
.LBB33_4:
	v_cvt_f32_u32_e32 v3, s29
	s_sub_i32 s3, 0, s29
	s_delay_alu instid0(VALU_DEP_1) | instskip(SKIP_2) | instid1(VALU_DEP_1)
	v_rcp_iflag_f32_e32 v3, v3
	s_waitcnt_depctr 0xfff
	v_mul_f32_e32 v3, 0x4f7ffffe, v3
	v_cvt_u32_f32_e32 v3, v3
	s_delay_alu instid0(VALU_DEP_1) | instskip(NEXT) | instid1(VALU_DEP_1)
	v_readfirstlane_b32 s2, v3
	s_mul_i32 s3, s3, s2
	s_delay_alu instid0(SALU_CYCLE_1) | instskip(NEXT) | instid1(SALU_CYCLE_1)
	s_mul_hi_u32 s3, s2, s3
	s_add_i32 s2, s2, s3
	s_delay_alu instid0(SALU_CYCLE_1) | instskip(NEXT) | instid1(SALU_CYCLE_1)
	s_mul_hi_u32 s2, s6, s2
	s_mul_i32 s3, s2, s29
	s_delay_alu instid0(SALU_CYCLE_1)
	s_sub_i32 s3, s6, s3
	s_add_i32 s6, s2, 1
	s_sub_i32 s7, s3, s29
	s_cmp_ge_u32 s3, s29
	s_cselect_b32 s2, s6, s2
	s_cselect_b32 s3, s7, s3
	s_add_i32 s6, s2, 1
	s_cmp_ge_u32 s3, s29
	s_mov_b32 s3, 0
	s_cselect_b32 s2, s6, s2
.LBB33_5:
	s_delay_alu instid0(SALU_CYCLE_1)
	s_add_u32 s2, s2, 1
	s_addc_u32 s3, s3, 0
	v_mov_b32_e32 v23, 0
	v_mad_u64_u32 v[21:22], null, s15, s5, v[0:1]
	s_mul_i32 s3, s28, s3
	s_mul_hi_u32 s6, s28, s2
	s_mul_hi_u32 s4, s4, s5
	s_add_i32 s3, s6, s3
	s_mul_i32 s4, s4, s2
	v_mov_b32_e32 v22, v23
	s_add_i32 s3, s3, s4
	s_mul_i32 s2, s28, s2
	s_delay_alu instid0(SALU_CYCLE_1)
	s_lshl_b64 s[6:7], s[2:3], 2
	s_mov_b32 s2, exec_lo
	v_cmpx_gt_u64_e64 s[6:7], v[21:22]
	s_cbranch_execz .LBB33_62
; %bb.6:
	v_div_scale_f64 v[3:4], null, s[18:19], s[18:19], 1.0
	v_div_scale_f64 v[9:10], vcc_lo, 1.0, s[18:19], 1.0
	v_alignbit_b32 v36, v2, v1, 2
	v_lshrrev_b32_e32 v37, 2, v2
	s_waitcnt vmcnt(0)
	v_add_co_u32 v39, null, 0x9e3779b9, v19
	v_dual_mov_b32 v24, v20 :: v_dual_add_nc_u32 v55, 0x96a522ad, v20
	v_mad_u64_u32 v[13:14], null, 0xd2511f53, v36, 0
	v_add_co_u32 v40, null, 0x3c6ef372, v19
	s_delay_alu instid0(VALU_DEP_3) | instskip(SKIP_1) | instid1(VALU_DEP_4)
	v_add_co_u32 v38, null, 0xbb67ae85, v24
	v_add_co_u32 v41, null, 0x76cf5d0a, v24
	v_xor_b32_e32 v2, v14, v20
	v_add_co_u32 v42, null, 0x32370b8f, v24
	v_add_co_u32 v43, null, 0xdaa66d2b, v19
	s_delay_alu instid0(VALU_DEP_3)
	v_mad_u64_u32 v[16:17], null, 0xcd9e8d57, v2, 0
	v_add_co_u32 v44, null, 0x78dde6e4, v19
	v_add_co_u32 v45, null, 0xed9eba14, v24
	;; [unrolled: 1-line block ×7, first 2 shown]
	v_rcp_f64_e32 v[5:6], v[3:4]
	v_add_co_u32 v51, null, 0x5384540f, v19
	s_clause 0x1
	s_load_b32 s22, s[0:1], 0x198
	s_load_b64 s[8:9], s[0:1], 0x1a0
	v_add_co_u32 v52, null, 0xdb3d7428, v24
	v_add_co_u32 v53, null, 0xf1bbcdc8, v19
	s_clause 0x3
	s_load_b64 s[10:11], s[0:1], 0x270
	s_load_b64 s[12:13], s[0:1], 0x340
	;; [unrolled: 1-line block ×4, first 2 shown]
	s_mov_b32 s5, 0
	v_mov_b32_e32 v28, v22
	v_dual_mov_b32 v27, v21 :: v_dual_and_b32 v56, 3, v1
	v_mov_b32_e32 v22, 0
	s_mul_i32 s33, s28, 3
	s_waitcnt lgkmcnt(0)
	s_cmp_gt_i32 s22, 1
	s_cselect_b32 s30, -1, 0
	s_add_i32 s4, s22, -1
	s_lshl_b32 s31, s28, 1
	s_lshl_b64 s[2:3], s[4:5], 3
	s_add_i32 s34, s22, 1
	s_add_u32 s0, s2, s0
	s_addc_u32 s1, s3, s1
	s_add_u32 s22, s0, 8
	s_addc_u32 s23, s1, 0
	s_delay_alu instid0(TRANS32_DEP_1) | instskip(NEXT) | instid1(VALU_DEP_1)
	v_fma_f64 v[7:8], -v[3:4], v[5:6], 1.0
	v_fma_f64 v[5:6], v[5:6], v[7:8], v[5:6]
	s_delay_alu instid0(VALU_DEP_1) | instskip(NEXT) | instid1(VALU_DEP_1)
	v_fma_f64 v[7:8], -v[3:4], v[5:6], 1.0
	v_fma_f64 v[5:6], v[5:6], v[7:8], v[5:6]
	v_mad_u64_u32 v[7:8], null, 0xcd9e8d57, v21, 0
	s_delay_alu instid0(VALU_DEP_1) | instskip(NEXT) | instid1(VALU_DEP_2)
	v_xor3_b32 v0, v19, v8, v37
	v_xor3_b32 v2, v17, v39, v7
	s_delay_alu instid0(VALU_DEP_2) | instskip(NEXT) | instid1(VALU_DEP_2)
	v_mad_u64_u32 v[14:15], null, 0xd2511f53, v0, 0
	v_mad_u64_u32 v[17:18], null, 0xd2511f53, v2, 0
	s_delay_alu instid0(VALU_DEP_2) | instskip(NEXT) | instid1(VALU_DEP_2)
	v_xor3_b32 v0, v38, v15, v13
	v_xor3_b32 v15, v18, v41, v14
	s_delay_alu instid0(VALU_DEP_2) | instskip(NEXT) | instid1(VALU_DEP_2)
	v_mad_u64_u32 v[7:8], null, 0xcd9e8d57, v0, 0
	v_mad_u64_u32 v[13:14], null, 0xcd9e8d57, v15, 0
	s_delay_alu instid0(VALU_DEP_2) | instskip(SKIP_1) | instid1(VALU_DEP_1)
	v_xor3_b32 v0, v40, v8, v16
	v_mul_f64 v[11:12], v[9:10], v[5:6]
	v_fma_f64 v[2:3], -v[3:4], v[11:12], v[9:10]
	s_delay_alu instid0(VALU_DEP_3) | instskip(SKIP_1) | instid1(VALU_DEP_1)
	v_mad_u64_u32 v[8:9], null, 0xd2511f53, v0, 0
	v_xor3_b32 v4, v14, v43, v7
	v_mad_u64_u32 v[14:15], null, 0xd2511f53, v4, 0
	s_delay_alu instid0(VALU_DEP_3) | instskip(NEXT) | instid1(VALU_DEP_1)
	v_xor3_b32 v0, v42, v9, v17
	v_mad_u64_u32 v[9:10], null, 0xcd9e8d57, v0, 0
	s_delay_alu instid0(VALU_DEP_3) | instskip(NEXT) | instid1(VALU_DEP_1)
	;; [unrolled: 3-line block ×3, first 2 shown]
	v_xor3_b32 v0, v44, v10, v13
	v_mad_u64_u32 v[7:8], null, 0xd2511f53, v0, 0
	s_delay_alu instid0(VALU_DEP_1) | instskip(SKIP_2) | instid1(VALU_DEP_3)
	v_xor3_b32 v0, v47, v8, v14
	v_div_fmas_f64 v[2:3], v[2:3], v[5:6], v[11:12]
	v_xor3_b32 v6, v16, v46, v9
	v_mad_u64_u32 v[4:5], null, 0xcd9e8d57, v0, 0
	s_delay_alu instid0(VALU_DEP_2) | instskip(NEXT) | instid1(VALU_DEP_2)
	v_mad_u64_u32 v[8:9], null, 0xd2511f53, v6, 0
	v_xor3_b32 v0, v48, v5, v15
	s_delay_alu instid0(VALU_DEP_2) | instskip(NEXT) | instid1(VALU_DEP_2)
	v_xor3_b32 v7, v9, v49, v7
	v_mad_u64_u32 v[5:6], null, 0xd2511f53, v0, 0
	s_delay_alu instid0(VALU_DEP_2) | instskip(NEXT) | instid1(VALU_DEP_2)
	v_mad_u64_u32 v[9:10], null, 0xcd9e8d57, v7, 0
	v_xor3_b32 v0, v50, v6, v8
	s_delay_alu instid0(VALU_DEP_2) | instskip(NEXT) | instid1(VALU_DEP_2)
	v_xor3_b32 v4, v10, v51, v4
	v_mad_u64_u32 v[6:7], null, 0xcd9e8d57, v0, 0
	s_delay_alu instid0(VALU_DEP_2) | instskip(NEXT) | instid1(VALU_DEP_2)
	v_mad_u64_u32 v[11:12], null, 0xd2511f53, v4, 0
	v_xor3_b32 v4, v53, v7, v9
	v_div_fixup_f64 v[25:26], v[2:3], s[18:19], 1.0
	s_delay_alu instid0(VALU_DEP_3) | instskip(NEXT) | instid1(VALU_DEP_3)
	v_xor3_b32 v0, v12, v52, v5
	v_mad_u64_u32 v[2:3], null, 0xd2511f53, v4, 0
	s_delay_alu instid0(VALU_DEP_2) | instskip(SKIP_1) | instid1(VALU_DEP_1)
	v_mad_u64_u32 v[9:10], null, 0xcd9e8d57, v0, 0
	v_add_nc_u32_e32 v54, 0x8ff34781, v19
	v_xor3_b32 v8, v6, v10, v54
	s_delay_alu instid0(VALU_DEP_4)
	v_xor3_b32 v10, v3, v11, v55
	v_mov_b32_e32 v11, v2
                                        ; implicit-def: $vgpr0_vgpr1_vgpr2_vgpr3_vgpr4_vgpr5_vgpr6_vgpr7
	s_branch .LBB33_8
.LBB33_7:                               ;   in Loop: Header=BB33_8 Depth=1
	s_or_b32 exec_lo, exec_lo, s1
	v_add_co_u32 v27, vcc_lo, v27, s29
	v_add_co_ci_u32_e32 v28, vcc_lo, 0, v28, vcc_lo
	v_mov_b32_e32 v15, v29
	v_dual_mov_b32 v8, v12 :: v_dual_mov_b32 v9, v13
	s_delay_alu instid0(VALU_DEP_3) | instskip(NEXT) | instid1(VALU_DEP_3)
	v_cmp_le_u64_e32 vcc_lo, s[6:7], v[27:28]
	v_dual_mov_b32 v10, v14 :: v_dual_mov_b32 v11, v15
	s_waitcnt vmcnt(0)
	s_waitcnt_vscnt null, 0x0
	s_barrier
	buffer_gl0_inv
	s_or_b32 s5, vcc_lo, s5
	s_delay_alu instid0(SALU_CYCLE_1)
	s_and_not1_b32 exec_lo, exec_lo, s5
	s_cbranch_execz .LBB33_62
.LBB33_8:                               ; =>This Loop Header: Depth=1
                                        ;     Child Loop BB33_20 Depth 2
                                        ;     Child Loop BB33_29 Depth 2
	;; [unrolled: 1-line block ×4, first 2 shown]
	v_add_co_u32 v36, vcc_lo, v36, 1
	s_delay_alu instid0(VALU_DEP_1) | instskip(SKIP_2) | instid1(VALU_DEP_1)
	v_cndmask_b32_e64 v12, 0, 1, vcc_lo
	v_add_co_ci_u32_e32 v37, vcc_lo, 0, v37, vcc_lo
	s_mov_b32 s0, exec_lo
	v_cmp_eq_u32_e32 vcc_lo, 0, v37
	s_delay_alu instid0(VALU_DEP_3) | instskip(NEXT) | instid1(VALU_DEP_1)
	v_cndmask_b32_e32 v12, 0, v12, vcc_lo
	v_add_nc_u32_e32 v21, v12, v21
	s_delay_alu instid0(VALU_DEP_1) | instskip(SKIP_2) | instid1(VALU_DEP_2)
	v_cmp_eq_u32_e32 vcc_lo, 0, v21
	v_cndmask_b32_e32 v12, 0, v12, vcc_lo
	v_mad_u64_u32 v[14:15], null, 0xcd9e8d57, v21, 0
	v_add_nc_u32_e32 v22, v12, v22
	v_mad_u64_u32 v[12:13], null, 0xd2511f53, v36, 0
	s_delay_alu instid0(VALU_DEP_3) | instskip(NEXT) | instid1(VALU_DEP_2)
	v_xor3_b32 v17, v15, v19, v37
	v_xor_b32_e32 v13, v13, v20
	s_delay_alu instid0(VALU_DEP_2) | instskip(NEXT) | instid1(VALU_DEP_2)
	v_mad_u64_u32 v[15:16], null, 0xd2511f53, v17, 0
	v_xor_b32_e32 v13, v22, v13
	s_delay_alu instid0(VALU_DEP_2) | instskip(NEXT) | instid1(VALU_DEP_2)
	v_xor3_b32 v16, v38, v16, v12
	v_mad_u64_u32 v[17:18], null, 0xcd9e8d57, v13, 0
	s_delay_alu instid0(VALU_DEP_2) | instskip(NEXT) | instid1(VALU_DEP_2)
	v_mad_u64_u32 v[12:13], null, 0xcd9e8d57, v16, 0
	v_xor3_b32 v14, v39, v18, v14
	s_delay_alu instid0(VALU_DEP_2) | instskip(NEXT) | instid1(VALU_DEP_2)
	v_xor3_b32 v16, v40, v13, v17
	v_mad_u64_u32 v[29:30], null, 0xd2511f53, v14, 0
	s_delay_alu instid0(VALU_DEP_2) | instskip(NEXT) | instid1(VALU_DEP_2)
	v_mad_u64_u32 v[13:14], null, 0xd2511f53, v16, 0
	v_xor3_b32 v17, v41, v30, v15
	s_delay_alu instid0(VALU_DEP_2) | instskip(NEXT) | instid1(VALU_DEP_2)
	v_xor3_b32 v14, v42, v14, v29
	v_mad_u64_u32 v[15:16], null, 0xcd9e8d57, v17, 0
	s_delay_alu instid0(VALU_DEP_1) | instskip(NEXT) | instid1(VALU_DEP_3)
	v_xor3_b32 v12, v43, v16, v12
	v_mad_u64_u32 v[16:17], null, 0xcd9e8d57, v14, 0
	s_delay_alu instid0(VALU_DEP_2) | instskip(NEXT) | instid1(VALU_DEP_2)
	v_mad_u64_u32 v[29:30], null, 0xd2511f53, v12, 0
	v_xor3_b32 v14, v44, v17, v15
	s_delay_alu instid0(VALU_DEP_2) | instskip(NEXT) | instid1(VALU_DEP_2)
	v_xor3_b32 v17, v45, v30, v13
	v_mad_u64_u32 v[12:13], null, 0xd2511f53, v14, 0
	s_delay_alu instid0(VALU_DEP_2) | instskip(NEXT) | instid1(VALU_DEP_2)
	v_mad_u64_u32 v[14:15], null, 0xcd9e8d57, v17, 0
	v_xor3_b32 v13, v47, v13, v29
	s_delay_alu instid0(VALU_DEP_2) | instskip(NEXT) | instid1(VALU_DEP_2)
	;; [unrolled: 6-line block ×6, first 2 shown]
	v_xor3_b32 v12, v14, v15, v54
	v_mov_b32_e32 v14, v18
	v_cmpx_lt_i32_e32 1, v56
	s_xor_b32 s0, exec_lo, s0
	s_cbranch_execnz .LBB33_11
; %bb.9:                                ;   in Loop: Header=BB33_8 Depth=1
	s_and_not1_saveexec_b32 s0, s0
	s_cbranch_execnz .LBB33_16
.LBB33_10:                              ;   in Loop: Header=BB33_8 Depth=1
	s_or_b32 exec_lo, exec_lo, s0
	v_cmp_gt_u64_e64 s0, s[16:17], v[27:28]
	s_delay_alu instid0(VALU_DEP_1)
	s_and_saveexec_b32 s4, s0
	s_cbranch_execnz .LBB33_19
	s_branch .LBB33_27
.LBB33_11:                              ;   in Loop: Header=BB33_8 Depth=1
	s_mov_b32 s1, exec_lo
	v_cmpx_lt_i32_e32 2, v56
	s_xor_b32 s1, exec_lo, s1
; %bb.12:                               ;   in Loop: Header=BB33_8 Depth=1
	v_dual_mov_b32 v15, v11 :: v_dual_mov_b32 v16, v12
	v_mov_b32_e32 v17, v13
	s_delay_alu instid0(VALU_DEP_2) | instskip(NEXT) | instid1(VALU_DEP_2)
	v_dual_mov_b32 v8, v15 :: v_dual_mov_b32 v9, v16
	v_dual_mov_b32 v10, v17 :: v_dual_mov_b32 v11, v18
; %bb.13:                               ;   in Loop: Header=BB33_8 Depth=1
	s_and_not1_saveexec_b32 s1, s1
; %bb.14:                               ;   in Loop: Header=BB33_8 Depth=1
	s_delay_alu instid0(VALU_DEP_1)
	v_dual_mov_b32 v8, v10 :: v_dual_mov_b32 v9, v11
	v_dual_mov_b32 v10, v12 :: v_dual_mov_b32 v11, v13
; %bb.15:                               ;   in Loop: Header=BB33_8 Depth=1
	s_or_b32 exec_lo, exec_lo, s1
	s_and_not1_saveexec_b32 s0, s0
	s_cbranch_execz .LBB33_10
.LBB33_16:                              ;   in Loop: Header=BB33_8 Depth=1
	s_mov_b32 s1, exec_lo
	v_cmpx_eq_u32_e32 1, v56
; %bb.17:                               ;   in Loop: Header=BB33_8 Depth=1
	v_dual_mov_b32 v8, v9 :: v_dual_mov_b32 v9, v10
	v_dual_mov_b32 v10, v11 :: v_dual_mov_b32 v11, v12
; %bb.18:                               ;   in Loop: Header=BB33_8 Depth=1
	s_or_b32 exec_lo, exec_lo, s1
	s_delay_alu instid0(SALU_CYCLE_1) | instskip(SKIP_1) | instid1(VALU_DEP_1)
	s_or_b32 exec_lo, exec_lo, s0
	v_cmp_gt_u64_e64 s0, s[16:17], v[27:28]
	s_and_saveexec_b32 s4, s0
	s_cbranch_execz .LBB33_27
.LBB33_19:                              ;   in Loop: Header=BB33_8 Depth=1
	v_dual_mov_b32 v0, 0 :: v_dual_mov_b32 v15, v27
	v_dual_mov_b32 v1, 0 :: v_dual_mov_b32 v16, v28
	;; [unrolled: 1-line block ×3, first 2 shown]
	s_and_not1_b32 vcc_lo, exec_lo, s30
	s_mov_b64 s[2:3], s[22:23]
	s_mov_b32 s26, s34
	s_cbranch_vccnz .LBB33_26
.LBB33_20:                              ;   Parent Loop BB33_8 Depth=1
                                        ; =>  This Inner Loop Header: Depth=2
	s_load_b64 s[24:25], s[2:3], 0x0
                                        ; implicit-def: $vgpr17_vgpr18
	s_mov_b32 s1, exec_lo
	s_waitcnt lgkmcnt(0)
	v_or_b32_e32 v24, s25, v16
	s_delay_alu instid0(VALU_DEP_1)
	v_cmpx_ne_u64_e32 0, v[23:24]
	s_xor_b32 s27, exec_lo, s1
	s_cbranch_execz .LBB33_22
; %bb.21:                               ;   in Loop: Header=BB33_20 Depth=2
	v_cvt_f32_u32_e32 v17, s24
	v_cvt_f32_u32_e32 v18, s25
	s_sub_u32 s1, 0, s24
	s_subb_u32 s35, 0, s25
	s_delay_alu instid0(VALU_DEP_1) | instskip(NEXT) | instid1(VALU_DEP_1)
	v_fmac_f32_e32 v17, 0x4f800000, v18
	v_rcp_f32_e32 v17, v17
	s_waitcnt_depctr 0xfff
	v_mul_f32_e32 v17, 0x5f7ffffc, v17
	s_delay_alu instid0(VALU_DEP_1) | instskip(NEXT) | instid1(VALU_DEP_1)
	v_mul_f32_e32 v18, 0x2f800000, v17
	v_trunc_f32_e32 v18, v18
	s_delay_alu instid0(VALU_DEP_1) | instskip(SKIP_1) | instid1(VALU_DEP_2)
	v_fmac_f32_e32 v17, 0xcf800000, v18
	v_cvt_u32_f32_e32 v18, v18
	v_cvt_u32_f32_e32 v17, v17
	s_delay_alu instid0(VALU_DEP_2) | instskip(NEXT) | instid1(VALU_DEP_2)
	v_mul_lo_u32 v24, s1, v18
	v_mul_hi_u32 v30, s1, v17
	v_mul_lo_u32 v31, s35, v17
	s_delay_alu instid0(VALU_DEP_2) | instskip(SKIP_1) | instid1(VALU_DEP_2)
	v_add_nc_u32_e32 v24, v30, v24
	v_mul_lo_u32 v30, s1, v17
	v_add_nc_u32_e32 v24, v24, v31
	s_delay_alu instid0(VALU_DEP_2) | instskip(NEXT) | instid1(VALU_DEP_2)
	v_mul_hi_u32 v31, v17, v30
	v_mul_lo_u32 v32, v17, v24
	v_mul_hi_u32 v33, v17, v24
	v_mul_hi_u32 v34, v18, v30
	v_mul_lo_u32 v30, v18, v30
	v_mul_hi_u32 v35, v18, v24
	v_mul_lo_u32 v24, v18, v24
	v_add_co_u32 v31, vcc_lo, v31, v32
	v_add_co_ci_u32_e32 v32, vcc_lo, 0, v33, vcc_lo
	s_delay_alu instid0(VALU_DEP_2) | instskip(NEXT) | instid1(VALU_DEP_2)
	v_add_co_u32 v30, vcc_lo, v31, v30
	v_add_co_ci_u32_e32 v30, vcc_lo, v32, v34, vcc_lo
	v_add_co_ci_u32_e32 v31, vcc_lo, 0, v35, vcc_lo
	s_delay_alu instid0(VALU_DEP_2) | instskip(NEXT) | instid1(VALU_DEP_2)
	v_add_co_u32 v24, vcc_lo, v30, v24
	v_add_co_ci_u32_e32 v30, vcc_lo, 0, v31, vcc_lo
	s_delay_alu instid0(VALU_DEP_2) | instskip(NEXT) | instid1(VALU_DEP_2)
	v_add_co_u32 v17, vcc_lo, v17, v24
	v_add_co_ci_u32_e32 v18, vcc_lo, v18, v30, vcc_lo
	s_delay_alu instid0(VALU_DEP_2) | instskip(SKIP_1) | instid1(VALU_DEP_3)
	v_mul_hi_u32 v24, s1, v17
	v_mul_lo_u32 v31, s35, v17
	v_mul_lo_u32 v30, s1, v18
	s_delay_alu instid0(VALU_DEP_1) | instskip(SKIP_1) | instid1(VALU_DEP_2)
	v_add_nc_u32_e32 v24, v24, v30
	v_mul_lo_u32 v30, s1, v17
	v_add_nc_u32_e32 v24, v24, v31
	s_delay_alu instid0(VALU_DEP_2) | instskip(NEXT) | instid1(VALU_DEP_2)
	v_mul_hi_u32 v31, v17, v30
	v_mul_lo_u32 v32, v17, v24
	v_mul_hi_u32 v33, v17, v24
	v_mul_hi_u32 v34, v18, v30
	v_mul_lo_u32 v30, v18, v30
	v_mul_hi_u32 v35, v18, v24
	v_mul_lo_u32 v24, v18, v24
	v_add_co_u32 v31, vcc_lo, v31, v32
	v_add_co_ci_u32_e32 v32, vcc_lo, 0, v33, vcc_lo
	s_delay_alu instid0(VALU_DEP_2) | instskip(NEXT) | instid1(VALU_DEP_2)
	v_add_co_u32 v30, vcc_lo, v31, v30
	v_add_co_ci_u32_e32 v30, vcc_lo, v32, v34, vcc_lo
	v_add_co_ci_u32_e32 v31, vcc_lo, 0, v35, vcc_lo
	s_delay_alu instid0(VALU_DEP_2) | instskip(NEXT) | instid1(VALU_DEP_2)
	v_add_co_u32 v24, vcc_lo, v30, v24
	v_add_co_ci_u32_e32 v30, vcc_lo, 0, v31, vcc_lo
	s_delay_alu instid0(VALU_DEP_2) | instskip(NEXT) | instid1(VALU_DEP_2)
	v_add_co_u32 v24, vcc_lo, v17, v24
	v_add_co_ci_u32_e32 v34, vcc_lo, v18, v30, vcc_lo
	s_delay_alu instid0(VALU_DEP_2) | instskip(SKIP_1) | instid1(VALU_DEP_3)
	v_mul_hi_u32 v35, v15, v24
	v_mad_u64_u32 v[30:31], null, v16, v24, 0
	v_mad_u64_u32 v[17:18], null, v15, v34, 0
	v_mad_u64_u32 v[32:33], null, v16, v34, 0
	s_delay_alu instid0(VALU_DEP_2) | instskip(NEXT) | instid1(VALU_DEP_3)
	v_add_co_u32 v17, vcc_lo, v35, v17
	v_add_co_ci_u32_e32 v18, vcc_lo, 0, v18, vcc_lo
	s_delay_alu instid0(VALU_DEP_2) | instskip(NEXT) | instid1(VALU_DEP_2)
	v_add_co_u32 v17, vcc_lo, v17, v30
	v_add_co_ci_u32_e32 v17, vcc_lo, v18, v31, vcc_lo
	v_add_co_ci_u32_e32 v18, vcc_lo, 0, v33, vcc_lo
	s_delay_alu instid0(VALU_DEP_2) | instskip(NEXT) | instid1(VALU_DEP_2)
	v_add_co_u32 v24, vcc_lo, v17, v32
	v_add_co_ci_u32_e32 v30, vcc_lo, 0, v18, vcc_lo
	s_delay_alu instid0(VALU_DEP_2) | instskip(SKIP_1) | instid1(VALU_DEP_3)
	v_mul_lo_u32 v31, s25, v24
	v_mad_u64_u32 v[17:18], null, s24, v24, 0
	v_mul_lo_u32 v32, s24, v30
	s_delay_alu instid0(VALU_DEP_2) | instskip(NEXT) | instid1(VALU_DEP_2)
	v_sub_co_u32 v17, vcc_lo, v15, v17
	v_add3_u32 v18, v18, v32, v31
	s_delay_alu instid0(VALU_DEP_1) | instskip(NEXT) | instid1(VALU_DEP_1)
	v_sub_nc_u32_e32 v31, v16, v18
	v_subrev_co_ci_u32_e64 v31, s1, s25, v31, vcc_lo
	v_add_co_u32 v32, s1, v24, 2
	s_delay_alu instid0(VALU_DEP_1) | instskip(SKIP_3) | instid1(VALU_DEP_3)
	v_add_co_ci_u32_e64 v33, s1, 0, v30, s1
	v_sub_co_u32 v34, s1, v17, s24
	v_sub_co_ci_u32_e32 v18, vcc_lo, v16, v18, vcc_lo
	v_subrev_co_ci_u32_e64 v31, s1, 0, v31, s1
	v_cmp_le_u32_e32 vcc_lo, s24, v34
	s_delay_alu instid0(VALU_DEP_3) | instskip(SKIP_1) | instid1(VALU_DEP_4)
	v_cmp_eq_u32_e64 s1, s25, v18
	v_cndmask_b32_e64 v34, 0, -1, vcc_lo
	v_cmp_le_u32_e32 vcc_lo, s25, v31
	v_cndmask_b32_e64 v35, 0, -1, vcc_lo
	v_cmp_le_u32_e32 vcc_lo, s24, v17
	v_cndmask_b32_e64 v17, 0, -1, vcc_lo
	v_cmp_le_u32_e32 vcc_lo, s25, v18
	v_cndmask_b32_e64 v57, 0, -1, vcc_lo
	v_cmp_eq_u32_e32 vcc_lo, s25, v31
	s_delay_alu instid0(VALU_DEP_2) | instskip(SKIP_3) | instid1(VALU_DEP_3)
	v_cndmask_b32_e64 v17, v57, v17, s1
	v_cndmask_b32_e32 v31, v35, v34, vcc_lo
	v_add_co_u32 v34, vcc_lo, v24, 1
	v_add_co_ci_u32_e32 v35, vcc_lo, 0, v30, vcc_lo
	v_cmp_ne_u32_e32 vcc_lo, 0, v31
	s_delay_alu instid0(VALU_DEP_2) | instskip(SKIP_1) | instid1(VALU_DEP_2)
	v_dual_cndmask_b32 v31, v34, v32 :: v_dual_cndmask_b32 v18, v35, v33
	v_cmp_ne_u32_e32 vcc_lo, 0, v17
	v_dual_cndmask_b32 v17, v24, v31 :: v_dual_cndmask_b32 v18, v30, v18
.LBB33_22:                              ;   in Loop: Header=BB33_20 Depth=2
	s_and_not1_saveexec_b32 s1, s27
	s_cbranch_execz .LBB33_24
; %bb.23:                               ;   in Loop: Header=BB33_20 Depth=2
	v_cvt_f32_u32_e32 v17, s24
	s_sub_i32 s27, 0, s24
	s_delay_alu instid0(VALU_DEP_1) | instskip(SKIP_2) | instid1(VALU_DEP_1)
	v_rcp_iflag_f32_e32 v17, v17
	s_waitcnt_depctr 0xfff
	v_mul_f32_e32 v17, 0x4f7ffffe, v17
	v_cvt_u32_f32_e32 v17, v17
	s_delay_alu instid0(VALU_DEP_1) | instskip(NEXT) | instid1(VALU_DEP_1)
	v_mul_lo_u32 v18, s27, v17
	v_mul_hi_u32 v18, v17, v18
	s_delay_alu instid0(VALU_DEP_1) | instskip(NEXT) | instid1(VALU_DEP_1)
	v_add_nc_u32_e32 v17, v17, v18
	v_mul_hi_u32 v17, v15, v17
	s_delay_alu instid0(VALU_DEP_1) | instskip(SKIP_1) | instid1(VALU_DEP_2)
	v_mul_lo_u32 v18, v17, s24
	v_add_nc_u32_e32 v24, 1, v17
	v_sub_nc_u32_e32 v18, v15, v18
	s_delay_alu instid0(VALU_DEP_1) | instskip(SKIP_1) | instid1(VALU_DEP_2)
	v_subrev_nc_u32_e32 v30, s24, v18
	v_cmp_le_u32_e32 vcc_lo, s24, v18
	v_dual_cndmask_b32 v18, v18, v30 :: v_dual_cndmask_b32 v17, v17, v24
	s_delay_alu instid0(VALU_DEP_1) | instskip(SKIP_1) | instid1(VALU_DEP_3)
	v_cmp_le_u32_e32 vcc_lo, s24, v18
	v_mov_b32_e32 v18, v23
	v_add_nc_u32_e32 v24, 1, v17
	s_delay_alu instid0(VALU_DEP_1)
	v_cndmask_b32_e32 v17, v17, v24, vcc_lo
.LBB33_24:                              ;   in Loop: Header=BB33_20 Depth=2
	s_or_b32 exec_lo, exec_lo, s1
	s_load_b64 s[36:37], s[2:3], 0xc8
	v_mul_lo_u32 v24, v18, s24
	s_delay_alu instid0(VALU_DEP_2)
	v_mul_lo_u32 v32, v17, s25
	v_mad_u64_u32 v[30:31], null, v17, s24, 0
	s_add_i32 s26, s26, -1
	s_add_u32 s2, s2, -8
	s_addc_u32 s3, s3, -1
	s_cmp_gt_u32 s26, 2
	s_delay_alu instid0(VALU_DEP_1) | instskip(NEXT) | instid1(VALU_DEP_2)
	v_add3_u32 v24, v31, v32, v24
	v_sub_co_u32 v30, vcc_lo, v15, v30
	s_delay_alu instid0(VALU_DEP_2) | instskip(SKIP_1) | instid1(VALU_DEP_2)
	v_sub_co_ci_u32_e32 v15, vcc_lo, v16, v24, vcc_lo
	s_waitcnt lgkmcnt(0)
	v_mul_lo_u32 v31, s37, v30
	s_delay_alu instid0(VALU_DEP_2) | instskip(SKIP_1) | instid1(VALU_DEP_1)
	v_mul_lo_u32 v24, s36, v15
	v_mad_u64_u32 v[15:16], null, s36, v30, v[0:1]
	v_add3_u32 v1, v31, v16, v24
	s_delay_alu instid0(VALU_DEP_2)
	v_mov_b32_e32 v0, v15
	s_cbranch_scc0 .LBB33_26
; %bb.25:                               ;   in Loop: Header=BB33_20 Depth=2
	v_dual_mov_b32 v15, v17 :: v_dual_mov_b32 v16, v18
	s_branch .LBB33_20
.LBB33_26:                              ;   in Loop: Header=BB33_8 Depth=1
	v_mul_lo_u32 v24, s15, v17
	v_mul_lo_u32 v18, s14, v18
	v_mad_u64_u32 v[15:16], null, s14, v17, 0
	v_lshlrev_b64 v[0:1], 3, v[0:1]
	s_delay_alu instid0(VALU_DEP_2) | instskip(NEXT) | instid1(VALU_DEP_1)
	v_add3_u32 v16, v16, v18, v24
	v_lshlrev_b64 v[15:16], 3, v[15:16]
	s_delay_alu instid0(VALU_DEP_1) | instskip(NEXT) | instid1(VALU_DEP_2)
	v_add_co_u32 v15, vcc_lo, s20, v15
	v_add_co_ci_u32_e32 v16, vcc_lo, s21, v16, vcc_lo
	s_delay_alu instid0(VALU_DEP_2) | instskip(NEXT) | instid1(VALU_DEP_2)
	v_add_co_u32 v0, vcc_lo, v15, v0
	v_add_co_ci_u32_e32 v1, vcc_lo, v16, v1, vcc_lo
	global_load_b64 v[0:1], v[0:1], off
.LBB33_27:                              ;   in Loop: Header=BB33_8 Depth=1
	s_or_b32 exec_lo, exec_lo, s4
	v_add_co_u32 v15, vcc_lo, v27, s28
	v_add_co_ci_u32_e32 v16, vcc_lo, 0, v28, vcc_lo
	s_delay_alu instid0(VALU_DEP_1) | instskip(NEXT) | instid1(VALU_DEP_1)
	v_cmp_gt_u64_e64 s1, s[16:17], v[15:16]
	s_and_saveexec_b32 s3, s1
	s_cbranch_execz .LBB33_36
; %bb.28:                               ;   in Loop: Header=BB33_8 Depth=1
	v_mov_b32_e32 v2, 0
	v_dual_mov_b32 v3, 0 :: v_dual_mov_b32 v18, v16
	v_mov_b32_e32 v17, v15
	v_dual_mov_b32 v31, v16 :: v_dual_mov_b32 v30, v15
	s_and_not1_b32 vcc_lo, exec_lo, s30
	s_mov_b64 s[24:25], s[22:23]
	s_mov_b32 s4, s34
	s_cbranch_vccnz .LBB33_35
.LBB33_29:                              ;   Parent Loop BB33_8 Depth=1
                                        ; =>  This Inner Loop Header: Depth=2
	s_load_b64 s[26:27], s[24:25], 0x0
                                        ; implicit-def: $vgpr30_vgpr31
	s_mov_b32 s2, exec_lo
	s_waitcnt lgkmcnt(0)
	v_or_b32_e32 v24, s27, v18
	s_delay_alu instid0(VALU_DEP_1)
	v_cmpx_ne_u64_e32 0, v[23:24]
	s_xor_b32 s35, exec_lo, s2
	s_cbranch_execz .LBB33_31
; %bb.30:                               ;   in Loop: Header=BB33_29 Depth=2
	v_cvt_f32_u32_e32 v24, s26
	v_cvt_f32_u32_e32 v30, s27
	s_sub_u32 s2, 0, s26
	s_subb_u32 s36, 0, s27
	s_delay_alu instid0(VALU_DEP_1) | instskip(NEXT) | instid1(VALU_DEP_1)
	v_fmac_f32_e32 v24, 0x4f800000, v30
	v_rcp_f32_e32 v24, v24
	s_waitcnt_depctr 0xfff
	v_mul_f32_e32 v24, 0x5f7ffffc, v24
	s_delay_alu instid0(VALU_DEP_1) | instskip(NEXT) | instid1(VALU_DEP_1)
	v_mul_f32_e32 v30, 0x2f800000, v24
	v_trunc_f32_e32 v30, v30
	s_delay_alu instid0(VALU_DEP_1) | instskip(SKIP_1) | instid1(VALU_DEP_2)
	v_fmac_f32_e32 v24, 0xcf800000, v30
	v_cvt_u32_f32_e32 v30, v30
	v_cvt_u32_f32_e32 v24, v24
	s_delay_alu instid0(VALU_DEP_2) | instskip(NEXT) | instid1(VALU_DEP_2)
	v_mul_lo_u32 v31, s2, v30
	v_mul_hi_u32 v32, s2, v24
	v_mul_lo_u32 v33, s36, v24
	s_delay_alu instid0(VALU_DEP_2) | instskip(SKIP_1) | instid1(VALU_DEP_2)
	v_add_nc_u32_e32 v31, v32, v31
	v_mul_lo_u32 v32, s2, v24
	v_add_nc_u32_e32 v31, v31, v33
	s_delay_alu instid0(VALU_DEP_2) | instskip(NEXT) | instid1(VALU_DEP_2)
	v_mul_hi_u32 v33, v24, v32
	v_mul_lo_u32 v34, v24, v31
	v_mul_hi_u32 v35, v24, v31
	v_mul_hi_u32 v57, v30, v32
	v_mul_lo_u32 v32, v30, v32
	v_mul_hi_u32 v58, v30, v31
	v_mul_lo_u32 v31, v30, v31
	v_add_co_u32 v33, vcc_lo, v33, v34
	v_add_co_ci_u32_e32 v34, vcc_lo, 0, v35, vcc_lo
	s_delay_alu instid0(VALU_DEP_2) | instskip(NEXT) | instid1(VALU_DEP_2)
	v_add_co_u32 v32, vcc_lo, v33, v32
	v_add_co_ci_u32_e32 v32, vcc_lo, v34, v57, vcc_lo
	v_add_co_ci_u32_e32 v33, vcc_lo, 0, v58, vcc_lo
	s_delay_alu instid0(VALU_DEP_2) | instskip(NEXT) | instid1(VALU_DEP_2)
	v_add_co_u32 v31, vcc_lo, v32, v31
	v_add_co_ci_u32_e32 v32, vcc_lo, 0, v33, vcc_lo
	s_delay_alu instid0(VALU_DEP_2) | instskip(NEXT) | instid1(VALU_DEP_2)
	v_add_co_u32 v24, vcc_lo, v24, v31
	v_add_co_ci_u32_e32 v30, vcc_lo, v30, v32, vcc_lo
	s_delay_alu instid0(VALU_DEP_2) | instskip(SKIP_1) | instid1(VALU_DEP_3)
	v_mul_hi_u32 v31, s2, v24
	v_mul_lo_u32 v33, s36, v24
	v_mul_lo_u32 v32, s2, v30
	s_delay_alu instid0(VALU_DEP_1) | instskip(SKIP_1) | instid1(VALU_DEP_2)
	v_add_nc_u32_e32 v31, v31, v32
	v_mul_lo_u32 v32, s2, v24
	v_add_nc_u32_e32 v31, v31, v33
	s_delay_alu instid0(VALU_DEP_2) | instskip(NEXT) | instid1(VALU_DEP_2)
	v_mul_hi_u32 v33, v24, v32
	v_mul_lo_u32 v34, v24, v31
	v_mul_hi_u32 v35, v24, v31
	v_mul_hi_u32 v57, v30, v32
	v_mul_lo_u32 v32, v30, v32
	v_mul_hi_u32 v58, v30, v31
	v_mul_lo_u32 v31, v30, v31
	v_add_co_u32 v33, vcc_lo, v33, v34
	v_add_co_ci_u32_e32 v34, vcc_lo, 0, v35, vcc_lo
	s_delay_alu instid0(VALU_DEP_2) | instskip(NEXT) | instid1(VALU_DEP_2)
	v_add_co_u32 v32, vcc_lo, v33, v32
	v_add_co_ci_u32_e32 v32, vcc_lo, v34, v57, vcc_lo
	v_add_co_ci_u32_e32 v33, vcc_lo, 0, v58, vcc_lo
	s_delay_alu instid0(VALU_DEP_2) | instskip(NEXT) | instid1(VALU_DEP_2)
	v_add_co_u32 v31, vcc_lo, v32, v31
	v_add_co_ci_u32_e32 v32, vcc_lo, 0, v33, vcc_lo
	s_delay_alu instid0(VALU_DEP_2) | instskip(NEXT) | instid1(VALU_DEP_2)
	v_add_co_u32 v24, vcc_lo, v24, v31
	v_add_co_ci_u32_e32 v57, vcc_lo, v30, v32, vcc_lo
	s_delay_alu instid0(VALU_DEP_2) | instskip(SKIP_1) | instid1(VALU_DEP_3)
	v_mul_hi_u32 v58, v17, v24
	v_mad_u64_u32 v[32:33], null, v18, v24, 0
	v_mad_u64_u32 v[30:31], null, v17, v57, 0
	;; [unrolled: 1-line block ×3, first 2 shown]
	s_delay_alu instid0(VALU_DEP_2) | instskip(NEXT) | instid1(VALU_DEP_3)
	v_add_co_u32 v24, vcc_lo, v58, v30
	v_add_co_ci_u32_e32 v30, vcc_lo, 0, v31, vcc_lo
	s_delay_alu instid0(VALU_DEP_2) | instskip(NEXT) | instid1(VALU_DEP_2)
	v_add_co_u32 v24, vcc_lo, v24, v32
	v_add_co_ci_u32_e32 v24, vcc_lo, v30, v33, vcc_lo
	v_add_co_ci_u32_e32 v30, vcc_lo, 0, v35, vcc_lo
	s_delay_alu instid0(VALU_DEP_2) | instskip(NEXT) | instid1(VALU_DEP_2)
	v_add_co_u32 v24, vcc_lo, v24, v34
	v_add_co_ci_u32_e32 v32, vcc_lo, 0, v30, vcc_lo
	s_delay_alu instid0(VALU_DEP_2) | instskip(SKIP_1) | instid1(VALU_DEP_3)
	v_mul_lo_u32 v33, s27, v24
	v_mad_u64_u32 v[30:31], null, s26, v24, 0
	v_mul_lo_u32 v34, s26, v32
	s_delay_alu instid0(VALU_DEP_2) | instskip(NEXT) | instid1(VALU_DEP_2)
	v_sub_co_u32 v30, vcc_lo, v17, v30
	v_add3_u32 v31, v31, v34, v33
	s_delay_alu instid0(VALU_DEP_1) | instskip(NEXT) | instid1(VALU_DEP_1)
	v_sub_nc_u32_e32 v33, v18, v31
	v_subrev_co_ci_u32_e64 v33, s2, s27, v33, vcc_lo
	v_add_co_u32 v34, s2, v24, 2
	s_delay_alu instid0(VALU_DEP_1) | instskip(SKIP_3) | instid1(VALU_DEP_3)
	v_add_co_ci_u32_e64 v35, s2, 0, v32, s2
	v_sub_co_u32 v57, s2, v30, s26
	v_sub_co_ci_u32_e32 v31, vcc_lo, v18, v31, vcc_lo
	v_subrev_co_ci_u32_e64 v33, s2, 0, v33, s2
	v_cmp_le_u32_e32 vcc_lo, s26, v57
	s_delay_alu instid0(VALU_DEP_3) | instskip(SKIP_1) | instid1(VALU_DEP_4)
	v_cmp_eq_u32_e64 s2, s27, v31
	v_cndmask_b32_e64 v57, 0, -1, vcc_lo
	v_cmp_le_u32_e32 vcc_lo, s27, v33
	v_cndmask_b32_e64 v58, 0, -1, vcc_lo
	v_cmp_le_u32_e32 vcc_lo, s26, v30
	v_cndmask_b32_e64 v30, 0, -1, vcc_lo
	v_cmp_le_u32_e32 vcc_lo, s27, v31
	v_cndmask_b32_e64 v59, 0, -1, vcc_lo
	v_cmp_eq_u32_e32 vcc_lo, s27, v33
	s_delay_alu instid0(VALU_DEP_2) | instskip(SKIP_3) | instid1(VALU_DEP_3)
	v_cndmask_b32_e64 v30, v59, v30, s2
	v_cndmask_b32_e32 v33, v58, v57, vcc_lo
	v_add_co_u32 v57, vcc_lo, v24, 1
	v_add_co_ci_u32_e32 v58, vcc_lo, 0, v32, vcc_lo
	v_cmp_ne_u32_e32 vcc_lo, 0, v33
	s_delay_alu instid0(VALU_DEP_3) | instskip(NEXT) | instid1(VALU_DEP_3)
	v_cndmask_b32_e32 v33, v57, v34, vcc_lo
	v_cndmask_b32_e32 v31, v58, v35, vcc_lo
	v_cmp_ne_u32_e32 vcc_lo, 0, v30
	s_delay_alu instid0(VALU_DEP_3) | instskip(NEXT) | instid1(VALU_DEP_3)
	v_cndmask_b32_e32 v30, v24, v33, vcc_lo
	v_cndmask_b32_e32 v31, v32, v31, vcc_lo
.LBB33_31:                              ;   in Loop: Header=BB33_29 Depth=2
	s_and_not1_saveexec_b32 s2, s35
	s_cbranch_execz .LBB33_33
; %bb.32:                               ;   in Loop: Header=BB33_29 Depth=2
	v_cvt_f32_u32_e32 v24, s26
	s_sub_i32 s35, 0, s26
	s_delay_alu instid0(VALU_DEP_1) | instskip(SKIP_2) | instid1(VALU_DEP_1)
	v_rcp_iflag_f32_e32 v24, v24
	s_waitcnt_depctr 0xfff
	v_mul_f32_e32 v24, 0x4f7ffffe, v24
	v_cvt_u32_f32_e32 v24, v24
	s_delay_alu instid0(VALU_DEP_1) | instskip(NEXT) | instid1(VALU_DEP_1)
	v_mul_lo_u32 v30, s35, v24
	v_mul_hi_u32 v30, v24, v30
	s_delay_alu instid0(VALU_DEP_1) | instskip(NEXT) | instid1(VALU_DEP_1)
	v_add_nc_u32_e32 v24, v24, v30
	v_mul_hi_u32 v24, v17, v24
	s_delay_alu instid0(VALU_DEP_1) | instskip(SKIP_1) | instid1(VALU_DEP_2)
	v_mul_lo_u32 v30, v24, s26
	v_add_nc_u32_e32 v31, 1, v24
	v_sub_nc_u32_e32 v30, v17, v30
	s_delay_alu instid0(VALU_DEP_1) | instskip(SKIP_1) | instid1(VALU_DEP_2)
	v_subrev_nc_u32_e32 v32, s26, v30
	v_cmp_le_u32_e32 vcc_lo, s26, v30
	v_cndmask_b32_e32 v30, v30, v32, vcc_lo
	v_cndmask_b32_e32 v24, v24, v31, vcc_lo
	s_delay_alu instid0(VALU_DEP_2) | instskip(NEXT) | instid1(VALU_DEP_2)
	v_cmp_le_u32_e32 vcc_lo, s26, v30
	v_add_nc_u32_e32 v31, 1, v24
	s_delay_alu instid0(VALU_DEP_1)
	v_dual_cndmask_b32 v30, v24, v31 :: v_dual_mov_b32 v31, v23
.LBB33_33:                              ;   in Loop: Header=BB33_29 Depth=2
	s_or_b32 exec_lo, exec_lo, s2
	s_load_b64 s[36:37], s[24:25], 0xc8
	s_delay_alu instid0(VALU_DEP_1) | instskip(NEXT) | instid1(VALU_DEP_2)
	v_mul_lo_u32 v24, v31, s26
	v_mul_lo_u32 v34, v30, s27
	v_mad_u64_u32 v[32:33], null, v30, s26, 0
	s_add_i32 s4, s4, -1
	s_add_u32 s24, s24, -8
	s_addc_u32 s25, s25, -1
	s_cmp_gt_u32 s4, 2
	s_delay_alu instid0(VALU_DEP_1) | instskip(NEXT) | instid1(VALU_DEP_2)
	v_add3_u32 v24, v33, v34, v24
	v_sub_co_u32 v32, vcc_lo, v17, v32
	s_delay_alu instid0(VALU_DEP_2) | instskip(SKIP_1) | instid1(VALU_DEP_2)
	v_sub_co_ci_u32_e32 v17, vcc_lo, v18, v24, vcc_lo
	s_waitcnt lgkmcnt(0)
	v_mul_lo_u32 v33, s37, v32
	s_delay_alu instid0(VALU_DEP_2) | instskip(SKIP_1) | instid1(VALU_DEP_1)
	v_mul_lo_u32 v24, s36, v17
	v_mad_u64_u32 v[17:18], null, s36, v32, v[2:3]
	v_add3_u32 v3, v33, v18, v24
	s_delay_alu instid0(VALU_DEP_2)
	v_mov_b32_e32 v2, v17
	s_cbranch_scc0 .LBB33_35
; %bb.34:                               ;   in Loop: Header=BB33_29 Depth=2
	v_dual_mov_b32 v17, v30 :: v_dual_mov_b32 v18, v31
	s_branch .LBB33_29
.LBB33_35:                              ;   in Loop: Header=BB33_8 Depth=1
	v_mul_lo_u32 v24, s15, v30
	v_mul_lo_u32 v31, s14, v31
	v_mad_u64_u32 v[17:18], null, s14, v30, 0
	v_lshlrev_b64 v[2:3], 3, v[2:3]
	s_delay_alu instid0(VALU_DEP_2) | instskip(NEXT) | instid1(VALU_DEP_1)
	v_add3_u32 v18, v18, v31, v24
	v_lshlrev_b64 v[17:18], 3, v[17:18]
	s_delay_alu instid0(VALU_DEP_1) | instskip(NEXT) | instid1(VALU_DEP_2)
	v_add_co_u32 v17, vcc_lo, s20, v17
	v_add_co_ci_u32_e32 v18, vcc_lo, s21, v18, vcc_lo
	s_delay_alu instid0(VALU_DEP_2) | instskip(NEXT) | instid1(VALU_DEP_2)
	v_add_co_u32 v2, vcc_lo, v17, v2
	v_add_co_ci_u32_e32 v3, vcc_lo, v18, v3, vcc_lo
	global_load_b64 v[2:3], v[2:3], off
.LBB33_36:                              ;   in Loop: Header=BB33_8 Depth=1
	s_or_b32 exec_lo, exec_lo, s3
	v_add_co_u32 v17, vcc_lo, v27, s31
	v_add_co_ci_u32_e32 v18, vcc_lo, 0, v28, vcc_lo
	s_delay_alu instid0(VALU_DEP_1) | instskip(NEXT) | instid1(VALU_DEP_1)
	v_cmp_gt_u64_e64 s2, s[16:17], v[17:18]
	s_and_saveexec_b32 s4, s2
	s_cbranch_execz .LBB33_45
; %bb.37:                               ;   in Loop: Header=BB33_8 Depth=1
	v_dual_mov_b32 v4, 0 :: v_dual_mov_b32 v31, v18
	v_dual_mov_b32 v5, 0 :: v_dual_mov_b32 v30, v17
	;; [unrolled: 1-line block ×3, first 2 shown]
	s_and_not1_b32 vcc_lo, exec_lo, s30
	s_mov_b64 s[24:25], s[22:23]
	s_mov_b32 s35, s34
	s_cbranch_vccnz .LBB33_44
.LBB33_38:                              ;   Parent Loop BB33_8 Depth=1
                                        ; =>  This Inner Loop Header: Depth=2
	s_load_b64 s[26:27], s[24:25], 0x0
                                        ; implicit-def: $vgpr32_vgpr33
	s_mov_b32 s3, exec_lo
	s_waitcnt lgkmcnt(0)
	v_or_b32_e32 v24, s27, v31
	s_delay_alu instid0(VALU_DEP_1)
	v_cmpx_ne_u64_e32 0, v[23:24]
	s_xor_b32 s36, exec_lo, s3
	s_cbranch_execz .LBB33_40
; %bb.39:                               ;   in Loop: Header=BB33_38 Depth=2
	v_cvt_f32_u32_e32 v24, s26
	v_cvt_f32_u32_e32 v32, s27
	s_sub_u32 s3, 0, s26
	s_subb_u32 s37, 0, s27
	s_delay_alu instid0(VALU_DEP_1) | instskip(NEXT) | instid1(VALU_DEP_1)
	v_fmac_f32_e32 v24, 0x4f800000, v32
	v_rcp_f32_e32 v24, v24
	s_waitcnt_depctr 0xfff
	v_mul_f32_e32 v24, 0x5f7ffffc, v24
	s_delay_alu instid0(VALU_DEP_1) | instskip(NEXT) | instid1(VALU_DEP_1)
	v_mul_f32_e32 v32, 0x2f800000, v24
	v_trunc_f32_e32 v32, v32
	s_delay_alu instid0(VALU_DEP_1) | instskip(SKIP_1) | instid1(VALU_DEP_2)
	v_fmac_f32_e32 v24, 0xcf800000, v32
	v_cvt_u32_f32_e32 v32, v32
	v_cvt_u32_f32_e32 v24, v24
	s_delay_alu instid0(VALU_DEP_2) | instskip(NEXT) | instid1(VALU_DEP_2)
	v_mul_lo_u32 v33, s3, v32
	v_mul_hi_u32 v34, s3, v24
	v_mul_lo_u32 v35, s37, v24
	s_delay_alu instid0(VALU_DEP_2) | instskip(SKIP_1) | instid1(VALU_DEP_2)
	v_add_nc_u32_e32 v33, v34, v33
	v_mul_lo_u32 v34, s3, v24
	v_add_nc_u32_e32 v33, v33, v35
	s_delay_alu instid0(VALU_DEP_2) | instskip(NEXT) | instid1(VALU_DEP_2)
	v_mul_hi_u32 v35, v24, v34
	v_mul_lo_u32 v57, v24, v33
	v_mul_hi_u32 v58, v24, v33
	v_mul_hi_u32 v59, v32, v34
	v_mul_lo_u32 v34, v32, v34
	v_mul_hi_u32 v60, v32, v33
	v_mul_lo_u32 v33, v32, v33
	v_add_co_u32 v35, vcc_lo, v35, v57
	v_add_co_ci_u32_e32 v57, vcc_lo, 0, v58, vcc_lo
	s_delay_alu instid0(VALU_DEP_2) | instskip(NEXT) | instid1(VALU_DEP_2)
	v_add_co_u32 v34, vcc_lo, v35, v34
	v_add_co_ci_u32_e32 v34, vcc_lo, v57, v59, vcc_lo
	v_add_co_ci_u32_e32 v35, vcc_lo, 0, v60, vcc_lo
	s_delay_alu instid0(VALU_DEP_2) | instskip(NEXT) | instid1(VALU_DEP_2)
	v_add_co_u32 v33, vcc_lo, v34, v33
	v_add_co_ci_u32_e32 v34, vcc_lo, 0, v35, vcc_lo
	s_delay_alu instid0(VALU_DEP_2) | instskip(NEXT) | instid1(VALU_DEP_2)
	v_add_co_u32 v24, vcc_lo, v24, v33
	v_add_co_ci_u32_e32 v32, vcc_lo, v32, v34, vcc_lo
	s_delay_alu instid0(VALU_DEP_2) | instskip(SKIP_1) | instid1(VALU_DEP_3)
	v_mul_hi_u32 v33, s3, v24
	v_mul_lo_u32 v35, s37, v24
	v_mul_lo_u32 v34, s3, v32
	s_delay_alu instid0(VALU_DEP_1) | instskip(SKIP_1) | instid1(VALU_DEP_2)
	v_add_nc_u32_e32 v33, v33, v34
	v_mul_lo_u32 v34, s3, v24
	v_add_nc_u32_e32 v33, v33, v35
	s_delay_alu instid0(VALU_DEP_2) | instskip(NEXT) | instid1(VALU_DEP_2)
	v_mul_hi_u32 v35, v24, v34
	v_mul_lo_u32 v57, v24, v33
	v_mul_hi_u32 v58, v24, v33
	v_mul_hi_u32 v59, v32, v34
	v_mul_lo_u32 v34, v32, v34
	v_mul_hi_u32 v60, v32, v33
	v_mul_lo_u32 v33, v32, v33
	v_add_co_u32 v35, vcc_lo, v35, v57
	v_add_co_ci_u32_e32 v57, vcc_lo, 0, v58, vcc_lo
	s_delay_alu instid0(VALU_DEP_2) | instskip(NEXT) | instid1(VALU_DEP_2)
	v_add_co_u32 v34, vcc_lo, v35, v34
	v_add_co_ci_u32_e32 v34, vcc_lo, v57, v59, vcc_lo
	v_add_co_ci_u32_e32 v35, vcc_lo, 0, v60, vcc_lo
	s_delay_alu instid0(VALU_DEP_2) | instskip(NEXT) | instid1(VALU_DEP_2)
	v_add_co_u32 v33, vcc_lo, v34, v33
	v_add_co_ci_u32_e32 v34, vcc_lo, 0, v35, vcc_lo
	s_delay_alu instid0(VALU_DEP_2) | instskip(NEXT) | instid1(VALU_DEP_2)
	v_add_co_u32 v24, vcc_lo, v24, v33
	v_add_co_ci_u32_e32 v59, vcc_lo, v32, v34, vcc_lo
	s_delay_alu instid0(VALU_DEP_2) | instskip(SKIP_1) | instid1(VALU_DEP_3)
	v_mul_hi_u32 v60, v30, v24
	v_mad_u64_u32 v[34:35], null, v31, v24, 0
	v_mad_u64_u32 v[32:33], null, v30, v59, 0
	;; [unrolled: 1-line block ×3, first 2 shown]
	s_delay_alu instid0(VALU_DEP_2) | instskip(NEXT) | instid1(VALU_DEP_3)
	v_add_co_u32 v24, vcc_lo, v60, v32
	v_add_co_ci_u32_e32 v32, vcc_lo, 0, v33, vcc_lo
	s_delay_alu instid0(VALU_DEP_2) | instskip(NEXT) | instid1(VALU_DEP_2)
	v_add_co_u32 v24, vcc_lo, v24, v34
	v_add_co_ci_u32_e32 v24, vcc_lo, v32, v35, vcc_lo
	v_add_co_ci_u32_e32 v32, vcc_lo, 0, v58, vcc_lo
	s_delay_alu instid0(VALU_DEP_2) | instskip(NEXT) | instid1(VALU_DEP_2)
	v_add_co_u32 v24, vcc_lo, v24, v57
	v_add_co_ci_u32_e32 v34, vcc_lo, 0, v32, vcc_lo
	s_delay_alu instid0(VALU_DEP_2) | instskip(SKIP_1) | instid1(VALU_DEP_3)
	v_mul_lo_u32 v35, s27, v24
	v_mad_u64_u32 v[32:33], null, s26, v24, 0
	v_mul_lo_u32 v57, s26, v34
	s_delay_alu instid0(VALU_DEP_2) | instskip(NEXT) | instid1(VALU_DEP_2)
	v_sub_co_u32 v32, vcc_lo, v30, v32
	v_add3_u32 v33, v33, v57, v35
	s_delay_alu instid0(VALU_DEP_1) | instskip(NEXT) | instid1(VALU_DEP_1)
	v_sub_nc_u32_e32 v35, v31, v33
	v_subrev_co_ci_u32_e64 v35, s3, s27, v35, vcc_lo
	v_add_co_u32 v57, s3, v24, 2
	s_delay_alu instid0(VALU_DEP_1) | instskip(SKIP_3) | instid1(VALU_DEP_3)
	v_add_co_ci_u32_e64 v58, s3, 0, v34, s3
	v_sub_co_u32 v59, s3, v32, s26
	v_sub_co_ci_u32_e32 v33, vcc_lo, v31, v33, vcc_lo
	v_subrev_co_ci_u32_e64 v35, s3, 0, v35, s3
	v_cmp_le_u32_e32 vcc_lo, s26, v59
	s_delay_alu instid0(VALU_DEP_3) | instskip(SKIP_1) | instid1(VALU_DEP_4)
	v_cmp_eq_u32_e64 s3, s27, v33
	v_cndmask_b32_e64 v59, 0, -1, vcc_lo
	v_cmp_le_u32_e32 vcc_lo, s27, v35
	v_cndmask_b32_e64 v60, 0, -1, vcc_lo
	v_cmp_le_u32_e32 vcc_lo, s26, v32
	;; [unrolled: 2-line block ×3, first 2 shown]
	v_cndmask_b32_e64 v61, 0, -1, vcc_lo
	v_cmp_eq_u32_e32 vcc_lo, s27, v35
	s_delay_alu instid0(VALU_DEP_2) | instskip(SKIP_3) | instid1(VALU_DEP_3)
	v_cndmask_b32_e64 v32, v61, v32, s3
	v_cndmask_b32_e32 v35, v60, v59, vcc_lo
	v_add_co_u32 v59, vcc_lo, v24, 1
	v_add_co_ci_u32_e32 v60, vcc_lo, 0, v34, vcc_lo
	v_cmp_ne_u32_e32 vcc_lo, 0, v35
	s_delay_alu instid0(VALU_DEP_2) | instskip(NEXT) | instid1(VALU_DEP_4)
	v_cndmask_b32_e32 v33, v60, v58, vcc_lo
	v_cndmask_b32_e32 v35, v59, v57, vcc_lo
	v_cmp_ne_u32_e32 vcc_lo, 0, v32
	s_delay_alu instid0(VALU_DEP_2)
	v_dual_cndmask_b32 v33, v34, v33 :: v_dual_cndmask_b32 v32, v24, v35
.LBB33_40:                              ;   in Loop: Header=BB33_38 Depth=2
	s_and_not1_saveexec_b32 s3, s36
	s_cbranch_execz .LBB33_42
; %bb.41:                               ;   in Loop: Header=BB33_38 Depth=2
	v_cvt_f32_u32_e32 v24, s26
	s_sub_i32 s36, 0, s26
	s_delay_alu instid0(VALU_DEP_1) | instskip(SKIP_2) | instid1(VALU_DEP_1)
	v_rcp_iflag_f32_e32 v24, v24
	s_waitcnt_depctr 0xfff
	v_mul_f32_e32 v24, 0x4f7ffffe, v24
	v_cvt_u32_f32_e32 v24, v24
	s_delay_alu instid0(VALU_DEP_1) | instskip(NEXT) | instid1(VALU_DEP_1)
	v_mul_lo_u32 v32, s36, v24
	v_mul_hi_u32 v32, v24, v32
	s_delay_alu instid0(VALU_DEP_1) | instskip(NEXT) | instid1(VALU_DEP_1)
	v_add_nc_u32_e32 v24, v24, v32
	v_mul_hi_u32 v24, v30, v24
	s_delay_alu instid0(VALU_DEP_1) | instskip(NEXT) | instid1(VALU_DEP_1)
	v_mul_lo_u32 v32, v24, s26
	v_sub_nc_u32_e32 v32, v30, v32
	s_delay_alu instid0(VALU_DEP_1) | instskip(SKIP_1) | instid1(VALU_DEP_2)
	v_subrev_nc_u32_e32 v34, s26, v32
	v_cmp_le_u32_e32 vcc_lo, s26, v32
	v_dual_cndmask_b32 v32, v32, v34 :: v_dual_add_nc_u32 v33, 1, v24
	s_delay_alu instid0(VALU_DEP_1) | instskip(NEXT) | instid1(VALU_DEP_2)
	v_cndmask_b32_e32 v24, v24, v33, vcc_lo
	v_cmp_le_u32_e32 vcc_lo, s26, v32
	s_delay_alu instid0(VALU_DEP_2) | instskip(NEXT) | instid1(VALU_DEP_1)
	v_add_nc_u32_e32 v33, 1, v24
	v_dual_cndmask_b32 v32, v24, v33 :: v_dual_mov_b32 v33, v23
.LBB33_42:                              ;   in Loop: Header=BB33_38 Depth=2
	s_or_b32 exec_lo, exec_lo, s3
	s_load_b64 s[36:37], s[24:25], 0xc8
	s_delay_alu instid0(VALU_DEP_1) | instskip(NEXT) | instid1(VALU_DEP_2)
	v_mul_lo_u32 v24, v33, s26
	v_mul_lo_u32 v57, v32, s27
	v_mad_u64_u32 v[34:35], null, v32, s26, 0
	s_add_i32 s35, s35, -1
	s_add_u32 s24, s24, -8
	s_addc_u32 s25, s25, -1
	s_cmp_gt_u32 s35, 2
	s_delay_alu instid0(VALU_DEP_1) | instskip(NEXT) | instid1(VALU_DEP_2)
	v_add3_u32 v24, v35, v57, v24
	v_sub_co_u32 v34, vcc_lo, v30, v34
	s_delay_alu instid0(VALU_DEP_2) | instskip(SKIP_1) | instid1(VALU_DEP_2)
	v_sub_co_ci_u32_e32 v24, vcc_lo, v31, v24, vcc_lo
	s_waitcnt lgkmcnt(0)
	v_mul_lo_u32 v35, s37, v34
	s_delay_alu instid0(VALU_DEP_2) | instskip(SKIP_1) | instid1(VALU_DEP_1)
	v_mul_lo_u32 v24, s36, v24
	v_mad_u64_u32 v[30:31], null, s36, v34, v[4:5]
	v_add3_u32 v5, v35, v31, v24
	s_delay_alu instid0(VALU_DEP_2)
	v_mov_b32_e32 v4, v30
	s_cbranch_scc0 .LBB33_44
; %bb.43:                               ;   in Loop: Header=BB33_38 Depth=2
	v_dual_mov_b32 v30, v32 :: v_dual_mov_b32 v31, v33
	s_branch .LBB33_38
.LBB33_44:                              ;   in Loop: Header=BB33_8 Depth=1
	v_mul_lo_u32 v24, s15, v32
	v_mul_lo_u32 v33, s14, v33
	v_mad_u64_u32 v[30:31], null, s14, v32, 0
	v_lshlrev_b64 v[4:5], 3, v[4:5]
	s_delay_alu instid0(VALU_DEP_2) | instskip(NEXT) | instid1(VALU_DEP_1)
	v_add3_u32 v31, v31, v33, v24
	v_lshlrev_b64 v[30:31], 3, v[30:31]
	s_delay_alu instid0(VALU_DEP_1) | instskip(NEXT) | instid1(VALU_DEP_2)
	v_add_co_u32 v24, vcc_lo, s20, v30
	v_add_co_ci_u32_e32 v30, vcc_lo, s21, v31, vcc_lo
	s_delay_alu instid0(VALU_DEP_2) | instskip(NEXT) | instid1(VALU_DEP_2)
	v_add_co_u32 v4, vcc_lo, v24, v4
	v_add_co_ci_u32_e32 v5, vcc_lo, v30, v5, vcc_lo
	global_load_b64 v[4:5], v[4:5], off
.LBB33_45:                              ;   in Loop: Header=BB33_8 Depth=1
	s_or_b32 exec_lo, exec_lo, s4
	v_add_co_u32 v30, vcc_lo, v27, s33
	v_add_co_ci_u32_e32 v31, vcc_lo, 0, v28, vcc_lo
	s_delay_alu instid0(VALU_DEP_1) | instskip(NEXT) | instid1(VALU_DEP_1)
	v_cmp_gt_u64_e64 s3, s[16:17], v[30:31]
	s_and_saveexec_b32 s35, s3
	s_cbranch_execnz .LBB33_50
; %bb.46:                               ;   in Loop: Header=BB33_8 Depth=1
	s_or_b32 exec_lo, exec_lo, s35
	s_and_saveexec_b32 s4, s0
	s_cbranch_execnz .LBB33_58
.LBB33_47:                              ;   in Loop: Header=BB33_8 Depth=1
	s_or_b32 exec_lo, exec_lo, s4
	s_and_saveexec_b32 s4, s1
	s_cbranch_execnz .LBB33_59
.LBB33_48:                              ;   in Loop: Header=BB33_8 Depth=1
	s_or_b32 exec_lo, exec_lo, s4
	s_and_saveexec_b32 s1, s2
	s_cbranch_execnz .LBB33_60
.LBB33_49:                              ;   in Loop: Header=BB33_8 Depth=1
	s_or_b32 exec_lo, exec_lo, s1
	s_and_saveexec_b32 s1, s3
	s_cbranch_execz .LBB33_7
	s_branch .LBB33_61
.LBB33_50:                              ;   in Loop: Header=BB33_8 Depth=1
	v_dual_mov_b32 v6, 0 :: v_dual_mov_b32 v33, v31
	v_dual_mov_b32 v7, 0 :: v_dual_mov_b32 v32, v30
	;; [unrolled: 1-line block ×3, first 2 shown]
	s_and_not1_b32 vcc_lo, exec_lo, s30
	s_mov_b64 s[24:25], s[22:23]
	s_mov_b32 s36, s34
	s_cbranch_vccnz .LBB33_57
.LBB33_51:                              ;   Parent Loop BB33_8 Depth=1
                                        ; =>  This Inner Loop Header: Depth=2
	s_load_b64 s[26:27], s[24:25], 0x0
                                        ; implicit-def: $vgpr34_vgpr35
	s_mov_b32 s4, exec_lo
	s_waitcnt lgkmcnt(0)
	v_or_b32_e32 v24, s27, v33
	s_delay_alu instid0(VALU_DEP_1)
	v_cmpx_ne_u64_e32 0, v[23:24]
	s_xor_b32 s37, exec_lo, s4
	s_cbranch_execz .LBB33_53
; %bb.52:                               ;   in Loop: Header=BB33_51 Depth=2
	v_cvt_f32_u32_e32 v24, s26
	v_cvt_f32_u32_e32 v34, s27
	s_sub_u32 s4, 0, s26
	s_subb_u32 s38, 0, s27
	s_delay_alu instid0(VALU_DEP_1) | instskip(NEXT) | instid1(VALU_DEP_1)
	v_fmac_f32_e32 v24, 0x4f800000, v34
	v_rcp_f32_e32 v24, v24
	s_waitcnt_depctr 0xfff
	v_mul_f32_e32 v24, 0x5f7ffffc, v24
	s_delay_alu instid0(VALU_DEP_1) | instskip(NEXT) | instid1(VALU_DEP_1)
	v_mul_f32_e32 v34, 0x2f800000, v24
	v_trunc_f32_e32 v34, v34
	s_delay_alu instid0(VALU_DEP_1) | instskip(SKIP_1) | instid1(VALU_DEP_2)
	v_fmac_f32_e32 v24, 0xcf800000, v34
	v_cvt_u32_f32_e32 v34, v34
	v_cvt_u32_f32_e32 v24, v24
	s_delay_alu instid0(VALU_DEP_2) | instskip(NEXT) | instid1(VALU_DEP_2)
	v_mul_lo_u32 v35, s4, v34
	v_mul_hi_u32 v57, s4, v24
	v_mul_lo_u32 v58, s38, v24
	s_delay_alu instid0(VALU_DEP_2) | instskip(SKIP_1) | instid1(VALU_DEP_2)
	v_add_nc_u32_e32 v35, v57, v35
	v_mul_lo_u32 v57, s4, v24
	v_add_nc_u32_e32 v35, v35, v58
	s_delay_alu instid0(VALU_DEP_2) | instskip(NEXT) | instid1(VALU_DEP_2)
	v_mul_hi_u32 v58, v24, v57
	v_mul_lo_u32 v59, v24, v35
	v_mul_hi_u32 v60, v24, v35
	v_mul_hi_u32 v61, v34, v57
	v_mul_lo_u32 v57, v34, v57
	v_mul_hi_u32 v62, v34, v35
	v_mul_lo_u32 v35, v34, v35
	v_add_co_u32 v58, vcc_lo, v58, v59
	v_add_co_ci_u32_e32 v59, vcc_lo, 0, v60, vcc_lo
	s_delay_alu instid0(VALU_DEP_2) | instskip(NEXT) | instid1(VALU_DEP_2)
	v_add_co_u32 v57, vcc_lo, v58, v57
	v_add_co_ci_u32_e32 v57, vcc_lo, v59, v61, vcc_lo
	v_add_co_ci_u32_e32 v58, vcc_lo, 0, v62, vcc_lo
	s_delay_alu instid0(VALU_DEP_2) | instskip(NEXT) | instid1(VALU_DEP_2)
	v_add_co_u32 v35, vcc_lo, v57, v35
	v_add_co_ci_u32_e32 v57, vcc_lo, 0, v58, vcc_lo
	s_delay_alu instid0(VALU_DEP_2) | instskip(NEXT) | instid1(VALU_DEP_2)
	v_add_co_u32 v24, vcc_lo, v24, v35
	v_add_co_ci_u32_e32 v34, vcc_lo, v34, v57, vcc_lo
	s_delay_alu instid0(VALU_DEP_2) | instskip(SKIP_1) | instid1(VALU_DEP_3)
	v_mul_hi_u32 v35, s4, v24
	v_mul_lo_u32 v58, s38, v24
	v_mul_lo_u32 v57, s4, v34
	s_delay_alu instid0(VALU_DEP_1) | instskip(SKIP_1) | instid1(VALU_DEP_2)
	v_add_nc_u32_e32 v35, v35, v57
	v_mul_lo_u32 v57, s4, v24
	v_add_nc_u32_e32 v35, v35, v58
	s_delay_alu instid0(VALU_DEP_2) | instskip(NEXT) | instid1(VALU_DEP_2)
	v_mul_hi_u32 v58, v24, v57
	v_mul_lo_u32 v59, v24, v35
	v_mul_hi_u32 v60, v24, v35
	v_mul_hi_u32 v61, v34, v57
	v_mul_lo_u32 v57, v34, v57
	v_mul_hi_u32 v62, v34, v35
	v_mul_lo_u32 v35, v34, v35
	v_add_co_u32 v58, vcc_lo, v58, v59
	v_add_co_ci_u32_e32 v59, vcc_lo, 0, v60, vcc_lo
	s_delay_alu instid0(VALU_DEP_2) | instskip(NEXT) | instid1(VALU_DEP_2)
	v_add_co_u32 v57, vcc_lo, v58, v57
	v_add_co_ci_u32_e32 v57, vcc_lo, v59, v61, vcc_lo
	v_add_co_ci_u32_e32 v58, vcc_lo, 0, v62, vcc_lo
	s_delay_alu instid0(VALU_DEP_2) | instskip(NEXT) | instid1(VALU_DEP_2)
	v_add_co_u32 v35, vcc_lo, v57, v35
	v_add_co_ci_u32_e32 v57, vcc_lo, 0, v58, vcc_lo
	s_delay_alu instid0(VALU_DEP_2) | instskip(NEXT) | instid1(VALU_DEP_2)
	v_add_co_u32 v24, vcc_lo, v24, v35
	v_add_co_ci_u32_e32 v61, vcc_lo, v34, v57, vcc_lo
	s_delay_alu instid0(VALU_DEP_2) | instskip(SKIP_1) | instid1(VALU_DEP_3)
	v_mul_hi_u32 v62, v32, v24
	v_mad_u64_u32 v[57:58], null, v33, v24, 0
	v_mad_u64_u32 v[34:35], null, v32, v61, 0
	;; [unrolled: 1-line block ×3, first 2 shown]
	s_delay_alu instid0(VALU_DEP_2) | instskip(NEXT) | instid1(VALU_DEP_3)
	v_add_co_u32 v24, vcc_lo, v62, v34
	v_add_co_ci_u32_e32 v34, vcc_lo, 0, v35, vcc_lo
	s_delay_alu instid0(VALU_DEP_2) | instskip(NEXT) | instid1(VALU_DEP_2)
	v_add_co_u32 v24, vcc_lo, v24, v57
	v_add_co_ci_u32_e32 v24, vcc_lo, v34, v58, vcc_lo
	v_add_co_ci_u32_e32 v34, vcc_lo, 0, v60, vcc_lo
	s_delay_alu instid0(VALU_DEP_2) | instskip(NEXT) | instid1(VALU_DEP_2)
	v_add_co_u32 v24, vcc_lo, v24, v59
	v_add_co_ci_u32_e32 v57, vcc_lo, 0, v34, vcc_lo
	s_delay_alu instid0(VALU_DEP_2) | instskip(SKIP_1) | instid1(VALU_DEP_3)
	v_mul_lo_u32 v58, s27, v24
	v_mad_u64_u32 v[34:35], null, s26, v24, 0
	v_mul_lo_u32 v59, s26, v57
	s_delay_alu instid0(VALU_DEP_2) | instskip(NEXT) | instid1(VALU_DEP_2)
	v_sub_co_u32 v34, vcc_lo, v32, v34
	v_add3_u32 v35, v35, v59, v58
	s_delay_alu instid0(VALU_DEP_1) | instskip(NEXT) | instid1(VALU_DEP_1)
	v_sub_nc_u32_e32 v58, v33, v35
	v_subrev_co_ci_u32_e64 v58, s4, s27, v58, vcc_lo
	v_add_co_u32 v59, s4, v24, 2
	s_delay_alu instid0(VALU_DEP_1) | instskip(SKIP_3) | instid1(VALU_DEP_3)
	v_add_co_ci_u32_e64 v60, s4, 0, v57, s4
	v_sub_co_u32 v61, s4, v34, s26
	v_sub_co_ci_u32_e32 v35, vcc_lo, v33, v35, vcc_lo
	v_subrev_co_ci_u32_e64 v58, s4, 0, v58, s4
	v_cmp_le_u32_e32 vcc_lo, s26, v61
	s_delay_alu instid0(VALU_DEP_3) | instskip(SKIP_1) | instid1(VALU_DEP_4)
	v_cmp_eq_u32_e64 s4, s27, v35
	v_cndmask_b32_e64 v61, 0, -1, vcc_lo
	v_cmp_le_u32_e32 vcc_lo, s27, v58
	v_cndmask_b32_e64 v62, 0, -1, vcc_lo
	v_cmp_le_u32_e32 vcc_lo, s26, v34
	;; [unrolled: 2-line block ×3, first 2 shown]
	v_cndmask_b32_e64 v63, 0, -1, vcc_lo
	v_cmp_eq_u32_e32 vcc_lo, s27, v58
	s_delay_alu instid0(VALU_DEP_2) | instskip(SKIP_3) | instid1(VALU_DEP_3)
	v_cndmask_b32_e64 v34, v63, v34, s4
	v_cndmask_b32_e32 v58, v62, v61, vcc_lo
	v_add_co_u32 v61, vcc_lo, v24, 1
	v_add_co_ci_u32_e32 v62, vcc_lo, 0, v57, vcc_lo
	v_cmp_ne_u32_e32 vcc_lo, 0, v58
	s_delay_alu instid0(VALU_DEP_2) | instskip(SKIP_1) | instid1(VALU_DEP_2)
	v_dual_cndmask_b32 v35, v62, v60 :: v_dual_cndmask_b32 v58, v61, v59
	v_cmp_ne_u32_e32 vcc_lo, 0, v34
	v_dual_cndmask_b32 v35, v57, v35 :: v_dual_cndmask_b32 v34, v24, v58
.LBB33_53:                              ;   in Loop: Header=BB33_51 Depth=2
	s_and_not1_saveexec_b32 s4, s37
	s_cbranch_execz .LBB33_55
; %bb.54:                               ;   in Loop: Header=BB33_51 Depth=2
	v_cvt_f32_u32_e32 v24, s26
	s_sub_i32 s37, 0, s26
	s_delay_alu instid0(VALU_DEP_1) | instskip(SKIP_2) | instid1(VALU_DEP_1)
	v_rcp_iflag_f32_e32 v24, v24
	s_waitcnt_depctr 0xfff
	v_mul_f32_e32 v24, 0x4f7ffffe, v24
	v_cvt_u32_f32_e32 v24, v24
	s_delay_alu instid0(VALU_DEP_1) | instskip(NEXT) | instid1(VALU_DEP_1)
	v_mul_lo_u32 v34, s37, v24
	v_mul_hi_u32 v34, v24, v34
	s_delay_alu instid0(VALU_DEP_1) | instskip(NEXT) | instid1(VALU_DEP_1)
	v_add_nc_u32_e32 v24, v24, v34
	v_mul_hi_u32 v24, v32, v24
	s_delay_alu instid0(VALU_DEP_1) | instskip(NEXT) | instid1(VALU_DEP_1)
	v_mul_lo_u32 v34, v24, s26
	v_sub_nc_u32_e32 v34, v32, v34
	s_delay_alu instid0(VALU_DEP_1) | instskip(SKIP_1) | instid1(VALU_DEP_2)
	v_subrev_nc_u32_e32 v57, s26, v34
	v_cmp_le_u32_e32 vcc_lo, s26, v34
	v_dual_cndmask_b32 v34, v34, v57 :: v_dual_add_nc_u32 v35, 1, v24
	s_delay_alu instid0(VALU_DEP_1) | instskip(NEXT) | instid1(VALU_DEP_2)
	v_cndmask_b32_e32 v24, v24, v35, vcc_lo
	v_cmp_le_u32_e32 vcc_lo, s26, v34
	s_delay_alu instid0(VALU_DEP_2) | instskip(NEXT) | instid1(VALU_DEP_1)
	v_add_nc_u32_e32 v35, 1, v24
	v_dual_cndmask_b32 v34, v24, v35 :: v_dual_mov_b32 v35, v23
.LBB33_55:                              ;   in Loop: Header=BB33_51 Depth=2
	s_or_b32 exec_lo, exec_lo, s4
	s_load_b64 s[38:39], s[24:25], 0xc8
	s_delay_alu instid0(VALU_DEP_1) | instskip(NEXT) | instid1(VALU_DEP_2)
	v_mul_lo_u32 v24, v35, s26
	v_mul_lo_u32 v59, v34, s27
	v_mad_u64_u32 v[57:58], null, v34, s26, 0
	s_add_i32 s36, s36, -1
	s_add_u32 s24, s24, -8
	s_addc_u32 s25, s25, -1
	s_cmp_gt_u32 s36, 2
	s_delay_alu instid0(VALU_DEP_1) | instskip(NEXT) | instid1(VALU_DEP_2)
	v_add3_u32 v24, v58, v59, v24
	v_sub_co_u32 v57, vcc_lo, v32, v57
	s_delay_alu instid0(VALU_DEP_2) | instskip(SKIP_1) | instid1(VALU_DEP_2)
	v_sub_co_ci_u32_e32 v24, vcc_lo, v33, v24, vcc_lo
	s_waitcnt lgkmcnt(0)
	v_mul_lo_u32 v58, s39, v57
	s_delay_alu instid0(VALU_DEP_2) | instskip(SKIP_1) | instid1(VALU_DEP_1)
	v_mul_lo_u32 v24, s38, v24
	v_mad_u64_u32 v[32:33], null, s38, v57, v[6:7]
	v_add3_u32 v7, v58, v33, v24
	s_delay_alu instid0(VALU_DEP_2)
	v_mov_b32_e32 v6, v32
	s_cbranch_scc0 .LBB33_57
; %bb.56:                               ;   in Loop: Header=BB33_51 Depth=2
	v_dual_mov_b32 v32, v34 :: v_dual_mov_b32 v33, v35
	s_branch .LBB33_51
.LBB33_57:                              ;   in Loop: Header=BB33_8 Depth=1
	v_mul_lo_u32 v24, s15, v34
	v_mul_lo_u32 v35, s14, v35
	v_mad_u64_u32 v[32:33], null, s14, v34, 0
	v_lshlrev_b64 v[6:7], 3, v[6:7]
	s_delay_alu instid0(VALU_DEP_2) | instskip(NEXT) | instid1(VALU_DEP_1)
	v_add3_u32 v33, v33, v35, v24
	v_lshlrev_b64 v[32:33], 3, v[32:33]
	s_delay_alu instid0(VALU_DEP_1) | instskip(NEXT) | instid1(VALU_DEP_2)
	v_add_co_u32 v24, vcc_lo, s20, v32
	v_add_co_ci_u32_e32 v32, vcc_lo, s21, v33, vcc_lo
	s_delay_alu instid0(VALU_DEP_2) | instskip(NEXT) | instid1(VALU_DEP_2)
	v_add_co_u32 v6, vcc_lo, v24, v6
	v_add_co_ci_u32_e32 v7, vcc_lo, v32, v7, vcc_lo
	global_load_b64 v[6:7], v[6:7], off
	s_or_b32 exec_lo, exec_lo, s35
	s_and_saveexec_b32 s4, s0
	s_cbranch_execz .LBB33_47
.LBB33_58:                              ;   in Loop: Header=BB33_8 Depth=1
	v_cvt_f32_u32_e32 v8, v8
	v_mad_u64_u32 v[34:35], null, v27, s10, 0
	s_delay_alu instid0(VALU_DEP_2) | instskip(NEXT) | instid1(VALU_DEP_1)
	v_fmaak_f32 v8, 0x2f800000, v8, 0x2f800000
	v_cvt_f64_f32_e32 v[32:33], v8
	v_mul_lo_u32 v8, v28, s10
	s_delay_alu instid0(VALU_DEP_2) | instskip(SKIP_2) | instid1(VALU_DEP_1)
	v_cmp_gt_f64_e32 vcc_lo, s[18:19], v[32:33]
	v_cndmask_b32_e64 v24, 0, 0x3ff00000, vcc_lo
	s_waitcnt vmcnt(0)
	v_mul_f64 v[32:33], v[0:1], v[23:24]
	v_mul_lo_u32 v24, v27, s11
	s_delay_alu instid0(VALU_DEP_1) | instskip(SKIP_1) | instid1(VALU_DEP_2)
	v_add3_u32 v35, v35, v24, v8
	v_cndmask_b32_e64 v8, 0, 1, vcc_lo
	v_lshlrev_b64 v[57:58], 3, v[34:35]
	v_add_co_u32 v34, s0, s12, v34
	s_delay_alu instid0(VALU_DEP_1) | instskip(NEXT) | instid1(VALU_DEP_3)
	v_add_co_ci_u32_e64 v35, s0, s13, v35, s0
	v_add_co_u32 v57, s0, s8, v57
	s_delay_alu instid0(VALU_DEP_1)
	v_add_co_ci_u32_e64 v58, s0, s9, v58, s0
	v_mul_f64 v[32:33], v[25:26], v[32:33]
	global_store_b64 v[57:58], v[32:33], off
	global_store_b8 v[34:35], v8, off
	s_or_b32 exec_lo, exec_lo, s4
	s_and_saveexec_b32 s4, s1
	s_cbranch_execz .LBB33_48
.LBB33_59:                              ;   in Loop: Header=BB33_8 Depth=1
	v_cvt_f32_u32_e32 v8, v9
	v_mul_lo_u32 v16, v16, s10
	v_mad_u64_u32 v[32:33], null, v15, s10, 0
	s_delay_alu instid0(VALU_DEP_3) | instskip(NEXT) | instid1(VALU_DEP_1)
	v_fmaak_f32 v8, 0x2f800000, v8, 0x2f800000
	v_cvt_f64_f32_e32 v[8:9], v8
	s_delay_alu instid0(VALU_DEP_1) | instskip(SKIP_2) | instid1(VALU_DEP_1)
	v_cmp_gt_f64_e32 vcc_lo, s[18:19], v[8:9]
	v_cndmask_b32_e64 v24, 0, 0x3ff00000, vcc_lo
	s_waitcnt vmcnt(0)
	v_mul_f64 v[8:9], v[2:3], v[23:24]
	v_mul_lo_u32 v24, v15, s11
	s_delay_alu instid0(VALU_DEP_1) | instskip(SKIP_1) | instid1(VALU_DEP_2)
	v_add3_u32 v33, v33, v24, v16
	v_cndmask_b32_e64 v24, 0, 1, vcc_lo
	v_lshlrev_b64 v[15:16], 3, v[32:33]
	v_add_co_u32 v32, s0, s12, v32
	s_delay_alu instid0(VALU_DEP_1) | instskip(NEXT) | instid1(VALU_DEP_3)
	v_add_co_ci_u32_e64 v33, s0, s13, v33, s0
	v_add_co_u32 v15, s0, s8, v15
	s_delay_alu instid0(VALU_DEP_1)
	v_add_co_ci_u32_e64 v16, s0, s9, v16, s0
	v_mul_f64 v[8:9], v[25:26], v[8:9]
	global_store_b64 v[15:16], v[8:9], off
	global_store_b8 v[32:33], v24, off
	s_or_b32 exec_lo, exec_lo, s4
	s_and_saveexec_b32 s1, s2
	s_cbranch_execz .LBB33_49
.LBB33_60:                              ;   in Loop: Header=BB33_8 Depth=1
	v_cvt_f32_u32_e32 v8, v10
	v_mul_lo_u32 v10, v18, s10
	v_mul_lo_u32 v18, v17, s11
	v_mad_u64_u32 v[15:16], null, v17, s10, 0
	s_delay_alu instid0(VALU_DEP_4) | instskip(NEXT) | instid1(VALU_DEP_1)
	v_fmaak_f32 v8, 0x2f800000, v8, 0x2f800000
	v_cvt_f64_f32_e32 v[8:9], v8
	s_delay_alu instid0(VALU_DEP_3) | instskip(NEXT) | instid1(VALU_DEP_1)
	v_add3_u32 v16, v16, v18, v10
	v_lshlrev_b64 v[17:18], 3, v[15:16]
	v_add_co_u32 v15, s0, s12, v15
	s_delay_alu instid0(VALU_DEP_1) | instskip(NEXT) | instid1(VALU_DEP_3)
	v_add_co_ci_u32_e64 v16, s0, s13, v16, s0
	v_add_co_u32 v17, s0, s8, v17
	s_delay_alu instid0(VALU_DEP_1) | instskip(SKIP_4) | instid1(VALU_DEP_2)
	v_add_co_ci_u32_e64 v18, s0, s9, v18, s0
	v_cmp_gt_f64_e32 vcc_lo, s[18:19], v[8:9]
	v_cndmask_b32_e64 v24, 0, 0x3ff00000, vcc_lo
	v_cndmask_b32_e64 v10, 0, 1, vcc_lo
	s_waitcnt vmcnt(0)
	v_mul_f64 v[8:9], v[4:5], v[23:24]
	s_delay_alu instid0(VALU_DEP_1)
	v_mul_f64 v[8:9], v[25:26], v[8:9]
	global_store_b64 v[17:18], v[8:9], off
	global_store_b8 v[15:16], v10, off
	s_or_b32 exec_lo, exec_lo, s1
	s_and_saveexec_b32 s1, s3
	s_cbranch_execz .LBB33_7
.LBB33_61:                              ;   in Loop: Header=BB33_8 Depth=1
	v_cvt_f32_u32_e32 v8, v11
	v_mul_lo_u32 v15, v31, s10
	v_mul_lo_u32 v16, v30, s11
	v_mad_u64_u32 v[10:11], null, v30, s10, 0
	s_delay_alu instid0(VALU_DEP_4) | instskip(NEXT) | instid1(VALU_DEP_1)
	v_fmaak_f32 v8, 0x2f800000, v8, 0x2f800000
	v_cvt_f64_f32_e32 v[8:9], v8
	s_delay_alu instid0(VALU_DEP_3) | instskip(NEXT) | instid1(VALU_DEP_1)
	v_add3_u32 v11, v11, v16, v15
	v_lshlrev_b64 v[15:16], 3, v[10:11]
	v_add_co_u32 v10, s0, s12, v10
	s_delay_alu instid0(VALU_DEP_1) | instskip(NEXT) | instid1(VALU_DEP_3)
	v_add_co_ci_u32_e64 v11, s0, s13, v11, s0
	v_add_co_u32 v15, s0, s8, v15
	s_delay_alu instid0(VALU_DEP_1) | instskip(SKIP_4) | instid1(VALU_DEP_2)
	v_add_co_ci_u32_e64 v16, s0, s9, v16, s0
	v_cmp_gt_f64_e32 vcc_lo, s[18:19], v[8:9]
	v_cndmask_b32_e64 v24, 0, 0x3ff00000, vcc_lo
	v_cndmask_b32_e64 v17, 0, 1, vcc_lo
	s_waitcnt vmcnt(0)
	v_mul_f64 v[8:9], v[6:7], v[23:24]
	s_delay_alu instid0(VALU_DEP_1)
	v_mul_f64 v[8:9], v[25:26], v[8:9]
	global_store_b64 v[15:16], v[8:9], off
	global_store_b8 v[10:11], v17, off
	s_branch .LBB33_7
.LBB33_62:
	s_endpgm
.LBB33_63:
                                        ; implicit-def: $sgpr2_sgpr3
	s_branch .LBB33_4
	.section	.rodata,"a",@progbits
	.p2align	6, 0x0
	.amdhsa_kernel _ZN2at6native12_GLOBAL__N_120fused_dropout_kernelIddmLin1ELi1EbEEvNS_4cuda6detail10TensorInfoIKT_T1_EENS5_IS6_S8_EENS5_IT4_S8_EES8_T0_NS_15PhiloxCudaStateE
		.amdhsa_group_segment_fixed_size 0
		.amdhsa_private_segment_fixed_size 0
		.amdhsa_kernarg_size 1552
		.amdhsa_user_sgpr_count 15
		.amdhsa_user_sgpr_dispatch_ptr 0
		.amdhsa_user_sgpr_queue_ptr 0
		.amdhsa_user_sgpr_kernarg_segment_ptr 1
		.amdhsa_user_sgpr_dispatch_id 0
		.amdhsa_user_sgpr_private_segment_size 0
		.amdhsa_wavefront_size32 1
		.amdhsa_uses_dynamic_stack 0
		.amdhsa_enable_private_segment 0
		.amdhsa_system_sgpr_workgroup_id_x 1
		.amdhsa_system_sgpr_workgroup_id_y 0
		.amdhsa_system_sgpr_workgroup_id_z 0
		.amdhsa_system_sgpr_workgroup_info 0
		.amdhsa_system_vgpr_workitem_id 0
		.amdhsa_next_free_vgpr 64
		.amdhsa_next_free_sgpr 40
		.amdhsa_reserve_vcc 1
		.amdhsa_float_round_mode_32 0
		.amdhsa_float_round_mode_16_64 0
		.amdhsa_float_denorm_mode_32 3
		.amdhsa_float_denorm_mode_16_64 3
		.amdhsa_dx10_clamp 1
		.amdhsa_ieee_mode 1
		.amdhsa_fp16_overflow 0
		.amdhsa_workgroup_processor_mode 1
		.amdhsa_memory_ordered 1
		.amdhsa_forward_progress 0
		.amdhsa_shared_vgpr_count 0
		.amdhsa_exception_fp_ieee_invalid_op 0
		.amdhsa_exception_fp_denorm_src 0
		.amdhsa_exception_fp_ieee_div_zero 0
		.amdhsa_exception_fp_ieee_overflow 0
		.amdhsa_exception_fp_ieee_underflow 0
		.amdhsa_exception_fp_ieee_inexact 0
		.amdhsa_exception_int_div_zero 0
	.end_amdhsa_kernel
	.section	.text._ZN2at6native12_GLOBAL__N_120fused_dropout_kernelIddmLin1ELi1EbEEvNS_4cuda6detail10TensorInfoIKT_T1_EENS5_IS6_S8_EENS5_IT4_S8_EES8_T0_NS_15PhiloxCudaStateE,"axG",@progbits,_ZN2at6native12_GLOBAL__N_120fused_dropout_kernelIddmLin1ELi1EbEEvNS_4cuda6detail10TensorInfoIKT_T1_EENS5_IS6_S8_EENS5_IT4_S8_EES8_T0_NS_15PhiloxCudaStateE,comdat
.Lfunc_end33:
	.size	_ZN2at6native12_GLOBAL__N_120fused_dropout_kernelIddmLin1ELi1EbEEvNS_4cuda6detail10TensorInfoIKT_T1_EENS5_IS6_S8_EENS5_IT4_S8_EES8_T0_NS_15PhiloxCudaStateE, .Lfunc_end33-_ZN2at6native12_GLOBAL__N_120fused_dropout_kernelIddmLin1ELi1EbEEvNS_4cuda6detail10TensorInfoIKT_T1_EENS5_IS6_S8_EENS5_IT4_S8_EES8_T0_NS_15PhiloxCudaStateE
                                        ; -- End function
	.section	.AMDGPU.csdata,"",@progbits
; Kernel info:
; codeLenInByte = 8260
; NumSgprs: 42
; NumVgprs: 64
; ScratchSize: 0
; MemoryBound: 0
; FloatMode: 240
; IeeeMode: 1
; LDSByteSize: 0 bytes/workgroup (compile time only)
; SGPRBlocks: 5
; VGPRBlocks: 7
; NumSGPRsForWavesPerEU: 42
; NumVGPRsForWavesPerEU: 64
; Occupancy: 16
; WaveLimiterHint : 1
; COMPUTE_PGM_RSRC2:SCRATCH_EN: 0
; COMPUTE_PGM_RSRC2:USER_SGPR: 15
; COMPUTE_PGM_RSRC2:TRAP_HANDLER: 0
; COMPUTE_PGM_RSRC2:TGID_X_EN: 1
; COMPUTE_PGM_RSRC2:TGID_Y_EN: 0
; COMPUTE_PGM_RSRC2:TGID_Z_EN: 0
; COMPUTE_PGM_RSRC2:TIDIG_COMP_CNT: 0
	.section	.text._ZN2at6native12_GLOBAL__N_120fused_dropout_kernelIddmLin1ELin1EbEEvNS_4cuda6detail10TensorInfoIKT_T1_EENS5_IS6_S8_EENS5_IT4_S8_EES8_T0_NS_15PhiloxCudaStateE,"axG",@progbits,_ZN2at6native12_GLOBAL__N_120fused_dropout_kernelIddmLin1ELin1EbEEvNS_4cuda6detail10TensorInfoIKT_T1_EENS5_IS6_S8_EENS5_IT4_S8_EES8_T0_NS_15PhiloxCudaStateE,comdat
	.globl	_ZN2at6native12_GLOBAL__N_120fused_dropout_kernelIddmLin1ELin1EbEEvNS_4cuda6detail10TensorInfoIKT_T1_EENS5_IS6_S8_EENS5_IT4_S8_EES8_T0_NS_15PhiloxCudaStateE ; -- Begin function _ZN2at6native12_GLOBAL__N_120fused_dropout_kernelIddmLin1ELin1EbEEvNS_4cuda6detail10TensorInfoIKT_T1_EENS5_IS6_S8_EENS5_IT4_S8_EES8_T0_NS_15PhiloxCudaStateE
	.p2align	8
	.type	_ZN2at6native12_GLOBAL__N_120fused_dropout_kernelIddmLin1ELin1EbEEvNS_4cuda6detail10TensorInfoIKT_T1_EENS5_IS6_S8_EENS5_IT4_S8_EES8_T0_NS_15PhiloxCudaStateE,@function
_ZN2at6native12_GLOBAL__N_120fused_dropout_kernelIddmLin1ELin1EbEEvNS_4cuda6detail10TensorInfoIKT_T1_EENS5_IS6_S8_EENS5_IT4_S8_EES8_T0_NS_15PhiloxCudaStateE: ; @_ZN2at6native12_GLOBAL__N_120fused_dropout_kernelIddmLin1ELin1EbEEvNS_4cuda6detail10TensorInfoIKT_T1_EENS5_IS6_S8_EENS5_IT4_S8_EES8_T0_NS_15PhiloxCudaStateE
; %bb.0:
	s_clause 0x1
	s_load_b256 s[16:23], s[0:1], 0x4e0
	s_load_b32 s2, s[0:1], 0x508
	s_waitcnt lgkmcnt(0)
	v_dual_mov_b32 v1, s22 :: v_dual_mov_b32 v2, s23
	v_dual_mov_b32 v19, s20 :: v_dual_mov_b32 v20, s21
	s_bitcmp0_b32 s2, 0
	s_mov_b32 s2, 0
	s_cbranch_scc1 .LBB34_2
; %bb.1:
	v_dual_mov_b32 v1, s22 :: v_dual_mov_b32 v2, s23
	v_dual_mov_b32 v3, s20 :: v_dual_mov_b32 v4, s21
	s_load_b64 s[4:5], s[0:1], 0x500
	flat_load_b64 v[1:2], v[1:2]
	flat_load_b64 v[19:20], v[3:4]
	s_waitcnt vmcnt(1) lgkmcnt(0)
	v_add_co_u32 v1, vcc_lo, v1, s4
	v_add_co_ci_u32_e32 v2, vcc_lo, s5, v2, vcc_lo
.LBB34_2:
	s_clause 0x1
	s_load_b32 s3, s[0:1], 0x51c
	s_load_b32 s4, s[0:1], 0x510
	s_waitcnt lgkmcnt(0)
	s_and_b32 s5, s3, 0xffff
	s_add_u32 s6, s16, -1
	s_mul_i32 s30, s4, s5
	s_addc_u32 s3, s17, -1
	s_lshl_b32 s31, s30, 2
	s_cmp_lg_u64 s[2:3], 0
	s_cbranch_scc0 .LBB34_88
; %bb.3:
	v_cvt_f32_u32_e32 v3, s31
	s_sub_u32 s8, 0, s31
	s_subb_u32 s9, 0, 0
	s_delay_alu instid0(VALU_DEP_1) | instskip(NEXT) | instid1(VALU_DEP_1)
	v_fmamk_f32 v3, 0, 0x4f800000, v3
	v_rcp_f32_e32 v3, v3
	s_waitcnt_depctr 0xfff
	v_mul_f32_e32 v3, 0x5f7ffffc, v3
	s_delay_alu instid0(VALU_DEP_1) | instskip(NEXT) | instid1(VALU_DEP_1)
	v_mul_f32_e32 v4, 0x2f800000, v3
	v_trunc_f32_e32 v4, v4
	s_delay_alu instid0(VALU_DEP_1) | instskip(SKIP_1) | instid1(VALU_DEP_2)
	v_fmamk_f32 v3, v4, 0xcf800000, v3
	v_cvt_u32_f32_e32 v4, v4
	v_cvt_u32_f32_e32 v3, v3
	s_delay_alu instid0(VALU_DEP_2) | instskip(NEXT) | instid1(VALU_DEP_2)
	v_readfirstlane_b32 s2, v4
	v_readfirstlane_b32 s7, v3
	s_delay_alu instid0(VALU_DEP_2) | instskip(NEXT) | instid1(VALU_DEP_1)
	s_mul_i32 s10, s8, s2
	s_mul_hi_u32 s12, s8, s7
	s_mul_i32 s11, s9, s7
	s_add_i32 s10, s12, s10
	s_mul_i32 s13, s8, s7
	s_add_i32 s10, s10, s11
	s_mul_hi_u32 s12, s7, s13
	s_mul_hi_u32 s14, s2, s13
	s_mul_i32 s11, s2, s13
	s_mul_hi_u32 s13, s7, s10
	s_mul_i32 s7, s7, s10
	s_mul_hi_u32 s20, s2, s10
	s_add_u32 s7, s12, s7
	s_addc_u32 s12, 0, s13
	s_add_u32 s7, s7, s11
	s_mul_i32 s10, s2, s10
	s_addc_u32 s7, s12, s14
	s_addc_u32 s11, s20, 0
	s_add_u32 s7, s7, s10
	s_addc_u32 s10, 0, s11
	v_add_co_u32 v3, s7, v3, s7
	s_delay_alu instid0(VALU_DEP_1) | instskip(SKIP_1) | instid1(VALU_DEP_1)
	s_cmp_lg_u32 s7, 0
	s_addc_u32 s2, s2, s10
	v_readfirstlane_b32 s7, v3
	s_mul_i32 s10, s8, s2
	s_delay_alu instid0(VALU_DEP_1)
	s_mul_hi_u32 s11, s8, s7
	s_mul_i32 s9, s9, s7
	s_add_i32 s10, s11, s10
	s_mul_i32 s8, s8, s7
	s_add_i32 s10, s10, s9
	s_mul_hi_u32 s11, s2, s8
	s_mul_i32 s12, s2, s8
	s_mul_hi_u32 s8, s7, s8
	s_mul_hi_u32 s13, s7, s10
	s_mul_i32 s7, s7, s10
	s_mul_hi_u32 s9, s2, s10
	s_add_u32 s7, s8, s7
	s_addc_u32 s8, 0, s13
	s_add_u32 s7, s7, s12
	s_mul_i32 s10, s2, s10
	s_addc_u32 s7, s8, s11
	s_addc_u32 s8, s9, 0
	s_add_u32 s7, s7, s10
	s_addc_u32 s8, 0, s8
	v_add_co_u32 v3, s7, v3, s7
	s_delay_alu instid0(VALU_DEP_1) | instskip(SKIP_1) | instid1(VALU_DEP_1)
	s_cmp_lg_u32 s7, 0
	s_addc_u32 s2, s2, s8
	v_readfirstlane_b32 s7, v3
	s_mul_i32 s9, s6, s2
	s_mul_hi_u32 s8, s6, s2
	s_mul_hi_u32 s10, s3, s2
	s_mul_i32 s2, s3, s2
	s_mul_hi_u32 s11, s6, s7
	s_mul_hi_u32 s12, s3, s7
	s_mul_i32 s7, s3, s7
	s_add_u32 s9, s11, s9
	s_addc_u32 s8, 0, s8
	s_add_u32 s7, s9, s7
	s_addc_u32 s7, s8, s12
	s_addc_u32 s8, s10, 0
	s_add_u32 s2, s7, s2
	s_addc_u32 s8, 0, s8
	s_mul_i32 s9, s31, s2
	s_add_u32 s7, s2, 1
	v_sub_co_u32 v3, s9, s6, s9
	s_mul_hi_u32 s10, s31, s2
	s_addc_u32 s11, s8, 0
	s_mul_i32 s12, s31, s8
	s_delay_alu instid0(VALU_DEP_1)
	v_sub_co_u32 v4, s13, v3, s31
	s_add_u32 s14, s2, 2
	s_addc_u32 s20, s8, 0
	s_add_i32 s10, s10, s12
	s_cmp_lg_u32 s9, 0
	v_readfirstlane_b32 s9, v4
	s_subb_u32 s3, s3, s10
	s_cmp_lg_u32 s13, 0
	s_subb_u32 s10, s3, 0
	s_delay_alu instid0(VALU_DEP_1) | instskip(SKIP_4) | instid1(SALU_CYCLE_1)
	s_cmp_ge_u32 s9, s31
	s_cselect_b32 s9, -1, 0
	s_cmp_eq_u32 s10, 0
	v_readfirstlane_b32 s10, v3
	s_cselect_b32 s9, s9, -1
	s_cmp_lg_u32 s9, 0
	s_cselect_b32 s9, s14, s7
	s_cselect_b32 s11, s20, s11
	s_cmp_ge_u32 s10, s31
	s_cselect_b32 s7, -1, 0
	s_cmp_eq_u32 s3, 0
	s_cselect_b32 s3, s7, -1
	s_delay_alu instid0(SALU_CYCLE_1)
	s_cmp_lg_u32 s3, 0
	s_cselect_b32 s3, s11, s8
	s_cselect_b32 s2, s9, s2
	s_cbranch_execnz .LBB34_5
.LBB34_4:
	v_cvt_f32_u32_e32 v3, s31
	s_sub_i32 s3, 0, s31
	s_delay_alu instid0(VALU_DEP_1) | instskip(SKIP_2) | instid1(VALU_DEP_1)
	v_rcp_iflag_f32_e32 v3, v3
	s_waitcnt_depctr 0xfff
	v_mul_f32_e32 v3, 0x4f7ffffe, v3
	v_cvt_u32_f32_e32 v3, v3
	s_delay_alu instid0(VALU_DEP_1) | instskip(NEXT) | instid1(VALU_DEP_1)
	v_readfirstlane_b32 s2, v3
	s_mul_i32 s3, s3, s2
	s_delay_alu instid0(SALU_CYCLE_1) | instskip(NEXT) | instid1(SALU_CYCLE_1)
	s_mul_hi_u32 s3, s2, s3
	s_add_i32 s2, s2, s3
	s_delay_alu instid0(SALU_CYCLE_1) | instskip(NEXT) | instid1(SALU_CYCLE_1)
	s_mul_hi_u32 s2, s6, s2
	s_mul_i32 s3, s2, s31
	s_delay_alu instid0(SALU_CYCLE_1)
	s_sub_i32 s3, s6, s3
	s_add_i32 s6, s2, 1
	s_sub_i32 s7, s3, s31
	s_cmp_ge_u32 s3, s31
	s_cselect_b32 s2, s6, s2
	s_cselect_b32 s3, s7, s3
	s_add_i32 s6, s2, 1
	s_cmp_ge_u32 s3, s31
	s_mov_b32 s3, 0
	s_cselect_b32 s2, s6, s2
.LBB34_5:
	s_delay_alu instid0(SALU_CYCLE_1)
	s_add_u32 s2, s2, 1
	s_addc_u32 s3, s3, 0
	v_mov_b32_e32 v23, 0
	v_mad_u64_u32 v[21:22], null, s15, s5, v[0:1]
	s_mul_i32 s3, s30, s3
	s_mul_hi_u32 s6, s30, s2
	s_mul_hi_u32 s4, s4, s5
	s_add_i32 s3, s6, s3
	s_mul_i32 s4, s4, s2
	v_mov_b32_e32 v22, v23
	s_add_i32 s3, s3, s4
	s_mul_i32 s2, s30, s2
	s_delay_alu instid0(SALU_CYCLE_1)
	s_lshl_b64 s[6:7], s[2:3], 2
	s_mov_b32 s2, exec_lo
	v_cmpx_gt_u64_e64 s[6:7], v[21:22]
	s_cbranch_execz .LBB34_87
; %bb.6:
	v_div_scale_f64 v[3:4], null, s[18:19], s[18:19], 1.0
	v_div_scale_f64 v[9:10], vcc_lo, 1.0, s[18:19], 1.0
	v_alignbit_b32 v38, v2, v1, 2
	v_lshrrev_b32_e32 v39, 2, v2
	s_waitcnt vmcnt(0)
	v_add_co_u32 v41, null, 0x9e3779b9, v19
	v_dual_mov_b32 v26, v20 :: v_dual_add_nc_u32 v57, 0x96a522ad, v20
	v_mad_u64_u32 v[11:12], null, 0xd2511f53, v38, 0
	v_add_co_u32 v42, null, 0x3c6ef372, v19
	s_delay_alu instid0(VALU_DEP_3) | instskip(SKIP_1) | instid1(VALU_DEP_4)
	v_add_co_u32 v43, null, 0x76cf5d0a, v26
	v_add_co_u32 v40, null, 0xbb67ae85, v26
	v_xor_b32_e32 v2, v12, v20
	v_add_co_u32 v44, null, 0x32370b8f, v26
	v_add_co_u32 v45, null, 0xdaa66d2b, v19
	s_delay_alu instid0(VALU_DEP_3)
	v_mad_u64_u32 v[16:17], null, 0xcd9e8d57, v2, 0
	v_add_co_u32 v46, null, 0x78dde6e4, v19
	v_add_co_u32 v47, null, 0xed9eba14, v26
	v_add_co_u32 v48, null, 0x1715609d, v19
	v_add_co_u32 v49, null, 0xa9066899, v26
	v_add_co_u32 v50, null, 0x646e171e, v26
	v_add_co_u32 v51, null, 0xb54cda56, v19
	s_clause 0x1
	s_load_b32 s22, s[0:1], 0x198
	s_load_b64 s[14:15], s[0:1], 0x270
	v_rcp_f64_e32 v[5:6], v[3:4]
	v_add_co_u32 v53, null, 0x1fd5c5a3, v26
	v_add_co_u32 v54, null, 0xdb3d7428, v26
	s_clause 0x1
	s_load_b64 s[8:9], s[0:1], 0x340
	s_load_b32 s24, s[0:1], 0x338
	v_add_co_u32 v52, null, 0x5384540f, v19
	v_add_co_u32 v55, null, 0xf1bbcdc8, v19
	s_add_u32 s25, s0, 0x1a0
	s_addc_u32 s26, s1, 0
	s_clause 0x2
	s_load_b64 s[10:11], s[0:1], 0x1a0
	s_load_b64 s[12:13], s[0:1], 0xd0
	;; [unrolled: 1-line block ×3, first 2 shown]
	s_mov_b32 s5, 0
	v_mov_b32_e32 v28, v22
	v_dual_mov_b32 v27, v21 :: v_dual_and_b32 v58, 3, v1
	s_waitcnt lgkmcnt(0)
	s_cmp_gt_i32 s22, 1
	v_mov_b32_e32 v22, 0
	s_cselect_b32 s33, -1, 0
	s_mul_i32 s37, s30, 3
	s_cmp_gt_i32 s24, 1
	s_cselect_b32 s34, -1, 0
	s_add_i32 s4, s22, -1
	s_lshl_b32 s35, s30, 1
	s_lshl_b64 s[2:3], s[4:5], 3
	s_add_i32 s36, s22, 1
	s_add_u32 s0, s2, s0
	s_addc_u32 s1, s3, s1
	s_add_u32 s22, s0, 8
	s_addc_u32 s23, s1, 0
	s_add_i32 s4, s24, -1
	s_add_i32 s38, s24, 1
	s_lshl_b64 s[0:1], s[4:5], 3
	s_delay_alu instid0(TRANS32_DEP_1) | instskip(SKIP_4) | instid1(VALU_DEP_1)
	v_fma_f64 v[7:8], -v[3:4], v[5:6], 1.0
	s_add_u32 s0, s0, s25
	s_addc_u32 s1, s1, s26
	s_add_u32 s24, s0, 8
	s_addc_u32 s25, s1, 0
	v_fma_f64 v[5:6], v[5:6], v[7:8], v[5:6]
	s_delay_alu instid0(VALU_DEP_1) | instskip(NEXT) | instid1(VALU_DEP_1)
	v_fma_f64 v[7:8], -v[3:4], v[5:6], 1.0
	v_fma_f64 v[5:6], v[5:6], v[7:8], v[5:6]
	v_mad_u64_u32 v[7:8], null, 0xcd9e8d57, v21, 0
	s_delay_alu instid0(VALU_DEP_1) | instskip(NEXT) | instid1(VALU_DEP_2)
	v_xor3_b32 v0, v19, v8, v39
	v_xor3_b32 v2, v17, v41, v7
	s_delay_alu instid0(VALU_DEP_2) | instskip(NEXT) | instid1(VALU_DEP_2)
	v_mad_u64_u32 v[12:13], null, 0xd2511f53, v0, 0
	v_mad_u64_u32 v[17:18], null, 0xd2511f53, v2, 0
	s_delay_alu instid0(VALU_DEP_2) | instskip(NEXT) | instid1(VALU_DEP_2)
	v_xor3_b32 v0, v40, v13, v11
	v_xor3_b32 v2, v18, v43, v12
	s_delay_alu instid0(VALU_DEP_2) | instskip(NEXT) | instid1(VALU_DEP_2)
	v_mad_u64_u32 v[7:8], null, 0xcd9e8d57, v0, 0
	v_mad_u64_u32 v[24:25], null, 0xcd9e8d57, v2, 0
	s_delay_alu instid0(VALU_DEP_2) | instskip(SKIP_1) | instid1(VALU_DEP_2)
	v_xor3_b32 v0, v42, v8, v16
	v_mul_f64 v[14:15], v[9:10], v[5:6]
	v_mad_u64_u32 v[11:12], null, 0xd2511f53, v0, 0
	s_delay_alu instid0(VALU_DEP_1) | instskip(NEXT) | instid1(VALU_DEP_3)
	v_xor3_b32 v0, v44, v12, v17
	v_fma_f64 v[2:3], -v[3:4], v[14:15], v[9:10]
	v_xor3_b32 v4, v25, v45, v7
	s_delay_alu instid0(VALU_DEP_3) | instskip(NEXT) | instid1(VALU_DEP_2)
	v_mad_u64_u32 v[7:8], null, 0xcd9e8d57, v0, 0
	v_mad_u64_u32 v[9:10], null, 0xd2511f53, v4, 0
	s_delay_alu instid0(VALU_DEP_2) | instskip(NEXT) | instid1(VALU_DEP_2)
	v_xor3_b32 v0, v46, v8, v24
	v_xor3_b32 v4, v10, v47, v11
	s_delay_alu instid0(VALU_DEP_2) | instskip(NEXT) | instid1(VALU_DEP_2)
	v_mad_u64_u32 v[10:11], null, 0xd2511f53, v0, 0
	v_mad_u64_u32 v[12:13], null, 0xcd9e8d57, v4, 0
	s_delay_alu instid0(VALU_DEP_2) | instskip(NEXT) | instid1(VALU_DEP_2)
	v_xor3_b32 v4, v49, v11, v9
	v_xor3_b32 v0, v13, v48, v7
	s_delay_alu instid0(VALU_DEP_2) | instskip(NEXT) | instid1(VALU_DEP_2)
	v_mad_u64_u32 v[16:17], null, 0xcd9e8d57, v4, 0
	v_mad_u64_u32 v[7:8], null, 0xd2511f53, v0, 0
	v_div_fmas_f64 v[2:3], v[2:3], v[5:6], v[14:15]
	s_delay_alu instid0(VALU_DEP_3) | instskip(NEXT) | instid1(VALU_DEP_3)
	v_xor3_b32 v6, v51, v17, v12
	v_xor3_b32 v0, v8, v50, v10
	s_delay_alu instid0(VALU_DEP_2) | instskip(NEXT) | instid1(VALU_DEP_2)
	v_mad_u64_u32 v[8:9], null, 0xd2511f53, v6, 0
	v_mad_u64_u32 v[4:5], null, 0xcd9e8d57, v0, 0
	s_delay_alu instid0(VALU_DEP_2) | instskip(NEXT) | instid1(VALU_DEP_2)
	v_xor3_b32 v7, v53, v9, v7
	v_xor3_b32 v0, v5, v52, v16
	s_delay_alu instid0(VALU_DEP_2) | instskip(NEXT) | instid1(VALU_DEP_2)
	v_mad_u64_u32 v[11:12], null, 0xcd9e8d57, v7, 0
	v_mad_u64_u32 v[5:6], null, 0xd2511f53, v0, 0
	s_delay_alu instid0(VALU_DEP_2) | instskip(NEXT) | instid1(VALU_DEP_2)
	v_xor3_b32 v4, v55, v12, v4
	v_xor3_b32 v0, v6, v54, v8
	s_delay_alu instid0(VALU_DEP_1) | instskip(SKIP_1) | instid1(VALU_DEP_4)
	v_mad_u64_u32 v[9:10], null, 0xcd9e8d57, v0, 0
	v_div_fixup_f64 v[25:26], v[2:3], s[18:19], 1.0
	v_mad_u64_u32 v[2:3], null, 0xd2511f53, v4, 0
	v_add_nc_u32_e32 v56, 0x8ff34781, v19
	s_delay_alu instid0(VALU_DEP_1) | instskip(NEXT) | instid1(VALU_DEP_3)
	v_xor3_b32 v8, v11, v10, v56
	v_mov_b32_e32 v11, v2
	s_delay_alu instid0(VALU_DEP_4)
	v_xor3_b32 v10, v3, v5, v57
                                        ; implicit-def: $vgpr0_vgpr1_vgpr2_vgpr3_vgpr4_vgpr5_vgpr6_vgpr7
	s_branch .LBB34_9
.LBB34_7:                               ;   in Loop: Header=BB34_9 Depth=1
	v_cvt_f32_u32_e32 v10, v11
	s_delay_alu instid0(VALU_DEP_3) | instskip(NEXT) | instid1(VALU_DEP_3)
	v_mad_u64_u32 v[17:18], null, s14, v15, v[8:9]
	v_mul_lo_u32 v8, s14, v16
	v_mul_lo_u32 v9, s15, v15
	s_delay_alu instid0(VALU_DEP_4) | instskip(NEXT) | instid1(VALU_DEP_4)
	v_fmaak_f32 v10, 0x2f800000, v10, 0x2f800000
	v_add_co_u32 v15, s0, s8, v17
	s_delay_alu instid0(VALU_DEP_2) | instskip(NEXT) | instid1(VALU_DEP_4)
	v_cvt_f64_f32_e32 v[10:11], v10
	v_add3_u32 v18, v9, v18, v8
	s_delay_alu instid0(VALU_DEP_1) | instskip(SKIP_1) | instid1(VALU_DEP_2)
	v_lshlrev_b64 v[8:9], 3, v[17:18]
	v_add_co_ci_u32_e64 v16, s0, s9, v18, s0
	v_add_co_u32 v8, s0, s10, v8
	s_delay_alu instid0(VALU_DEP_1) | instskip(SKIP_4) | instid1(VALU_DEP_2)
	v_add_co_ci_u32_e64 v9, s0, s11, v9, s0
	v_cmp_gt_f64_e32 vcc_lo, s[18:19], v[10:11]
	v_cndmask_b32_e64 v24, 0, 0x3ff00000, vcc_lo
	v_cndmask_b32_e64 v17, 0, 1, vcc_lo
	s_waitcnt vmcnt(0)
	v_mul_f64 v[10:11], v[6:7], v[23:24]
	s_delay_alu instid0(VALU_DEP_1)
	v_mul_f64 v[10:11], v[25:26], v[10:11]
	global_store_b64 v[8:9], v[10:11], off
	global_store_b8 v[15:16], v17, off
.LBB34_8:                               ;   in Loop: Header=BB34_9 Depth=1
	s_or_b32 exec_lo, exec_lo, s1
	v_add_co_u32 v27, vcc_lo, v27, s31
	v_add_co_ci_u32_e32 v28, vcc_lo, 0, v28, vcc_lo
	v_mov_b32_e32 v15, v29
	v_dual_mov_b32 v8, v12 :: v_dual_mov_b32 v9, v13
	s_delay_alu instid0(VALU_DEP_3) | instskip(NEXT) | instid1(VALU_DEP_3)
	v_cmp_le_u64_e32 vcc_lo, s[6:7], v[27:28]
	v_dual_mov_b32 v10, v14 :: v_dual_mov_b32 v11, v15
	s_waitcnt vmcnt(0)
	s_waitcnt_vscnt null, 0x0
	s_barrier
	buffer_gl0_inv
	s_or_b32 s5, vcc_lo, s5
	s_delay_alu instid0(SALU_CYCLE_1)
	s_and_not1_b32 exec_lo, exec_lo, s5
	s_cbranch_execz .LBB34_87
.LBB34_9:                               ; =>This Loop Header: Depth=1
                                        ;     Child Loop BB34_21 Depth 2
                                        ;     Child Loop BB34_30 Depth 2
	;; [unrolled: 1-line block ×8, first 2 shown]
	v_add_co_u32 v38, vcc_lo, v38, 1
	s_delay_alu instid0(VALU_DEP_1) | instskip(SKIP_2) | instid1(VALU_DEP_1)
	v_cndmask_b32_e64 v12, 0, 1, vcc_lo
	v_add_co_ci_u32_e32 v39, vcc_lo, 0, v39, vcc_lo
	s_mov_b32 s0, exec_lo
	v_cmp_eq_u32_e32 vcc_lo, 0, v39
	s_delay_alu instid0(VALU_DEP_3) | instskip(NEXT) | instid1(VALU_DEP_1)
	v_cndmask_b32_e32 v12, 0, v12, vcc_lo
	v_add_nc_u32_e32 v21, v12, v21
	s_delay_alu instid0(VALU_DEP_1) | instskip(SKIP_2) | instid1(VALU_DEP_2)
	v_cmp_eq_u32_e32 vcc_lo, 0, v21
	v_cndmask_b32_e32 v12, 0, v12, vcc_lo
	v_mad_u64_u32 v[14:15], null, 0xcd9e8d57, v21, 0
	v_add_nc_u32_e32 v22, v12, v22
	v_mad_u64_u32 v[12:13], null, 0xd2511f53, v38, 0
	s_delay_alu instid0(VALU_DEP_3) | instskip(NEXT) | instid1(VALU_DEP_2)
	v_xor3_b32 v17, v15, v19, v39
	v_xor_b32_e32 v13, v13, v20
	s_delay_alu instid0(VALU_DEP_2) | instskip(NEXT) | instid1(VALU_DEP_2)
	v_mad_u64_u32 v[15:16], null, 0xd2511f53, v17, 0
	v_xor_b32_e32 v13, v22, v13
	s_delay_alu instid0(VALU_DEP_2) | instskip(NEXT) | instid1(VALU_DEP_2)
	v_xor3_b32 v16, v40, v16, v12
	v_mad_u64_u32 v[17:18], null, 0xcd9e8d57, v13, 0
	s_delay_alu instid0(VALU_DEP_2) | instskip(NEXT) | instid1(VALU_DEP_2)
	v_mad_u64_u32 v[12:13], null, 0xcd9e8d57, v16, 0
	v_xor3_b32 v14, v41, v18, v14
	s_delay_alu instid0(VALU_DEP_2) | instskip(NEXT) | instid1(VALU_DEP_2)
	v_xor3_b32 v16, v42, v13, v17
	v_mad_u64_u32 v[29:30], null, 0xd2511f53, v14, 0
	s_delay_alu instid0(VALU_DEP_2) | instskip(NEXT) | instid1(VALU_DEP_2)
	v_mad_u64_u32 v[13:14], null, 0xd2511f53, v16, 0
	v_xor3_b32 v17, v43, v30, v15
	s_delay_alu instid0(VALU_DEP_2) | instskip(NEXT) | instid1(VALU_DEP_2)
	v_xor3_b32 v14, v44, v14, v29
	v_mad_u64_u32 v[15:16], null, 0xcd9e8d57, v17, 0
	s_delay_alu instid0(VALU_DEP_1) | instskip(NEXT) | instid1(VALU_DEP_3)
	v_xor3_b32 v12, v45, v16, v12
	v_mad_u64_u32 v[16:17], null, 0xcd9e8d57, v14, 0
	s_delay_alu instid0(VALU_DEP_2) | instskip(NEXT) | instid1(VALU_DEP_2)
	v_mad_u64_u32 v[29:30], null, 0xd2511f53, v12, 0
	v_xor3_b32 v14, v46, v17, v15
	s_delay_alu instid0(VALU_DEP_2) | instskip(NEXT) | instid1(VALU_DEP_2)
	v_xor3_b32 v17, v47, v30, v13
	v_mad_u64_u32 v[12:13], null, 0xd2511f53, v14, 0
	s_delay_alu instid0(VALU_DEP_2) | instskip(NEXT) | instid1(VALU_DEP_2)
	v_mad_u64_u32 v[14:15], null, 0xcd9e8d57, v17, 0
	v_xor3_b32 v13, v49, v13, v29
	s_delay_alu instid0(VALU_DEP_2) | instskip(NEXT) | instid1(VALU_DEP_2)
	v_xor3_b32 v24, v48, v15, v16
	v_mad_u64_u32 v[15:16], null, 0xcd9e8d57, v13, 0
	s_delay_alu instid0(VALU_DEP_2) | instskip(NEXT) | instid1(VALU_DEP_2)
	v_mad_u64_u32 v[17:18], null, 0xd2511f53, v24, 0
	v_xor3_b32 v14, v51, v16, v14
	s_delay_alu instid0(VALU_DEP_2) | instskip(NEXT) | instid1(VALU_DEP_2)
	v_xor3_b32 v16, v50, v18, v12
	v_mad_u64_u32 v[12:13], null, 0xd2511f53, v14, 0
	s_delay_alu instid0(VALU_DEP_2) | instskip(NEXT) | instid1(VALU_DEP_2)
	v_mad_u64_u32 v[29:30], null, 0xcd9e8d57, v16, 0
	v_xor3_b32 v13, v53, v13, v17
	s_delay_alu instid0(VALU_DEP_2) | instskip(NEXT) | instid1(VALU_DEP_2)
	v_xor3_b32 v14, v52, v30, v15
	v_mad_u64_u32 v[15:16], null, 0xcd9e8d57, v13, 0
	s_delay_alu instid0(VALU_DEP_2) | instskip(NEXT) | instid1(VALU_DEP_2)
	v_mad_u64_u32 v[17:18], null, 0xd2511f53, v14, 0
	v_xor3_b32 v13, v55, v16, v29
	s_delay_alu instid0(VALU_DEP_2) | instskip(NEXT) | instid1(VALU_DEP_2)
	v_xor3_b32 v12, v54, v18, v12
	v_mad_u64_u32 v[29:30], null, 0xd2511f53, v13, 0
	s_delay_alu instid0(VALU_DEP_2) | instskip(NEXT) | instid1(VALU_DEP_2)
	v_mad_u64_u32 v[13:14], null, 0xcd9e8d57, v12, 0
	v_xor3_b32 v18, v30, v17, v57
	s_delay_alu instid0(VALU_DEP_2) | instskip(NEXT) | instid1(VALU_DEP_2)
	v_xor3_b32 v12, v14, v15, v56
	v_mov_b32_e32 v14, v18
	v_cmpx_lt_i32_e32 1, v58
	s_xor_b32 s0, exec_lo, s0
	s_cbranch_execnz .LBB34_12
; %bb.10:                               ;   in Loop: Header=BB34_9 Depth=1
	s_and_not1_saveexec_b32 s0, s0
	s_cbranch_execnz .LBB34_17
.LBB34_11:                              ;   in Loop: Header=BB34_9 Depth=1
	s_or_b32 exec_lo, exec_lo, s0
	v_cmp_gt_u64_e64 s3, s[16:17], v[27:28]
	s_delay_alu instid0(VALU_DEP_1)
	s_and_saveexec_b32 s1, s3
	s_cbranch_execnz .LBB34_20
	s_branch .LBB34_28
.LBB34_12:                              ;   in Loop: Header=BB34_9 Depth=1
	s_mov_b32 s1, exec_lo
	v_cmpx_lt_i32_e32 2, v58
	s_xor_b32 s1, exec_lo, s1
; %bb.13:                               ;   in Loop: Header=BB34_9 Depth=1
	v_dual_mov_b32 v15, v11 :: v_dual_mov_b32 v16, v12
	v_mov_b32_e32 v17, v13
	s_delay_alu instid0(VALU_DEP_2) | instskip(NEXT) | instid1(VALU_DEP_2)
	v_dual_mov_b32 v8, v15 :: v_dual_mov_b32 v9, v16
	v_dual_mov_b32 v10, v17 :: v_dual_mov_b32 v11, v18
; %bb.14:                               ;   in Loop: Header=BB34_9 Depth=1
	s_and_not1_saveexec_b32 s1, s1
; %bb.15:                               ;   in Loop: Header=BB34_9 Depth=1
	s_delay_alu instid0(VALU_DEP_1)
	v_dual_mov_b32 v8, v10 :: v_dual_mov_b32 v9, v11
	v_dual_mov_b32 v10, v12 :: v_dual_mov_b32 v11, v13
; %bb.16:                               ;   in Loop: Header=BB34_9 Depth=1
	s_or_b32 exec_lo, exec_lo, s1
	s_and_not1_saveexec_b32 s0, s0
	s_cbranch_execz .LBB34_11
.LBB34_17:                              ;   in Loop: Header=BB34_9 Depth=1
	s_mov_b32 s1, exec_lo
	v_cmpx_eq_u32_e32 1, v58
; %bb.18:                               ;   in Loop: Header=BB34_9 Depth=1
	v_dual_mov_b32 v8, v9 :: v_dual_mov_b32 v9, v10
	v_dual_mov_b32 v10, v11 :: v_dual_mov_b32 v11, v12
; %bb.19:                               ;   in Loop: Header=BB34_9 Depth=1
	s_or_b32 exec_lo, exec_lo, s1
	s_delay_alu instid0(SALU_CYCLE_1) | instskip(SKIP_1) | instid1(VALU_DEP_1)
	s_or_b32 exec_lo, exec_lo, s0
	v_cmp_gt_u64_e64 s3, s[16:17], v[27:28]
	s_and_saveexec_b32 s1, s3
	s_cbranch_execz .LBB34_28
.LBB34_20:                              ;   in Loop: Header=BB34_9 Depth=1
	v_dual_mov_b32 v0, 0 :: v_dual_mov_b32 v15, v27
	v_dual_mov_b32 v1, 0 :: v_dual_mov_b32 v16, v28
	;; [unrolled: 1-line block ×3, first 2 shown]
	s_and_not1_b32 vcc_lo, exec_lo, s33
	s_mov_b64 s[26:27], s[22:23]
	s_mov_b32 s2, s36
	s_cbranch_vccnz .LBB34_27
.LBB34_21:                              ;   Parent Loop BB34_9 Depth=1
                                        ; =>  This Inner Loop Header: Depth=2
	s_load_b64 s[28:29], s[26:27], 0x0
                                        ; implicit-def: $vgpr17_vgpr18
	s_mov_b32 s0, exec_lo
	s_waitcnt lgkmcnt(0)
	v_or_b32_e32 v24, s29, v16
	s_delay_alu instid0(VALU_DEP_1)
	v_cmpx_ne_u64_e32 0, v[23:24]
	s_xor_b32 s4, exec_lo, s0
	s_cbranch_execz .LBB34_23
; %bb.22:                               ;   in Loop: Header=BB34_21 Depth=2
	v_cvt_f32_u32_e32 v17, s28
	v_cvt_f32_u32_e32 v18, s29
	s_sub_u32 s0, 0, s28
	s_subb_u32 s39, 0, s29
	s_delay_alu instid0(VALU_DEP_1) | instskip(NEXT) | instid1(VALU_DEP_1)
	v_fmac_f32_e32 v17, 0x4f800000, v18
	v_rcp_f32_e32 v17, v17
	s_waitcnt_depctr 0xfff
	v_mul_f32_e32 v17, 0x5f7ffffc, v17
	s_delay_alu instid0(VALU_DEP_1) | instskip(NEXT) | instid1(VALU_DEP_1)
	v_mul_f32_e32 v18, 0x2f800000, v17
	v_trunc_f32_e32 v18, v18
	s_delay_alu instid0(VALU_DEP_1) | instskip(SKIP_1) | instid1(VALU_DEP_2)
	v_fmac_f32_e32 v17, 0xcf800000, v18
	v_cvt_u32_f32_e32 v18, v18
	v_cvt_u32_f32_e32 v17, v17
	s_delay_alu instid0(VALU_DEP_2) | instskip(NEXT) | instid1(VALU_DEP_2)
	v_mul_lo_u32 v24, s0, v18
	v_mul_hi_u32 v30, s0, v17
	v_mul_lo_u32 v31, s39, v17
	s_delay_alu instid0(VALU_DEP_2) | instskip(SKIP_1) | instid1(VALU_DEP_2)
	v_add_nc_u32_e32 v24, v30, v24
	v_mul_lo_u32 v30, s0, v17
	v_add_nc_u32_e32 v24, v24, v31
	s_delay_alu instid0(VALU_DEP_2) | instskip(NEXT) | instid1(VALU_DEP_2)
	v_mul_hi_u32 v31, v17, v30
	v_mul_lo_u32 v32, v17, v24
	v_mul_hi_u32 v33, v17, v24
	v_mul_hi_u32 v34, v18, v30
	v_mul_lo_u32 v30, v18, v30
	v_mul_hi_u32 v35, v18, v24
	v_mul_lo_u32 v24, v18, v24
	v_add_co_u32 v31, vcc_lo, v31, v32
	v_add_co_ci_u32_e32 v32, vcc_lo, 0, v33, vcc_lo
	s_delay_alu instid0(VALU_DEP_2) | instskip(NEXT) | instid1(VALU_DEP_2)
	v_add_co_u32 v30, vcc_lo, v31, v30
	v_add_co_ci_u32_e32 v30, vcc_lo, v32, v34, vcc_lo
	v_add_co_ci_u32_e32 v31, vcc_lo, 0, v35, vcc_lo
	s_delay_alu instid0(VALU_DEP_2) | instskip(NEXT) | instid1(VALU_DEP_2)
	v_add_co_u32 v24, vcc_lo, v30, v24
	v_add_co_ci_u32_e32 v30, vcc_lo, 0, v31, vcc_lo
	s_delay_alu instid0(VALU_DEP_2) | instskip(NEXT) | instid1(VALU_DEP_2)
	v_add_co_u32 v17, vcc_lo, v17, v24
	v_add_co_ci_u32_e32 v18, vcc_lo, v18, v30, vcc_lo
	s_delay_alu instid0(VALU_DEP_2) | instskip(SKIP_1) | instid1(VALU_DEP_3)
	v_mul_hi_u32 v24, s0, v17
	v_mul_lo_u32 v31, s39, v17
	v_mul_lo_u32 v30, s0, v18
	s_delay_alu instid0(VALU_DEP_1) | instskip(SKIP_1) | instid1(VALU_DEP_2)
	v_add_nc_u32_e32 v24, v24, v30
	v_mul_lo_u32 v30, s0, v17
	v_add_nc_u32_e32 v24, v24, v31
	s_delay_alu instid0(VALU_DEP_2) | instskip(NEXT) | instid1(VALU_DEP_2)
	v_mul_hi_u32 v31, v17, v30
	v_mul_lo_u32 v32, v17, v24
	v_mul_hi_u32 v33, v17, v24
	v_mul_hi_u32 v34, v18, v30
	v_mul_lo_u32 v30, v18, v30
	v_mul_hi_u32 v35, v18, v24
	v_mul_lo_u32 v24, v18, v24
	v_add_co_u32 v31, vcc_lo, v31, v32
	v_add_co_ci_u32_e32 v32, vcc_lo, 0, v33, vcc_lo
	s_delay_alu instid0(VALU_DEP_2) | instskip(NEXT) | instid1(VALU_DEP_2)
	v_add_co_u32 v30, vcc_lo, v31, v30
	v_add_co_ci_u32_e32 v30, vcc_lo, v32, v34, vcc_lo
	v_add_co_ci_u32_e32 v31, vcc_lo, 0, v35, vcc_lo
	s_delay_alu instid0(VALU_DEP_2) | instskip(NEXT) | instid1(VALU_DEP_2)
	v_add_co_u32 v24, vcc_lo, v30, v24
	v_add_co_ci_u32_e32 v30, vcc_lo, 0, v31, vcc_lo
	s_delay_alu instid0(VALU_DEP_2) | instskip(NEXT) | instid1(VALU_DEP_2)
	v_add_co_u32 v24, vcc_lo, v17, v24
	v_add_co_ci_u32_e32 v34, vcc_lo, v18, v30, vcc_lo
	s_delay_alu instid0(VALU_DEP_2) | instskip(SKIP_1) | instid1(VALU_DEP_3)
	v_mul_hi_u32 v35, v15, v24
	v_mad_u64_u32 v[30:31], null, v16, v24, 0
	v_mad_u64_u32 v[17:18], null, v15, v34, 0
	;; [unrolled: 1-line block ×3, first 2 shown]
	s_delay_alu instid0(VALU_DEP_2) | instskip(NEXT) | instid1(VALU_DEP_3)
	v_add_co_u32 v17, vcc_lo, v35, v17
	v_add_co_ci_u32_e32 v18, vcc_lo, 0, v18, vcc_lo
	s_delay_alu instid0(VALU_DEP_2) | instskip(NEXT) | instid1(VALU_DEP_2)
	v_add_co_u32 v17, vcc_lo, v17, v30
	v_add_co_ci_u32_e32 v17, vcc_lo, v18, v31, vcc_lo
	v_add_co_ci_u32_e32 v18, vcc_lo, 0, v33, vcc_lo
	s_delay_alu instid0(VALU_DEP_2) | instskip(NEXT) | instid1(VALU_DEP_2)
	v_add_co_u32 v24, vcc_lo, v17, v32
	v_add_co_ci_u32_e32 v30, vcc_lo, 0, v18, vcc_lo
	s_delay_alu instid0(VALU_DEP_2) | instskip(SKIP_1) | instid1(VALU_DEP_3)
	v_mul_lo_u32 v31, s29, v24
	v_mad_u64_u32 v[17:18], null, s28, v24, 0
	v_mul_lo_u32 v32, s28, v30
	s_delay_alu instid0(VALU_DEP_2) | instskip(NEXT) | instid1(VALU_DEP_2)
	v_sub_co_u32 v17, vcc_lo, v15, v17
	v_add3_u32 v18, v18, v32, v31
	s_delay_alu instid0(VALU_DEP_1) | instskip(NEXT) | instid1(VALU_DEP_1)
	v_sub_nc_u32_e32 v31, v16, v18
	v_subrev_co_ci_u32_e64 v31, s0, s29, v31, vcc_lo
	v_add_co_u32 v32, s0, v24, 2
	s_delay_alu instid0(VALU_DEP_1) | instskip(SKIP_3) | instid1(VALU_DEP_3)
	v_add_co_ci_u32_e64 v33, s0, 0, v30, s0
	v_sub_co_u32 v34, s0, v17, s28
	v_sub_co_ci_u32_e32 v18, vcc_lo, v16, v18, vcc_lo
	v_subrev_co_ci_u32_e64 v31, s0, 0, v31, s0
	v_cmp_le_u32_e32 vcc_lo, s28, v34
	s_delay_alu instid0(VALU_DEP_3) | instskip(SKIP_1) | instid1(VALU_DEP_4)
	v_cmp_eq_u32_e64 s0, s29, v18
	v_cndmask_b32_e64 v34, 0, -1, vcc_lo
	v_cmp_le_u32_e32 vcc_lo, s29, v31
	v_cndmask_b32_e64 v35, 0, -1, vcc_lo
	v_cmp_le_u32_e32 vcc_lo, s28, v17
	;; [unrolled: 2-line block ×3, first 2 shown]
	v_cndmask_b32_e64 v36, 0, -1, vcc_lo
	v_cmp_eq_u32_e32 vcc_lo, s29, v31
	s_delay_alu instid0(VALU_DEP_2) | instskip(SKIP_3) | instid1(VALU_DEP_3)
	v_cndmask_b32_e64 v17, v36, v17, s0
	v_cndmask_b32_e32 v31, v35, v34, vcc_lo
	v_add_co_u32 v34, vcc_lo, v24, 1
	v_add_co_ci_u32_e32 v35, vcc_lo, 0, v30, vcc_lo
	v_cmp_ne_u32_e32 vcc_lo, 0, v31
	s_delay_alu instid0(VALU_DEP_2) | instskip(SKIP_1) | instid1(VALU_DEP_2)
	v_dual_cndmask_b32 v31, v34, v32 :: v_dual_cndmask_b32 v18, v35, v33
	v_cmp_ne_u32_e32 vcc_lo, 0, v17
	v_dual_cndmask_b32 v17, v24, v31 :: v_dual_cndmask_b32 v18, v30, v18
.LBB34_23:                              ;   in Loop: Header=BB34_21 Depth=2
	s_and_not1_saveexec_b32 s0, s4
	s_cbranch_execz .LBB34_25
; %bb.24:                               ;   in Loop: Header=BB34_21 Depth=2
	v_cvt_f32_u32_e32 v17, s28
	s_sub_i32 s4, 0, s28
	s_delay_alu instid0(VALU_DEP_1) | instskip(SKIP_2) | instid1(VALU_DEP_1)
	v_rcp_iflag_f32_e32 v17, v17
	s_waitcnt_depctr 0xfff
	v_mul_f32_e32 v17, 0x4f7ffffe, v17
	v_cvt_u32_f32_e32 v17, v17
	s_delay_alu instid0(VALU_DEP_1) | instskip(NEXT) | instid1(VALU_DEP_1)
	v_mul_lo_u32 v18, s4, v17
	v_mul_hi_u32 v18, v17, v18
	s_delay_alu instid0(VALU_DEP_1) | instskip(NEXT) | instid1(VALU_DEP_1)
	v_add_nc_u32_e32 v17, v17, v18
	v_mul_hi_u32 v17, v15, v17
	s_delay_alu instid0(VALU_DEP_1) | instskip(SKIP_1) | instid1(VALU_DEP_2)
	v_mul_lo_u32 v18, v17, s28
	v_add_nc_u32_e32 v24, 1, v17
	v_sub_nc_u32_e32 v18, v15, v18
	s_delay_alu instid0(VALU_DEP_1) | instskip(SKIP_1) | instid1(VALU_DEP_2)
	v_subrev_nc_u32_e32 v30, s28, v18
	v_cmp_le_u32_e32 vcc_lo, s28, v18
	v_dual_cndmask_b32 v18, v18, v30 :: v_dual_cndmask_b32 v17, v17, v24
	s_delay_alu instid0(VALU_DEP_1) | instskip(SKIP_1) | instid1(VALU_DEP_3)
	v_cmp_le_u32_e32 vcc_lo, s28, v18
	v_mov_b32_e32 v18, v23
	v_add_nc_u32_e32 v24, 1, v17
	s_delay_alu instid0(VALU_DEP_1)
	v_cndmask_b32_e32 v17, v17, v24, vcc_lo
.LBB34_25:                              ;   in Loop: Header=BB34_21 Depth=2
	s_or_b32 exec_lo, exec_lo, s0
	s_load_b64 s[40:41], s[26:27], 0xc8
	v_mul_lo_u32 v24, v18, s28
	s_delay_alu instid0(VALU_DEP_2)
	v_mul_lo_u32 v32, v17, s29
	v_mad_u64_u32 v[30:31], null, v17, s28, 0
	s_add_i32 s2, s2, -1
	s_add_u32 s26, s26, -8
	s_addc_u32 s27, s27, -1
	s_cmp_gt_u32 s2, 2
	s_delay_alu instid0(VALU_DEP_1) | instskip(NEXT) | instid1(VALU_DEP_2)
	v_add3_u32 v24, v31, v32, v24
	v_sub_co_u32 v30, vcc_lo, v15, v30
	s_delay_alu instid0(VALU_DEP_2) | instskip(SKIP_1) | instid1(VALU_DEP_2)
	v_sub_co_ci_u32_e32 v15, vcc_lo, v16, v24, vcc_lo
	s_waitcnt lgkmcnt(0)
	v_mul_lo_u32 v31, s41, v30
	s_delay_alu instid0(VALU_DEP_2) | instskip(SKIP_1) | instid1(VALU_DEP_1)
	v_mul_lo_u32 v24, s40, v15
	v_mad_u64_u32 v[15:16], null, s40, v30, v[0:1]
	v_add3_u32 v1, v31, v16, v24
	s_delay_alu instid0(VALU_DEP_2)
	v_mov_b32_e32 v0, v15
	s_cbranch_scc0 .LBB34_27
; %bb.26:                               ;   in Loop: Header=BB34_21 Depth=2
	v_dual_mov_b32 v15, v17 :: v_dual_mov_b32 v16, v18
	s_branch .LBB34_21
.LBB34_27:                              ;   in Loop: Header=BB34_9 Depth=1
	v_mul_lo_u32 v24, s13, v17
	v_mul_lo_u32 v18, s12, v18
	v_mad_u64_u32 v[15:16], null, s12, v17, 0
	v_lshlrev_b64 v[0:1], 3, v[0:1]
	s_delay_alu instid0(VALU_DEP_2) | instskip(NEXT) | instid1(VALU_DEP_1)
	v_add3_u32 v16, v16, v18, v24
	v_lshlrev_b64 v[15:16], 3, v[15:16]
	s_delay_alu instid0(VALU_DEP_1) | instskip(NEXT) | instid1(VALU_DEP_2)
	v_add_co_u32 v15, vcc_lo, s20, v15
	v_add_co_ci_u32_e32 v16, vcc_lo, s21, v16, vcc_lo
	s_delay_alu instid0(VALU_DEP_2) | instskip(NEXT) | instid1(VALU_DEP_2)
	v_add_co_u32 v0, vcc_lo, v15, v0
	v_add_co_ci_u32_e32 v1, vcc_lo, v16, v1, vcc_lo
	global_load_b64 v[0:1], v[0:1], off
.LBB34_28:                              ;   in Loop: Header=BB34_9 Depth=1
	s_or_b32 exec_lo, exec_lo, s1
	v_add_co_u32 v30, vcc_lo, v27, s30
	v_add_co_ci_u32_e32 v31, vcc_lo, 0, v28, vcc_lo
	s_delay_alu instid0(VALU_DEP_1) | instskip(NEXT) | instid1(VALU_DEP_1)
	v_cmp_gt_u64_e64 s2, s[16:17], v[30:31]
	s_and_saveexec_b32 s1, s2
	s_cbranch_execz .LBB34_37
; %bb.29:                               ;   in Loop: Header=BB34_9 Depth=1
	v_dual_mov_b32 v2, 0 :: v_dual_mov_b32 v15, v30
	v_dual_mov_b32 v3, 0 :: v_dual_mov_b32 v16, v31
	;; [unrolled: 1-line block ×3, first 2 shown]
	s_and_not1_b32 vcc_lo, exec_lo, s33
	s_mov_b64 s[26:27], s[22:23]
	s_mov_b32 s4, s36
	s_cbranch_vccnz .LBB34_36
.LBB34_30:                              ;   Parent Loop BB34_9 Depth=1
                                        ; =>  This Inner Loop Header: Depth=2
	s_load_b64 s[28:29], s[26:27], 0x0
                                        ; implicit-def: $vgpr17_vgpr18
	s_mov_b32 s0, exec_lo
	s_waitcnt lgkmcnt(0)
	v_or_b32_e32 v24, s29, v16
	s_delay_alu instid0(VALU_DEP_1)
	v_cmpx_ne_u64_e32 0, v[23:24]
	s_xor_b32 s39, exec_lo, s0
	s_cbranch_execz .LBB34_32
; %bb.31:                               ;   in Loop: Header=BB34_30 Depth=2
	v_cvt_f32_u32_e32 v17, s28
	v_cvt_f32_u32_e32 v18, s29
	s_sub_u32 s0, 0, s28
	s_subb_u32 s40, 0, s29
	s_delay_alu instid0(VALU_DEP_1) | instskip(NEXT) | instid1(VALU_DEP_1)
	v_fmac_f32_e32 v17, 0x4f800000, v18
	v_rcp_f32_e32 v17, v17
	s_waitcnt_depctr 0xfff
	v_mul_f32_e32 v17, 0x5f7ffffc, v17
	s_delay_alu instid0(VALU_DEP_1) | instskip(NEXT) | instid1(VALU_DEP_1)
	v_mul_f32_e32 v18, 0x2f800000, v17
	v_trunc_f32_e32 v18, v18
	s_delay_alu instid0(VALU_DEP_1) | instskip(SKIP_1) | instid1(VALU_DEP_2)
	v_fmac_f32_e32 v17, 0xcf800000, v18
	v_cvt_u32_f32_e32 v18, v18
	v_cvt_u32_f32_e32 v17, v17
	s_delay_alu instid0(VALU_DEP_2) | instskip(NEXT) | instid1(VALU_DEP_2)
	v_mul_lo_u32 v24, s0, v18
	v_mul_hi_u32 v32, s0, v17
	v_mul_lo_u32 v33, s40, v17
	s_delay_alu instid0(VALU_DEP_2) | instskip(SKIP_1) | instid1(VALU_DEP_2)
	v_add_nc_u32_e32 v24, v32, v24
	v_mul_lo_u32 v32, s0, v17
	v_add_nc_u32_e32 v24, v24, v33
	s_delay_alu instid0(VALU_DEP_2) | instskip(NEXT) | instid1(VALU_DEP_2)
	v_mul_hi_u32 v33, v17, v32
	v_mul_lo_u32 v34, v17, v24
	v_mul_hi_u32 v35, v17, v24
	v_mul_hi_u32 v36, v18, v32
	v_mul_lo_u32 v32, v18, v32
	v_mul_hi_u32 v37, v18, v24
	v_mul_lo_u32 v24, v18, v24
	v_add_co_u32 v33, vcc_lo, v33, v34
	v_add_co_ci_u32_e32 v34, vcc_lo, 0, v35, vcc_lo
	s_delay_alu instid0(VALU_DEP_2) | instskip(NEXT) | instid1(VALU_DEP_2)
	v_add_co_u32 v32, vcc_lo, v33, v32
	v_add_co_ci_u32_e32 v32, vcc_lo, v34, v36, vcc_lo
	v_add_co_ci_u32_e32 v33, vcc_lo, 0, v37, vcc_lo
	s_delay_alu instid0(VALU_DEP_2) | instskip(NEXT) | instid1(VALU_DEP_2)
	v_add_co_u32 v24, vcc_lo, v32, v24
	v_add_co_ci_u32_e32 v32, vcc_lo, 0, v33, vcc_lo
	s_delay_alu instid0(VALU_DEP_2) | instskip(NEXT) | instid1(VALU_DEP_2)
	v_add_co_u32 v17, vcc_lo, v17, v24
	v_add_co_ci_u32_e32 v18, vcc_lo, v18, v32, vcc_lo
	s_delay_alu instid0(VALU_DEP_2) | instskip(SKIP_1) | instid1(VALU_DEP_3)
	v_mul_hi_u32 v24, s0, v17
	v_mul_lo_u32 v33, s40, v17
	v_mul_lo_u32 v32, s0, v18
	s_delay_alu instid0(VALU_DEP_1) | instskip(SKIP_1) | instid1(VALU_DEP_2)
	v_add_nc_u32_e32 v24, v24, v32
	v_mul_lo_u32 v32, s0, v17
	v_add_nc_u32_e32 v24, v24, v33
	s_delay_alu instid0(VALU_DEP_2) | instskip(NEXT) | instid1(VALU_DEP_2)
	v_mul_hi_u32 v33, v17, v32
	v_mul_lo_u32 v34, v17, v24
	v_mul_hi_u32 v35, v17, v24
	v_mul_hi_u32 v36, v18, v32
	v_mul_lo_u32 v32, v18, v32
	v_mul_hi_u32 v37, v18, v24
	v_mul_lo_u32 v24, v18, v24
	v_add_co_u32 v33, vcc_lo, v33, v34
	v_add_co_ci_u32_e32 v34, vcc_lo, 0, v35, vcc_lo
	s_delay_alu instid0(VALU_DEP_2) | instskip(NEXT) | instid1(VALU_DEP_2)
	v_add_co_u32 v32, vcc_lo, v33, v32
	v_add_co_ci_u32_e32 v32, vcc_lo, v34, v36, vcc_lo
	v_add_co_ci_u32_e32 v33, vcc_lo, 0, v37, vcc_lo
	s_delay_alu instid0(VALU_DEP_2) | instskip(NEXT) | instid1(VALU_DEP_2)
	v_add_co_u32 v24, vcc_lo, v32, v24
	v_add_co_ci_u32_e32 v32, vcc_lo, 0, v33, vcc_lo
	s_delay_alu instid0(VALU_DEP_2) | instskip(NEXT) | instid1(VALU_DEP_2)
	v_add_co_u32 v24, vcc_lo, v17, v24
	v_add_co_ci_u32_e32 v36, vcc_lo, v18, v32, vcc_lo
	s_delay_alu instid0(VALU_DEP_2) | instskip(SKIP_1) | instid1(VALU_DEP_3)
	v_mul_hi_u32 v37, v15, v24
	v_mad_u64_u32 v[32:33], null, v16, v24, 0
	v_mad_u64_u32 v[17:18], null, v15, v36, 0
	;; [unrolled: 1-line block ×3, first 2 shown]
	s_delay_alu instid0(VALU_DEP_2) | instskip(NEXT) | instid1(VALU_DEP_3)
	v_add_co_u32 v17, vcc_lo, v37, v17
	v_add_co_ci_u32_e32 v18, vcc_lo, 0, v18, vcc_lo
	s_delay_alu instid0(VALU_DEP_2) | instskip(NEXT) | instid1(VALU_DEP_2)
	v_add_co_u32 v17, vcc_lo, v17, v32
	v_add_co_ci_u32_e32 v17, vcc_lo, v18, v33, vcc_lo
	v_add_co_ci_u32_e32 v18, vcc_lo, 0, v35, vcc_lo
	s_delay_alu instid0(VALU_DEP_2) | instskip(NEXT) | instid1(VALU_DEP_2)
	v_add_co_u32 v24, vcc_lo, v17, v34
	v_add_co_ci_u32_e32 v32, vcc_lo, 0, v18, vcc_lo
	s_delay_alu instid0(VALU_DEP_2) | instskip(SKIP_1) | instid1(VALU_DEP_3)
	v_mul_lo_u32 v33, s29, v24
	v_mad_u64_u32 v[17:18], null, s28, v24, 0
	v_mul_lo_u32 v34, s28, v32
	s_delay_alu instid0(VALU_DEP_2) | instskip(NEXT) | instid1(VALU_DEP_2)
	v_sub_co_u32 v17, vcc_lo, v15, v17
	v_add3_u32 v18, v18, v34, v33
	s_delay_alu instid0(VALU_DEP_1) | instskip(NEXT) | instid1(VALU_DEP_1)
	v_sub_nc_u32_e32 v33, v16, v18
	v_subrev_co_ci_u32_e64 v33, s0, s29, v33, vcc_lo
	v_add_co_u32 v34, s0, v24, 2
	s_delay_alu instid0(VALU_DEP_1) | instskip(SKIP_3) | instid1(VALU_DEP_3)
	v_add_co_ci_u32_e64 v35, s0, 0, v32, s0
	v_sub_co_u32 v36, s0, v17, s28
	v_sub_co_ci_u32_e32 v18, vcc_lo, v16, v18, vcc_lo
	v_subrev_co_ci_u32_e64 v33, s0, 0, v33, s0
	v_cmp_le_u32_e32 vcc_lo, s28, v36
	s_delay_alu instid0(VALU_DEP_3) | instskip(SKIP_1) | instid1(VALU_DEP_4)
	v_cmp_eq_u32_e64 s0, s29, v18
	v_cndmask_b32_e64 v36, 0, -1, vcc_lo
	v_cmp_le_u32_e32 vcc_lo, s29, v33
	v_cndmask_b32_e64 v37, 0, -1, vcc_lo
	v_cmp_le_u32_e32 vcc_lo, s28, v17
	;; [unrolled: 2-line block ×3, first 2 shown]
	v_cndmask_b32_e64 v59, 0, -1, vcc_lo
	v_cmp_eq_u32_e32 vcc_lo, s29, v33
	s_delay_alu instid0(VALU_DEP_2) | instskip(SKIP_3) | instid1(VALU_DEP_3)
	v_cndmask_b32_e64 v17, v59, v17, s0
	v_cndmask_b32_e32 v33, v37, v36, vcc_lo
	v_add_co_u32 v36, vcc_lo, v24, 1
	v_add_co_ci_u32_e32 v37, vcc_lo, 0, v32, vcc_lo
	v_cmp_ne_u32_e32 vcc_lo, 0, v33
	s_delay_alu instid0(VALU_DEP_2) | instskip(SKIP_1) | instid1(VALU_DEP_2)
	v_dual_cndmask_b32 v18, v37, v35 :: v_dual_cndmask_b32 v33, v36, v34
	v_cmp_ne_u32_e32 vcc_lo, 0, v17
	v_cndmask_b32_e32 v18, v32, v18, vcc_lo
	s_delay_alu instid0(VALU_DEP_3)
	v_cndmask_b32_e32 v17, v24, v33, vcc_lo
.LBB34_32:                              ;   in Loop: Header=BB34_30 Depth=2
	s_and_not1_saveexec_b32 s0, s39
	s_cbranch_execz .LBB34_34
; %bb.33:                               ;   in Loop: Header=BB34_30 Depth=2
	v_cvt_f32_u32_e32 v17, s28
	s_sub_i32 s39, 0, s28
	s_delay_alu instid0(VALU_DEP_1) | instskip(SKIP_2) | instid1(VALU_DEP_1)
	v_rcp_iflag_f32_e32 v17, v17
	s_waitcnt_depctr 0xfff
	v_mul_f32_e32 v17, 0x4f7ffffe, v17
	v_cvt_u32_f32_e32 v17, v17
	s_delay_alu instid0(VALU_DEP_1) | instskip(NEXT) | instid1(VALU_DEP_1)
	v_mul_lo_u32 v18, s39, v17
	v_mul_hi_u32 v18, v17, v18
	s_delay_alu instid0(VALU_DEP_1) | instskip(NEXT) | instid1(VALU_DEP_1)
	v_add_nc_u32_e32 v17, v17, v18
	v_mul_hi_u32 v17, v15, v17
	s_delay_alu instid0(VALU_DEP_1) | instskip(SKIP_1) | instid1(VALU_DEP_2)
	v_mul_lo_u32 v18, v17, s28
	v_add_nc_u32_e32 v24, 1, v17
	v_sub_nc_u32_e32 v18, v15, v18
	s_delay_alu instid0(VALU_DEP_1) | instskip(SKIP_1) | instid1(VALU_DEP_2)
	v_subrev_nc_u32_e32 v32, s28, v18
	v_cmp_le_u32_e32 vcc_lo, s28, v18
	v_cndmask_b32_e32 v18, v18, v32, vcc_lo
	v_cndmask_b32_e32 v17, v17, v24, vcc_lo
	s_delay_alu instid0(VALU_DEP_2) | instskip(SKIP_1) | instid1(VALU_DEP_3)
	v_cmp_le_u32_e32 vcc_lo, s28, v18
	v_mov_b32_e32 v18, v23
	v_add_nc_u32_e32 v24, 1, v17
	s_delay_alu instid0(VALU_DEP_1)
	v_cndmask_b32_e32 v17, v17, v24, vcc_lo
.LBB34_34:                              ;   in Loop: Header=BB34_30 Depth=2
	s_or_b32 exec_lo, exec_lo, s0
	s_load_b64 s[40:41], s[26:27], 0xc8
	v_mul_lo_u32 v24, v18, s28
	s_delay_alu instid0(VALU_DEP_2)
	v_mul_lo_u32 v34, v17, s29
	v_mad_u64_u32 v[32:33], null, v17, s28, 0
	s_add_i32 s4, s4, -1
	s_add_u32 s26, s26, -8
	s_addc_u32 s27, s27, -1
	s_cmp_gt_u32 s4, 2
	s_delay_alu instid0(VALU_DEP_1) | instskip(NEXT) | instid1(VALU_DEP_2)
	v_add3_u32 v24, v33, v34, v24
	v_sub_co_u32 v32, vcc_lo, v15, v32
	s_delay_alu instid0(VALU_DEP_2) | instskip(SKIP_1) | instid1(VALU_DEP_2)
	v_sub_co_ci_u32_e32 v15, vcc_lo, v16, v24, vcc_lo
	s_waitcnt lgkmcnt(0)
	v_mul_lo_u32 v33, s41, v32
	s_delay_alu instid0(VALU_DEP_2) | instskip(SKIP_1) | instid1(VALU_DEP_1)
	v_mul_lo_u32 v24, s40, v15
	v_mad_u64_u32 v[15:16], null, s40, v32, v[2:3]
	v_add3_u32 v3, v33, v16, v24
	s_delay_alu instid0(VALU_DEP_2)
	v_mov_b32_e32 v2, v15
	s_cbranch_scc0 .LBB34_36
; %bb.35:                               ;   in Loop: Header=BB34_30 Depth=2
	v_dual_mov_b32 v15, v17 :: v_dual_mov_b32 v16, v18
	s_branch .LBB34_30
.LBB34_36:                              ;   in Loop: Header=BB34_9 Depth=1
	v_mul_lo_u32 v24, s13, v17
	v_mul_lo_u32 v18, s12, v18
	v_mad_u64_u32 v[15:16], null, s12, v17, 0
	v_lshlrev_b64 v[2:3], 3, v[2:3]
	s_delay_alu instid0(VALU_DEP_2) | instskip(NEXT) | instid1(VALU_DEP_1)
	v_add3_u32 v16, v16, v18, v24
	v_lshlrev_b64 v[15:16], 3, v[15:16]
	s_delay_alu instid0(VALU_DEP_1) | instskip(NEXT) | instid1(VALU_DEP_2)
	v_add_co_u32 v15, vcc_lo, s20, v15
	v_add_co_ci_u32_e32 v16, vcc_lo, s21, v16, vcc_lo
	s_delay_alu instid0(VALU_DEP_2) | instskip(NEXT) | instid1(VALU_DEP_2)
	v_add_co_u32 v2, vcc_lo, v15, v2
	v_add_co_ci_u32_e32 v3, vcc_lo, v16, v3, vcc_lo
	global_load_b64 v[2:3], v[2:3], off
.LBB34_37:                              ;   in Loop: Header=BB34_9 Depth=1
	s_or_b32 exec_lo, exec_lo, s1
	v_add_co_u32 v17, vcc_lo, v27, s35
	v_add_co_ci_u32_e32 v18, vcc_lo, 0, v28, vcc_lo
	s_delay_alu instid0(VALU_DEP_1) | instskip(NEXT) | instid1(VALU_DEP_1)
	v_cmp_gt_u64_e64 s1, s[16:17], v[17:18]
	s_and_saveexec_b32 s4, s1
	s_cbranch_execz .LBB34_46
; %bb.38:                               ;   in Loop: Header=BB34_9 Depth=1
	v_dual_mov_b32 v4, 0 :: v_dual_mov_b32 v15, v17
	v_dual_mov_b32 v5, 0 :: v_dual_mov_b32 v16, v18
	v_dual_mov_b32 v33, v18 :: v_dual_mov_b32 v32, v17
	s_and_not1_b32 vcc_lo, exec_lo, s33
	s_mov_b64 s[26:27], s[22:23]
	s_mov_b32 s39, s36
	s_cbranch_vccnz .LBB34_45
.LBB34_39:                              ;   Parent Loop BB34_9 Depth=1
                                        ; =>  This Inner Loop Header: Depth=2
	s_load_b64 s[28:29], s[26:27], 0x0
                                        ; implicit-def: $vgpr32_vgpr33
	s_mov_b32 s0, exec_lo
	s_waitcnt lgkmcnt(0)
	v_or_b32_e32 v24, s29, v16
	s_delay_alu instid0(VALU_DEP_1)
	v_cmpx_ne_u64_e32 0, v[23:24]
	s_xor_b32 s40, exec_lo, s0
	s_cbranch_execz .LBB34_41
; %bb.40:                               ;   in Loop: Header=BB34_39 Depth=2
	v_cvt_f32_u32_e32 v24, s28
	v_cvt_f32_u32_e32 v32, s29
	s_sub_u32 s0, 0, s28
	s_subb_u32 s41, 0, s29
	s_delay_alu instid0(VALU_DEP_1) | instskip(NEXT) | instid1(VALU_DEP_1)
	v_fmac_f32_e32 v24, 0x4f800000, v32
	v_rcp_f32_e32 v24, v24
	s_waitcnt_depctr 0xfff
	v_mul_f32_e32 v24, 0x5f7ffffc, v24
	s_delay_alu instid0(VALU_DEP_1) | instskip(NEXT) | instid1(VALU_DEP_1)
	v_mul_f32_e32 v32, 0x2f800000, v24
	v_trunc_f32_e32 v32, v32
	s_delay_alu instid0(VALU_DEP_1) | instskip(SKIP_1) | instid1(VALU_DEP_2)
	v_fmac_f32_e32 v24, 0xcf800000, v32
	v_cvt_u32_f32_e32 v32, v32
	v_cvt_u32_f32_e32 v24, v24
	s_delay_alu instid0(VALU_DEP_2) | instskip(NEXT) | instid1(VALU_DEP_2)
	v_mul_lo_u32 v33, s0, v32
	v_mul_hi_u32 v34, s0, v24
	v_mul_lo_u32 v35, s41, v24
	s_delay_alu instid0(VALU_DEP_2) | instskip(SKIP_1) | instid1(VALU_DEP_2)
	v_add_nc_u32_e32 v33, v34, v33
	v_mul_lo_u32 v34, s0, v24
	v_add_nc_u32_e32 v33, v33, v35
	s_delay_alu instid0(VALU_DEP_2) | instskip(NEXT) | instid1(VALU_DEP_2)
	v_mul_hi_u32 v35, v24, v34
	v_mul_lo_u32 v36, v24, v33
	v_mul_hi_u32 v37, v24, v33
	v_mul_hi_u32 v59, v32, v34
	v_mul_lo_u32 v34, v32, v34
	v_mul_hi_u32 v60, v32, v33
	v_mul_lo_u32 v33, v32, v33
	v_add_co_u32 v35, vcc_lo, v35, v36
	v_add_co_ci_u32_e32 v36, vcc_lo, 0, v37, vcc_lo
	s_delay_alu instid0(VALU_DEP_2) | instskip(NEXT) | instid1(VALU_DEP_2)
	v_add_co_u32 v34, vcc_lo, v35, v34
	v_add_co_ci_u32_e32 v34, vcc_lo, v36, v59, vcc_lo
	v_add_co_ci_u32_e32 v35, vcc_lo, 0, v60, vcc_lo
	s_delay_alu instid0(VALU_DEP_2) | instskip(NEXT) | instid1(VALU_DEP_2)
	v_add_co_u32 v33, vcc_lo, v34, v33
	v_add_co_ci_u32_e32 v34, vcc_lo, 0, v35, vcc_lo
	s_delay_alu instid0(VALU_DEP_2) | instskip(NEXT) | instid1(VALU_DEP_2)
	v_add_co_u32 v24, vcc_lo, v24, v33
	v_add_co_ci_u32_e32 v32, vcc_lo, v32, v34, vcc_lo
	s_delay_alu instid0(VALU_DEP_2) | instskip(SKIP_1) | instid1(VALU_DEP_3)
	v_mul_hi_u32 v33, s0, v24
	v_mul_lo_u32 v35, s41, v24
	v_mul_lo_u32 v34, s0, v32
	s_delay_alu instid0(VALU_DEP_1) | instskip(SKIP_1) | instid1(VALU_DEP_2)
	v_add_nc_u32_e32 v33, v33, v34
	v_mul_lo_u32 v34, s0, v24
	v_add_nc_u32_e32 v33, v33, v35
	s_delay_alu instid0(VALU_DEP_2) | instskip(NEXT) | instid1(VALU_DEP_2)
	v_mul_hi_u32 v35, v24, v34
	v_mul_lo_u32 v36, v24, v33
	v_mul_hi_u32 v37, v24, v33
	v_mul_hi_u32 v59, v32, v34
	v_mul_lo_u32 v34, v32, v34
	v_mul_hi_u32 v60, v32, v33
	v_mul_lo_u32 v33, v32, v33
	v_add_co_u32 v35, vcc_lo, v35, v36
	v_add_co_ci_u32_e32 v36, vcc_lo, 0, v37, vcc_lo
	s_delay_alu instid0(VALU_DEP_2) | instskip(NEXT) | instid1(VALU_DEP_2)
	v_add_co_u32 v34, vcc_lo, v35, v34
	v_add_co_ci_u32_e32 v34, vcc_lo, v36, v59, vcc_lo
	v_add_co_ci_u32_e32 v35, vcc_lo, 0, v60, vcc_lo
	s_delay_alu instid0(VALU_DEP_2) | instskip(NEXT) | instid1(VALU_DEP_2)
	v_add_co_u32 v33, vcc_lo, v34, v33
	v_add_co_ci_u32_e32 v34, vcc_lo, 0, v35, vcc_lo
	s_delay_alu instid0(VALU_DEP_2) | instskip(NEXT) | instid1(VALU_DEP_2)
	v_add_co_u32 v24, vcc_lo, v24, v33
	v_add_co_ci_u32_e32 v59, vcc_lo, v32, v34, vcc_lo
	s_delay_alu instid0(VALU_DEP_2) | instskip(SKIP_1) | instid1(VALU_DEP_3)
	v_mul_hi_u32 v60, v15, v24
	v_mad_u64_u32 v[34:35], null, v16, v24, 0
	v_mad_u64_u32 v[32:33], null, v15, v59, 0
	v_mad_u64_u32 v[36:37], null, v16, v59, 0
	s_delay_alu instid0(VALU_DEP_2) | instskip(NEXT) | instid1(VALU_DEP_3)
	v_add_co_u32 v24, vcc_lo, v60, v32
	v_add_co_ci_u32_e32 v32, vcc_lo, 0, v33, vcc_lo
	s_delay_alu instid0(VALU_DEP_2) | instskip(NEXT) | instid1(VALU_DEP_2)
	v_add_co_u32 v24, vcc_lo, v24, v34
	v_add_co_ci_u32_e32 v24, vcc_lo, v32, v35, vcc_lo
	v_add_co_ci_u32_e32 v32, vcc_lo, 0, v37, vcc_lo
	s_delay_alu instid0(VALU_DEP_2) | instskip(NEXT) | instid1(VALU_DEP_2)
	v_add_co_u32 v24, vcc_lo, v24, v36
	v_add_co_ci_u32_e32 v34, vcc_lo, 0, v32, vcc_lo
	s_delay_alu instid0(VALU_DEP_2) | instskip(SKIP_1) | instid1(VALU_DEP_3)
	v_mul_lo_u32 v35, s29, v24
	v_mad_u64_u32 v[32:33], null, s28, v24, 0
	v_mul_lo_u32 v36, s28, v34
	s_delay_alu instid0(VALU_DEP_2) | instskip(NEXT) | instid1(VALU_DEP_2)
	v_sub_co_u32 v32, vcc_lo, v15, v32
	v_add3_u32 v33, v33, v36, v35
	s_delay_alu instid0(VALU_DEP_1) | instskip(NEXT) | instid1(VALU_DEP_1)
	v_sub_nc_u32_e32 v35, v16, v33
	v_subrev_co_ci_u32_e64 v35, s0, s29, v35, vcc_lo
	v_add_co_u32 v36, s0, v24, 2
	s_delay_alu instid0(VALU_DEP_1) | instskip(SKIP_3) | instid1(VALU_DEP_3)
	v_add_co_ci_u32_e64 v37, s0, 0, v34, s0
	v_sub_co_u32 v59, s0, v32, s28
	v_sub_co_ci_u32_e32 v33, vcc_lo, v16, v33, vcc_lo
	v_subrev_co_ci_u32_e64 v35, s0, 0, v35, s0
	v_cmp_le_u32_e32 vcc_lo, s28, v59
	s_delay_alu instid0(VALU_DEP_3) | instskip(SKIP_1) | instid1(VALU_DEP_4)
	v_cmp_eq_u32_e64 s0, s29, v33
	v_cndmask_b32_e64 v59, 0, -1, vcc_lo
	v_cmp_le_u32_e32 vcc_lo, s29, v35
	v_cndmask_b32_e64 v60, 0, -1, vcc_lo
	v_cmp_le_u32_e32 vcc_lo, s28, v32
	v_cndmask_b32_e64 v32, 0, -1, vcc_lo
	v_cmp_le_u32_e32 vcc_lo, s29, v33
	v_cndmask_b32_e64 v61, 0, -1, vcc_lo
	v_cmp_eq_u32_e32 vcc_lo, s29, v35
	s_delay_alu instid0(VALU_DEP_2) | instskip(SKIP_3) | instid1(VALU_DEP_3)
	v_cndmask_b32_e64 v32, v61, v32, s0
	v_cndmask_b32_e32 v35, v60, v59, vcc_lo
	v_add_co_u32 v59, vcc_lo, v24, 1
	v_add_co_ci_u32_e32 v60, vcc_lo, 0, v34, vcc_lo
	v_cmp_ne_u32_e32 vcc_lo, 0, v35
	s_delay_alu instid0(VALU_DEP_2) | instskip(NEXT) | instid1(VALU_DEP_4)
	v_cndmask_b32_e32 v33, v60, v37, vcc_lo
	v_cndmask_b32_e32 v35, v59, v36, vcc_lo
	v_cmp_ne_u32_e32 vcc_lo, 0, v32
	s_delay_alu instid0(VALU_DEP_2)
	v_dual_cndmask_b32 v33, v34, v33 :: v_dual_cndmask_b32 v32, v24, v35
.LBB34_41:                              ;   in Loop: Header=BB34_39 Depth=2
	s_and_not1_saveexec_b32 s0, s40
	s_cbranch_execz .LBB34_43
; %bb.42:                               ;   in Loop: Header=BB34_39 Depth=2
	v_cvt_f32_u32_e32 v24, s28
	s_sub_i32 s40, 0, s28
	s_delay_alu instid0(VALU_DEP_1) | instskip(SKIP_2) | instid1(VALU_DEP_1)
	v_rcp_iflag_f32_e32 v24, v24
	s_waitcnt_depctr 0xfff
	v_mul_f32_e32 v24, 0x4f7ffffe, v24
	v_cvt_u32_f32_e32 v24, v24
	s_delay_alu instid0(VALU_DEP_1) | instskip(NEXT) | instid1(VALU_DEP_1)
	v_mul_lo_u32 v32, s40, v24
	v_mul_hi_u32 v32, v24, v32
	s_delay_alu instid0(VALU_DEP_1) | instskip(NEXT) | instid1(VALU_DEP_1)
	v_add_nc_u32_e32 v24, v24, v32
	v_mul_hi_u32 v24, v15, v24
	s_delay_alu instid0(VALU_DEP_1) | instskip(NEXT) | instid1(VALU_DEP_1)
	v_mul_lo_u32 v32, v24, s28
	v_sub_nc_u32_e32 v32, v15, v32
	s_delay_alu instid0(VALU_DEP_1) | instskip(SKIP_1) | instid1(VALU_DEP_2)
	v_subrev_nc_u32_e32 v34, s28, v32
	v_cmp_le_u32_e32 vcc_lo, s28, v32
	v_dual_cndmask_b32 v32, v32, v34 :: v_dual_add_nc_u32 v33, 1, v24
	s_delay_alu instid0(VALU_DEP_1) | instskip(NEXT) | instid1(VALU_DEP_2)
	v_cndmask_b32_e32 v24, v24, v33, vcc_lo
	v_cmp_le_u32_e32 vcc_lo, s28, v32
	s_delay_alu instid0(VALU_DEP_2) | instskip(NEXT) | instid1(VALU_DEP_1)
	v_add_nc_u32_e32 v33, 1, v24
	v_dual_cndmask_b32 v32, v24, v33 :: v_dual_mov_b32 v33, v23
.LBB34_43:                              ;   in Loop: Header=BB34_39 Depth=2
	s_or_b32 exec_lo, exec_lo, s0
	s_load_b64 s[40:41], s[26:27], 0xc8
	s_delay_alu instid0(VALU_DEP_1) | instskip(NEXT) | instid1(VALU_DEP_2)
	v_mul_lo_u32 v24, v33, s28
	v_mul_lo_u32 v36, v32, s29
	v_mad_u64_u32 v[34:35], null, v32, s28, 0
	s_add_i32 s39, s39, -1
	s_add_u32 s26, s26, -8
	s_addc_u32 s27, s27, -1
	s_cmp_gt_u32 s39, 2
	s_delay_alu instid0(VALU_DEP_1) | instskip(NEXT) | instid1(VALU_DEP_2)
	v_add3_u32 v24, v35, v36, v24
	v_sub_co_u32 v34, vcc_lo, v15, v34
	s_delay_alu instid0(VALU_DEP_2) | instskip(SKIP_1) | instid1(VALU_DEP_2)
	v_sub_co_ci_u32_e32 v15, vcc_lo, v16, v24, vcc_lo
	s_waitcnt lgkmcnt(0)
	v_mul_lo_u32 v35, s41, v34
	s_delay_alu instid0(VALU_DEP_2) | instskip(SKIP_1) | instid1(VALU_DEP_1)
	v_mul_lo_u32 v24, s40, v15
	v_mad_u64_u32 v[15:16], null, s40, v34, v[4:5]
	v_add3_u32 v5, v35, v16, v24
	s_delay_alu instid0(VALU_DEP_2)
	v_mov_b32_e32 v4, v15
	s_cbranch_scc0 .LBB34_45
; %bb.44:                               ;   in Loop: Header=BB34_39 Depth=2
	v_dual_mov_b32 v15, v32 :: v_dual_mov_b32 v16, v33
	s_branch .LBB34_39
.LBB34_45:                              ;   in Loop: Header=BB34_9 Depth=1
	v_mul_lo_u32 v24, s13, v32
	v_mul_lo_u32 v33, s12, v33
	v_mad_u64_u32 v[15:16], null, s12, v32, 0
	v_lshlrev_b64 v[4:5], 3, v[4:5]
	s_delay_alu instid0(VALU_DEP_2) | instskip(NEXT) | instid1(VALU_DEP_1)
	v_add3_u32 v16, v16, v33, v24
	v_lshlrev_b64 v[15:16], 3, v[15:16]
	s_delay_alu instid0(VALU_DEP_1) | instskip(NEXT) | instid1(VALU_DEP_2)
	v_add_co_u32 v15, vcc_lo, s20, v15
	v_add_co_ci_u32_e32 v16, vcc_lo, s21, v16, vcc_lo
	s_delay_alu instid0(VALU_DEP_2) | instskip(NEXT) | instid1(VALU_DEP_2)
	v_add_co_u32 v4, vcc_lo, v15, v4
	v_add_co_ci_u32_e32 v5, vcc_lo, v16, v5, vcc_lo
	global_load_b64 v[4:5], v[4:5], off
.LBB34_46:                              ;   in Loop: Header=BB34_9 Depth=1
	s_or_b32 exec_lo, exec_lo, s4
	v_add_co_u32 v15, vcc_lo, v27, s37
	v_add_co_ci_u32_e32 v16, vcc_lo, 0, v28, vcc_lo
	s_delay_alu instid0(VALU_DEP_1) | instskip(NEXT) | instid1(VALU_DEP_1)
	v_cmp_gt_u64_e64 s0, s[16:17], v[15:16]
	s_and_saveexec_b32 s39, s0
	s_cbranch_execnz .LBB34_51
; %bb.47:                               ;   in Loop: Header=BB34_9 Depth=1
	s_or_b32 exec_lo, exec_lo, s39
	s_and_saveexec_b32 s4, s3
	s_cbranch_execnz .LBB34_59
.LBB34_48:                              ;   in Loop: Header=BB34_9 Depth=1
	s_or_b32 exec_lo, exec_lo, s4
	s_and_saveexec_b32 s3, s2
	s_cbranch_execnz .LBB34_67
.LBB34_49:                              ;   in Loop: Header=BB34_9 Depth=1
	s_or_b32 exec_lo, exec_lo, s3
	s_and_saveexec_b32 s4, s1
	s_cbranch_execnz .LBB34_69
.LBB34_50:                              ;   in Loop: Header=BB34_9 Depth=1
	s_or_b32 exec_lo, exec_lo, s4
	s_and_saveexec_b32 s1, s0
	s_cbranch_execz .LBB34_8
	s_branch .LBB34_71
.LBB34_51:                              ;   in Loop: Header=BB34_9 Depth=1
	v_dual_mov_b32 v6, 0 :: v_dual_mov_b32 v33, v16
	v_dual_mov_b32 v7, 0 :: v_dual_mov_b32 v32, v15
	;; [unrolled: 1-line block ×3, first 2 shown]
	s_and_not1_b32 vcc_lo, exec_lo, s33
	s_mov_b64 s[26:27], s[22:23]
	s_mov_b32 s40, s36
	s_cbranch_vccnz .LBB34_58
.LBB34_52:                              ;   Parent Loop BB34_9 Depth=1
                                        ; =>  This Inner Loop Header: Depth=2
	s_load_b64 s[28:29], s[26:27], 0x0
                                        ; implicit-def: $vgpr34_vgpr35
	s_mov_b32 s4, exec_lo
	s_waitcnt lgkmcnt(0)
	v_or_b32_e32 v24, s29, v33
	s_delay_alu instid0(VALU_DEP_1)
	v_cmpx_ne_u64_e32 0, v[23:24]
	s_xor_b32 s41, exec_lo, s4
	s_cbranch_execz .LBB34_54
; %bb.53:                               ;   in Loop: Header=BB34_52 Depth=2
	v_cvt_f32_u32_e32 v24, s28
	v_cvt_f32_u32_e32 v34, s29
	s_sub_u32 s4, 0, s28
	s_subb_u32 s42, 0, s29
	s_delay_alu instid0(VALU_DEP_1) | instskip(NEXT) | instid1(VALU_DEP_1)
	v_fmac_f32_e32 v24, 0x4f800000, v34
	v_rcp_f32_e32 v24, v24
	s_waitcnt_depctr 0xfff
	v_mul_f32_e32 v24, 0x5f7ffffc, v24
	s_delay_alu instid0(VALU_DEP_1) | instskip(NEXT) | instid1(VALU_DEP_1)
	v_mul_f32_e32 v34, 0x2f800000, v24
	v_trunc_f32_e32 v34, v34
	s_delay_alu instid0(VALU_DEP_1) | instskip(SKIP_1) | instid1(VALU_DEP_2)
	v_fmac_f32_e32 v24, 0xcf800000, v34
	v_cvt_u32_f32_e32 v34, v34
	v_cvt_u32_f32_e32 v24, v24
	s_delay_alu instid0(VALU_DEP_2) | instskip(NEXT) | instid1(VALU_DEP_2)
	v_mul_lo_u32 v35, s4, v34
	v_mul_hi_u32 v36, s4, v24
	v_mul_lo_u32 v37, s42, v24
	s_delay_alu instid0(VALU_DEP_2) | instskip(SKIP_1) | instid1(VALU_DEP_2)
	v_add_nc_u32_e32 v35, v36, v35
	v_mul_lo_u32 v36, s4, v24
	v_add_nc_u32_e32 v35, v35, v37
	s_delay_alu instid0(VALU_DEP_2) | instskip(NEXT) | instid1(VALU_DEP_2)
	v_mul_hi_u32 v37, v24, v36
	v_mul_lo_u32 v59, v24, v35
	v_mul_hi_u32 v60, v24, v35
	v_mul_hi_u32 v61, v34, v36
	v_mul_lo_u32 v36, v34, v36
	v_mul_hi_u32 v62, v34, v35
	v_mul_lo_u32 v35, v34, v35
	v_add_co_u32 v37, vcc_lo, v37, v59
	v_add_co_ci_u32_e32 v59, vcc_lo, 0, v60, vcc_lo
	s_delay_alu instid0(VALU_DEP_2) | instskip(NEXT) | instid1(VALU_DEP_2)
	v_add_co_u32 v36, vcc_lo, v37, v36
	v_add_co_ci_u32_e32 v36, vcc_lo, v59, v61, vcc_lo
	v_add_co_ci_u32_e32 v37, vcc_lo, 0, v62, vcc_lo
	s_delay_alu instid0(VALU_DEP_2) | instskip(NEXT) | instid1(VALU_DEP_2)
	v_add_co_u32 v35, vcc_lo, v36, v35
	v_add_co_ci_u32_e32 v36, vcc_lo, 0, v37, vcc_lo
	s_delay_alu instid0(VALU_DEP_2) | instskip(NEXT) | instid1(VALU_DEP_2)
	v_add_co_u32 v24, vcc_lo, v24, v35
	v_add_co_ci_u32_e32 v34, vcc_lo, v34, v36, vcc_lo
	s_delay_alu instid0(VALU_DEP_2) | instskip(SKIP_1) | instid1(VALU_DEP_3)
	v_mul_hi_u32 v35, s4, v24
	v_mul_lo_u32 v37, s42, v24
	v_mul_lo_u32 v36, s4, v34
	s_delay_alu instid0(VALU_DEP_1) | instskip(SKIP_1) | instid1(VALU_DEP_2)
	v_add_nc_u32_e32 v35, v35, v36
	v_mul_lo_u32 v36, s4, v24
	v_add_nc_u32_e32 v35, v35, v37
	s_delay_alu instid0(VALU_DEP_2) | instskip(NEXT) | instid1(VALU_DEP_2)
	v_mul_hi_u32 v37, v24, v36
	v_mul_lo_u32 v59, v24, v35
	v_mul_hi_u32 v60, v24, v35
	v_mul_hi_u32 v61, v34, v36
	v_mul_lo_u32 v36, v34, v36
	v_mul_hi_u32 v62, v34, v35
	v_mul_lo_u32 v35, v34, v35
	v_add_co_u32 v37, vcc_lo, v37, v59
	v_add_co_ci_u32_e32 v59, vcc_lo, 0, v60, vcc_lo
	s_delay_alu instid0(VALU_DEP_2) | instskip(NEXT) | instid1(VALU_DEP_2)
	v_add_co_u32 v36, vcc_lo, v37, v36
	v_add_co_ci_u32_e32 v36, vcc_lo, v59, v61, vcc_lo
	v_add_co_ci_u32_e32 v37, vcc_lo, 0, v62, vcc_lo
	s_delay_alu instid0(VALU_DEP_2) | instskip(NEXT) | instid1(VALU_DEP_2)
	v_add_co_u32 v35, vcc_lo, v36, v35
	v_add_co_ci_u32_e32 v36, vcc_lo, 0, v37, vcc_lo
	s_delay_alu instid0(VALU_DEP_2) | instskip(NEXT) | instid1(VALU_DEP_2)
	v_add_co_u32 v24, vcc_lo, v24, v35
	v_add_co_ci_u32_e32 v61, vcc_lo, v34, v36, vcc_lo
	s_delay_alu instid0(VALU_DEP_2) | instskip(SKIP_1) | instid1(VALU_DEP_3)
	v_mul_hi_u32 v62, v32, v24
	v_mad_u64_u32 v[36:37], null, v33, v24, 0
	v_mad_u64_u32 v[34:35], null, v32, v61, 0
	;; [unrolled: 1-line block ×3, first 2 shown]
	s_delay_alu instid0(VALU_DEP_2) | instskip(NEXT) | instid1(VALU_DEP_3)
	v_add_co_u32 v24, vcc_lo, v62, v34
	v_add_co_ci_u32_e32 v34, vcc_lo, 0, v35, vcc_lo
	s_delay_alu instid0(VALU_DEP_2) | instskip(NEXT) | instid1(VALU_DEP_2)
	v_add_co_u32 v24, vcc_lo, v24, v36
	v_add_co_ci_u32_e32 v24, vcc_lo, v34, v37, vcc_lo
	v_add_co_ci_u32_e32 v34, vcc_lo, 0, v60, vcc_lo
	s_delay_alu instid0(VALU_DEP_2) | instskip(NEXT) | instid1(VALU_DEP_2)
	v_add_co_u32 v24, vcc_lo, v24, v59
	v_add_co_ci_u32_e32 v36, vcc_lo, 0, v34, vcc_lo
	s_delay_alu instid0(VALU_DEP_2) | instskip(SKIP_1) | instid1(VALU_DEP_3)
	v_mul_lo_u32 v37, s29, v24
	v_mad_u64_u32 v[34:35], null, s28, v24, 0
	v_mul_lo_u32 v59, s28, v36
	s_delay_alu instid0(VALU_DEP_2) | instskip(NEXT) | instid1(VALU_DEP_2)
	v_sub_co_u32 v34, vcc_lo, v32, v34
	v_add3_u32 v35, v35, v59, v37
	s_delay_alu instid0(VALU_DEP_1) | instskip(NEXT) | instid1(VALU_DEP_1)
	v_sub_nc_u32_e32 v37, v33, v35
	v_subrev_co_ci_u32_e64 v37, s4, s29, v37, vcc_lo
	v_add_co_u32 v59, s4, v24, 2
	s_delay_alu instid0(VALU_DEP_1) | instskip(SKIP_3) | instid1(VALU_DEP_3)
	v_add_co_ci_u32_e64 v60, s4, 0, v36, s4
	v_sub_co_u32 v61, s4, v34, s28
	v_sub_co_ci_u32_e32 v35, vcc_lo, v33, v35, vcc_lo
	v_subrev_co_ci_u32_e64 v37, s4, 0, v37, s4
	v_cmp_le_u32_e32 vcc_lo, s28, v61
	s_delay_alu instid0(VALU_DEP_3) | instskip(SKIP_1) | instid1(VALU_DEP_4)
	v_cmp_eq_u32_e64 s4, s29, v35
	v_cndmask_b32_e64 v61, 0, -1, vcc_lo
	v_cmp_le_u32_e32 vcc_lo, s29, v37
	v_cndmask_b32_e64 v62, 0, -1, vcc_lo
	v_cmp_le_u32_e32 vcc_lo, s28, v34
	;; [unrolled: 2-line block ×3, first 2 shown]
	v_cndmask_b32_e64 v63, 0, -1, vcc_lo
	v_cmp_eq_u32_e32 vcc_lo, s29, v37
	s_delay_alu instid0(VALU_DEP_2) | instskip(SKIP_3) | instid1(VALU_DEP_3)
	v_cndmask_b32_e64 v34, v63, v34, s4
	v_cndmask_b32_e32 v37, v62, v61, vcc_lo
	v_add_co_u32 v61, vcc_lo, v24, 1
	v_add_co_ci_u32_e32 v62, vcc_lo, 0, v36, vcc_lo
	v_cmp_ne_u32_e32 vcc_lo, 0, v37
	s_delay_alu instid0(VALU_DEP_3) | instskip(NEXT) | instid1(VALU_DEP_3)
	v_cndmask_b32_e32 v37, v61, v59, vcc_lo
	v_cndmask_b32_e32 v35, v62, v60, vcc_lo
	v_cmp_ne_u32_e32 vcc_lo, 0, v34
	s_delay_alu instid0(VALU_DEP_3) | instskip(NEXT) | instid1(VALU_DEP_3)
	v_cndmask_b32_e32 v34, v24, v37, vcc_lo
	v_cndmask_b32_e32 v35, v36, v35, vcc_lo
.LBB34_54:                              ;   in Loop: Header=BB34_52 Depth=2
	s_and_not1_saveexec_b32 s4, s41
	s_cbranch_execz .LBB34_56
; %bb.55:                               ;   in Loop: Header=BB34_52 Depth=2
	v_cvt_f32_u32_e32 v24, s28
	s_sub_i32 s41, 0, s28
	s_delay_alu instid0(VALU_DEP_1) | instskip(SKIP_2) | instid1(VALU_DEP_1)
	v_rcp_iflag_f32_e32 v24, v24
	s_waitcnt_depctr 0xfff
	v_mul_f32_e32 v24, 0x4f7ffffe, v24
	v_cvt_u32_f32_e32 v24, v24
	s_delay_alu instid0(VALU_DEP_1) | instskip(NEXT) | instid1(VALU_DEP_1)
	v_mul_lo_u32 v34, s41, v24
	v_mul_hi_u32 v34, v24, v34
	s_delay_alu instid0(VALU_DEP_1) | instskip(NEXT) | instid1(VALU_DEP_1)
	v_add_nc_u32_e32 v24, v24, v34
	v_mul_hi_u32 v24, v32, v24
	s_delay_alu instid0(VALU_DEP_1) | instskip(SKIP_1) | instid1(VALU_DEP_2)
	v_mul_lo_u32 v34, v24, s28
	v_add_nc_u32_e32 v35, 1, v24
	v_sub_nc_u32_e32 v34, v32, v34
	s_delay_alu instid0(VALU_DEP_1) | instskip(SKIP_1) | instid1(VALU_DEP_2)
	v_subrev_nc_u32_e32 v36, s28, v34
	v_cmp_le_u32_e32 vcc_lo, s28, v34
	v_cndmask_b32_e32 v34, v34, v36, vcc_lo
	v_cndmask_b32_e32 v24, v24, v35, vcc_lo
	s_delay_alu instid0(VALU_DEP_2) | instskip(NEXT) | instid1(VALU_DEP_2)
	v_cmp_le_u32_e32 vcc_lo, s28, v34
	v_add_nc_u32_e32 v35, 1, v24
	s_delay_alu instid0(VALU_DEP_1)
	v_dual_cndmask_b32 v34, v24, v35 :: v_dual_mov_b32 v35, v23
.LBB34_56:                              ;   in Loop: Header=BB34_52 Depth=2
	s_or_b32 exec_lo, exec_lo, s4
	s_load_b64 s[42:43], s[26:27], 0xc8
	s_delay_alu instid0(VALU_DEP_1) | instskip(NEXT) | instid1(VALU_DEP_2)
	v_mul_lo_u32 v24, v35, s28
	v_mul_lo_u32 v59, v34, s29
	v_mad_u64_u32 v[36:37], null, v34, s28, 0
	s_add_i32 s40, s40, -1
	s_add_u32 s26, s26, -8
	s_addc_u32 s27, s27, -1
	s_cmp_gt_u32 s40, 2
	s_delay_alu instid0(VALU_DEP_1) | instskip(NEXT) | instid1(VALU_DEP_2)
	v_add3_u32 v24, v37, v59, v24
	v_sub_co_u32 v36, vcc_lo, v32, v36
	s_delay_alu instid0(VALU_DEP_2) | instskip(SKIP_1) | instid1(VALU_DEP_2)
	v_sub_co_ci_u32_e32 v24, vcc_lo, v33, v24, vcc_lo
	s_waitcnt lgkmcnt(0)
	v_mul_lo_u32 v37, s43, v36
	s_delay_alu instid0(VALU_DEP_2) | instskip(SKIP_1) | instid1(VALU_DEP_1)
	v_mul_lo_u32 v24, s42, v24
	v_mad_u64_u32 v[32:33], null, s42, v36, v[6:7]
	v_add3_u32 v7, v37, v33, v24
	s_delay_alu instid0(VALU_DEP_2)
	v_mov_b32_e32 v6, v32
	s_cbranch_scc0 .LBB34_58
; %bb.57:                               ;   in Loop: Header=BB34_52 Depth=2
	v_dual_mov_b32 v32, v34 :: v_dual_mov_b32 v33, v35
	s_branch .LBB34_52
.LBB34_58:                              ;   in Loop: Header=BB34_9 Depth=1
	v_mul_lo_u32 v24, s13, v34
	v_mul_lo_u32 v35, s12, v35
	v_mad_u64_u32 v[32:33], null, s12, v34, 0
	v_lshlrev_b64 v[6:7], 3, v[6:7]
	s_delay_alu instid0(VALU_DEP_2) | instskip(NEXT) | instid1(VALU_DEP_1)
	v_add3_u32 v33, v33, v35, v24
	v_lshlrev_b64 v[32:33], 3, v[32:33]
	s_delay_alu instid0(VALU_DEP_1) | instskip(NEXT) | instid1(VALU_DEP_2)
	v_add_co_u32 v24, vcc_lo, s20, v32
	v_add_co_ci_u32_e32 v32, vcc_lo, s21, v33, vcc_lo
	s_delay_alu instid0(VALU_DEP_2) | instskip(NEXT) | instid1(VALU_DEP_2)
	v_add_co_u32 v6, vcc_lo, v24, v6
	v_add_co_ci_u32_e32 v7, vcc_lo, v32, v7, vcc_lo
	global_load_b64 v[6:7], v[6:7], off
	s_or_b32 exec_lo, exec_lo, s39
	s_and_saveexec_b32 s4, s3
	s_cbranch_execz .LBB34_48
.LBB34_59:                              ;   in Loop: Header=BB34_9 Depth=1
	v_dual_mov_b32 v32, 0 :: v_dual_mov_b32 v35, v28
	v_dual_mov_b32 v33, 0 :: v_dual_mov_b32 v34, v27
	;; [unrolled: 1-line block ×3, first 2 shown]
	s_and_not1_b32 vcc_lo, exec_lo, s34
	s_mov_b64 s[26:27], s[24:25]
	s_mov_b32 s39, s38
	s_cbranch_vccnz .LBB34_66
.LBB34_60:                              ;   Parent Loop BB34_9 Depth=1
                                        ; =>  This Inner Loop Header: Depth=2
	s_load_b64 s[28:29], s[26:27], 0x0
                                        ; implicit-def: $vgpr36_vgpr37
	s_mov_b32 s3, exec_lo
	s_waitcnt lgkmcnt(0)
	v_or_b32_e32 v24, s29, v35
	s_delay_alu instid0(VALU_DEP_1)
	v_cmpx_ne_u64_e32 0, v[23:24]
	s_xor_b32 s40, exec_lo, s3
	s_cbranch_execz .LBB34_62
; %bb.61:                               ;   in Loop: Header=BB34_60 Depth=2
	v_cvt_f32_u32_e32 v24, s28
	v_cvt_f32_u32_e32 v36, s29
	s_sub_u32 s3, 0, s28
	s_subb_u32 s41, 0, s29
	s_delay_alu instid0(VALU_DEP_1) | instskip(NEXT) | instid1(VALU_DEP_1)
	v_fmac_f32_e32 v24, 0x4f800000, v36
	v_rcp_f32_e32 v24, v24
	s_waitcnt_depctr 0xfff
	v_mul_f32_e32 v24, 0x5f7ffffc, v24
	s_delay_alu instid0(VALU_DEP_1) | instskip(NEXT) | instid1(VALU_DEP_1)
	v_mul_f32_e32 v36, 0x2f800000, v24
	v_trunc_f32_e32 v36, v36
	s_delay_alu instid0(VALU_DEP_1) | instskip(SKIP_1) | instid1(VALU_DEP_2)
	v_fmac_f32_e32 v24, 0xcf800000, v36
	v_cvt_u32_f32_e32 v36, v36
	v_cvt_u32_f32_e32 v24, v24
	s_delay_alu instid0(VALU_DEP_2) | instskip(NEXT) | instid1(VALU_DEP_2)
	v_mul_lo_u32 v37, s3, v36
	v_mul_hi_u32 v59, s3, v24
	v_mul_lo_u32 v60, s41, v24
	s_delay_alu instid0(VALU_DEP_2) | instskip(SKIP_1) | instid1(VALU_DEP_2)
	v_add_nc_u32_e32 v37, v59, v37
	v_mul_lo_u32 v59, s3, v24
	v_add_nc_u32_e32 v37, v37, v60
	s_delay_alu instid0(VALU_DEP_2) | instskip(NEXT) | instid1(VALU_DEP_2)
	v_mul_hi_u32 v60, v24, v59
	v_mul_lo_u32 v61, v24, v37
	v_mul_hi_u32 v62, v24, v37
	v_mul_hi_u32 v63, v36, v59
	v_mul_lo_u32 v59, v36, v59
	v_mul_hi_u32 v64, v36, v37
	v_mul_lo_u32 v37, v36, v37
	v_add_co_u32 v60, vcc_lo, v60, v61
	v_add_co_ci_u32_e32 v61, vcc_lo, 0, v62, vcc_lo
	s_delay_alu instid0(VALU_DEP_2) | instskip(NEXT) | instid1(VALU_DEP_2)
	v_add_co_u32 v59, vcc_lo, v60, v59
	v_add_co_ci_u32_e32 v59, vcc_lo, v61, v63, vcc_lo
	v_add_co_ci_u32_e32 v60, vcc_lo, 0, v64, vcc_lo
	s_delay_alu instid0(VALU_DEP_2) | instskip(NEXT) | instid1(VALU_DEP_2)
	v_add_co_u32 v37, vcc_lo, v59, v37
	v_add_co_ci_u32_e32 v59, vcc_lo, 0, v60, vcc_lo
	s_delay_alu instid0(VALU_DEP_2) | instskip(NEXT) | instid1(VALU_DEP_2)
	v_add_co_u32 v24, vcc_lo, v24, v37
	v_add_co_ci_u32_e32 v36, vcc_lo, v36, v59, vcc_lo
	s_delay_alu instid0(VALU_DEP_2) | instskip(SKIP_1) | instid1(VALU_DEP_3)
	v_mul_hi_u32 v37, s3, v24
	v_mul_lo_u32 v60, s41, v24
	v_mul_lo_u32 v59, s3, v36
	s_delay_alu instid0(VALU_DEP_1) | instskip(SKIP_1) | instid1(VALU_DEP_2)
	v_add_nc_u32_e32 v37, v37, v59
	v_mul_lo_u32 v59, s3, v24
	v_add_nc_u32_e32 v37, v37, v60
	s_delay_alu instid0(VALU_DEP_2) | instskip(NEXT) | instid1(VALU_DEP_2)
	v_mul_hi_u32 v60, v24, v59
	v_mul_lo_u32 v61, v24, v37
	v_mul_hi_u32 v62, v24, v37
	v_mul_hi_u32 v63, v36, v59
	v_mul_lo_u32 v59, v36, v59
	v_mul_hi_u32 v64, v36, v37
	v_mul_lo_u32 v37, v36, v37
	v_add_co_u32 v60, vcc_lo, v60, v61
	v_add_co_ci_u32_e32 v61, vcc_lo, 0, v62, vcc_lo
	s_delay_alu instid0(VALU_DEP_2) | instskip(NEXT) | instid1(VALU_DEP_2)
	v_add_co_u32 v59, vcc_lo, v60, v59
	v_add_co_ci_u32_e32 v59, vcc_lo, v61, v63, vcc_lo
	v_add_co_ci_u32_e32 v60, vcc_lo, 0, v64, vcc_lo
	s_delay_alu instid0(VALU_DEP_2) | instskip(NEXT) | instid1(VALU_DEP_2)
	v_add_co_u32 v37, vcc_lo, v59, v37
	v_add_co_ci_u32_e32 v59, vcc_lo, 0, v60, vcc_lo
	s_delay_alu instid0(VALU_DEP_2) | instskip(NEXT) | instid1(VALU_DEP_2)
	v_add_co_u32 v24, vcc_lo, v24, v37
	v_add_co_ci_u32_e32 v63, vcc_lo, v36, v59, vcc_lo
	s_delay_alu instid0(VALU_DEP_2) | instskip(SKIP_1) | instid1(VALU_DEP_3)
	v_mul_hi_u32 v64, v34, v24
	v_mad_u64_u32 v[59:60], null, v35, v24, 0
	v_mad_u64_u32 v[36:37], null, v34, v63, 0
	;; [unrolled: 1-line block ×3, first 2 shown]
	s_delay_alu instid0(VALU_DEP_2) | instskip(NEXT) | instid1(VALU_DEP_3)
	v_add_co_u32 v24, vcc_lo, v64, v36
	v_add_co_ci_u32_e32 v36, vcc_lo, 0, v37, vcc_lo
	s_delay_alu instid0(VALU_DEP_2) | instskip(NEXT) | instid1(VALU_DEP_2)
	v_add_co_u32 v24, vcc_lo, v24, v59
	v_add_co_ci_u32_e32 v24, vcc_lo, v36, v60, vcc_lo
	v_add_co_ci_u32_e32 v36, vcc_lo, 0, v62, vcc_lo
	s_delay_alu instid0(VALU_DEP_2) | instskip(NEXT) | instid1(VALU_DEP_2)
	v_add_co_u32 v24, vcc_lo, v24, v61
	v_add_co_ci_u32_e32 v59, vcc_lo, 0, v36, vcc_lo
	s_delay_alu instid0(VALU_DEP_2) | instskip(SKIP_1) | instid1(VALU_DEP_3)
	v_mul_lo_u32 v60, s29, v24
	v_mad_u64_u32 v[36:37], null, s28, v24, 0
	v_mul_lo_u32 v61, s28, v59
	s_delay_alu instid0(VALU_DEP_2) | instskip(NEXT) | instid1(VALU_DEP_2)
	v_sub_co_u32 v36, vcc_lo, v34, v36
	v_add3_u32 v37, v37, v61, v60
	s_delay_alu instid0(VALU_DEP_1) | instskip(NEXT) | instid1(VALU_DEP_1)
	v_sub_nc_u32_e32 v60, v35, v37
	v_subrev_co_ci_u32_e64 v60, s3, s29, v60, vcc_lo
	v_add_co_u32 v61, s3, v24, 2
	s_delay_alu instid0(VALU_DEP_1) | instskip(SKIP_3) | instid1(VALU_DEP_3)
	v_add_co_ci_u32_e64 v62, s3, 0, v59, s3
	v_sub_co_u32 v63, s3, v36, s28
	v_sub_co_ci_u32_e32 v37, vcc_lo, v35, v37, vcc_lo
	v_subrev_co_ci_u32_e64 v60, s3, 0, v60, s3
	v_cmp_le_u32_e32 vcc_lo, s28, v63
	s_delay_alu instid0(VALU_DEP_3) | instskip(SKIP_1) | instid1(VALU_DEP_4)
	v_cmp_eq_u32_e64 s3, s29, v37
	v_cndmask_b32_e64 v63, 0, -1, vcc_lo
	v_cmp_le_u32_e32 vcc_lo, s29, v60
	v_cndmask_b32_e64 v64, 0, -1, vcc_lo
	v_cmp_le_u32_e32 vcc_lo, s28, v36
	;; [unrolled: 2-line block ×3, first 2 shown]
	v_cndmask_b32_e64 v65, 0, -1, vcc_lo
	v_cmp_eq_u32_e32 vcc_lo, s29, v60
	s_delay_alu instid0(VALU_DEP_2) | instskip(SKIP_3) | instid1(VALU_DEP_3)
	v_cndmask_b32_e64 v36, v65, v36, s3
	v_cndmask_b32_e32 v60, v64, v63, vcc_lo
	v_add_co_u32 v63, vcc_lo, v24, 1
	v_add_co_ci_u32_e32 v64, vcc_lo, 0, v59, vcc_lo
	v_cmp_ne_u32_e32 vcc_lo, 0, v60
	s_delay_alu instid0(VALU_DEP_2) | instskip(SKIP_1) | instid1(VALU_DEP_2)
	v_dual_cndmask_b32 v60, v63, v61 :: v_dual_cndmask_b32 v37, v64, v62
	v_cmp_ne_u32_e32 vcc_lo, 0, v36
	v_dual_cndmask_b32 v37, v59, v37 :: v_dual_cndmask_b32 v36, v24, v60
.LBB34_62:                              ;   in Loop: Header=BB34_60 Depth=2
	s_and_not1_saveexec_b32 s3, s40
	s_cbranch_execz .LBB34_64
; %bb.63:                               ;   in Loop: Header=BB34_60 Depth=2
	v_cvt_f32_u32_e32 v24, s28
	s_sub_i32 s40, 0, s28
	s_delay_alu instid0(VALU_DEP_1) | instskip(SKIP_2) | instid1(VALU_DEP_1)
	v_rcp_iflag_f32_e32 v24, v24
	s_waitcnt_depctr 0xfff
	v_mul_f32_e32 v24, 0x4f7ffffe, v24
	v_cvt_u32_f32_e32 v24, v24
	s_delay_alu instid0(VALU_DEP_1) | instskip(NEXT) | instid1(VALU_DEP_1)
	v_mul_lo_u32 v36, s40, v24
	v_mul_hi_u32 v36, v24, v36
	s_delay_alu instid0(VALU_DEP_1) | instskip(NEXT) | instid1(VALU_DEP_1)
	v_add_nc_u32_e32 v24, v24, v36
	v_mul_hi_u32 v24, v34, v24
	s_delay_alu instid0(VALU_DEP_1) | instskip(NEXT) | instid1(VALU_DEP_1)
	v_mul_lo_u32 v36, v24, s28
	v_sub_nc_u32_e32 v36, v34, v36
	s_delay_alu instid0(VALU_DEP_1) | instskip(SKIP_1) | instid1(VALU_DEP_2)
	v_subrev_nc_u32_e32 v59, s28, v36
	v_cmp_le_u32_e32 vcc_lo, s28, v36
	v_dual_cndmask_b32 v36, v36, v59 :: v_dual_add_nc_u32 v37, 1, v24
	s_delay_alu instid0(VALU_DEP_1) | instskip(NEXT) | instid1(VALU_DEP_2)
	v_cndmask_b32_e32 v24, v24, v37, vcc_lo
	v_cmp_le_u32_e32 vcc_lo, s28, v36
	s_delay_alu instid0(VALU_DEP_2) | instskip(NEXT) | instid1(VALU_DEP_1)
	v_add_nc_u32_e32 v37, 1, v24
	v_dual_cndmask_b32 v36, v24, v37 :: v_dual_mov_b32 v37, v23
.LBB34_64:                              ;   in Loop: Header=BB34_60 Depth=2
	s_or_b32 exec_lo, exec_lo, s3
	s_load_b64 s[40:41], s[26:27], 0xc8
	s_delay_alu instid0(VALU_DEP_1) | instskip(NEXT) | instid1(VALU_DEP_2)
	v_mul_lo_u32 v24, v37, s28
	v_mul_lo_u32 v61, v36, s29
	v_mad_u64_u32 v[59:60], null, v36, s28, 0
	s_add_i32 s39, s39, -1
	s_add_u32 s26, s26, -8
	s_addc_u32 s27, s27, -1
	s_cmp_gt_u32 s39, 2
	s_delay_alu instid0(VALU_DEP_1) | instskip(NEXT) | instid1(VALU_DEP_2)
	v_add3_u32 v24, v60, v61, v24
	v_sub_co_u32 v59, vcc_lo, v34, v59
	s_delay_alu instid0(VALU_DEP_2) | instskip(SKIP_1) | instid1(VALU_DEP_2)
	v_sub_co_ci_u32_e32 v24, vcc_lo, v35, v24, vcc_lo
	s_waitcnt lgkmcnt(0)
	v_mul_lo_u32 v60, s41, v59
	s_delay_alu instid0(VALU_DEP_2) | instskip(SKIP_1) | instid1(VALU_DEP_1)
	v_mul_lo_u32 v24, s40, v24
	v_mad_u64_u32 v[34:35], null, s40, v59, v[32:33]
	v_add3_u32 v33, v60, v35, v24
	s_delay_alu instid0(VALU_DEP_2)
	v_mov_b32_e32 v32, v34
	s_cbranch_scc0 .LBB34_66
; %bb.65:                               ;   in Loop: Header=BB34_60 Depth=2
	v_dual_mov_b32 v34, v36 :: v_dual_mov_b32 v35, v37
	s_branch .LBB34_60
.LBB34_66:                              ;   in Loop: Header=BB34_9 Depth=1
	v_cvt_f32_u32_e32 v8, v8
	s_delay_alu instid0(VALU_DEP_2) | instskip(NEXT) | instid1(VALU_DEP_2)
	v_mad_u64_u32 v[59:60], null, s14, v36, v[32:33]
	v_fmaak_f32 v8, 0x2f800000, v8, 0x2f800000
	s_delay_alu instid0(VALU_DEP_1) | instskip(SKIP_1) | instid1(VALU_DEP_2)
	v_cvt_f64_f32_e32 v[34:35], v8
	v_mul_lo_u32 v8, s14, v37
	v_cmp_gt_f64_e32 vcc_lo, s[18:19], v[34:35]
	v_cndmask_b32_e64 v24, 0, 0x3ff00000, vcc_lo
	s_waitcnt vmcnt(0)
	s_delay_alu instid0(VALU_DEP_1) | instskip(SKIP_2) | instid1(VALU_DEP_2)
	v_mul_f64 v[34:35], v[0:1], v[23:24]
	v_mul_lo_u32 v24, s15, v36
	v_add_co_u32 v36, s3, s8, v59
	v_add3_u32 v60, v24, v60, v8
	v_cndmask_b32_e64 v8, 0, 1, vcc_lo
	s_delay_alu instid0(VALU_DEP_2) | instskip(SKIP_1) | instid1(VALU_DEP_2)
	v_lshlrev_b64 v[32:33], 3, v[59:60]
	v_add_co_ci_u32_e64 v37, s3, s9, v60, s3
	v_add_co_u32 v32, s3, s10, v32
	s_delay_alu instid0(VALU_DEP_1)
	v_add_co_ci_u32_e64 v33, s3, s11, v33, s3
	v_mul_f64 v[34:35], v[25:26], v[34:35]
	global_store_b64 v[32:33], v[34:35], off
	global_store_b8 v[36:37], v8, off
	s_or_b32 exec_lo, exec_lo, s4
	s_and_saveexec_b32 s3, s2
	s_cbranch_execz .LBB34_49
.LBB34_67:                              ;   in Loop: Header=BB34_9 Depth=1
	v_mov_b32_e32 v32, 0
	v_mov_b32_e32 v33, 0
	s_and_not1_b32 vcc_lo, exec_lo, s34
	s_mov_b64 s[26:27], s[24:25]
	s_mov_b32 s4, s38
	s_cbranch_vccz .LBB34_73
.LBB34_68:                              ;   in Loop: Header=BB34_9 Depth=1
	v_cvt_f32_u32_e32 v8, v9
	s_delay_alu instid0(VALU_DEP_2) | instskip(SKIP_1) | instid1(VALU_DEP_3)
	v_mad_u64_u32 v[34:35], null, s14, v30, v[32:33]
	v_mul_lo_u32 v30, s15, v30
	v_fmaak_f32 v8, 0x2f800000, v8, 0x2f800000
	s_delay_alu instid0(VALU_DEP_3) | instskip(NEXT) | instid1(VALU_DEP_2)
	v_add_co_u32 v32, s2, s8, v34
	v_cvt_f64_f32_e32 v[8:9], v8
	s_delay_alu instid0(VALU_DEP_1) | instskip(SKIP_2) | instid1(VALU_DEP_1)
	v_cmp_gt_f64_e32 vcc_lo, s[18:19], v[8:9]
	v_cndmask_b32_e64 v24, 0, 0x3ff00000, vcc_lo
	s_waitcnt vmcnt(0)
	v_mul_f64 v[8:9], v[2:3], v[23:24]
	v_mul_lo_u32 v24, s14, v31
	s_delay_alu instid0(VALU_DEP_1) | instskip(SKIP_1) | instid1(VALU_DEP_2)
	v_add3_u32 v35, v30, v35, v24
	v_cndmask_b32_e64 v24, 0, 1, vcc_lo
	v_lshlrev_b64 v[30:31], 3, v[34:35]
	v_add_co_ci_u32_e64 v33, s2, s9, v35, s2
	s_delay_alu instid0(VALU_DEP_2) | instskip(NEXT) | instid1(VALU_DEP_1)
	v_add_co_u32 v30, s2, s10, v30
	v_add_co_ci_u32_e64 v31, s2, s11, v31, s2
	v_mul_f64 v[8:9], v[25:26], v[8:9]
	global_store_b64 v[30:31], v[8:9], off
	global_store_b8 v[32:33], v24, off
	s_or_b32 exec_lo, exec_lo, s3
	s_and_saveexec_b32 s4, s1
	s_cbranch_execz .LBB34_50
.LBB34_69:                              ;   in Loop: Header=BB34_9 Depth=1
	v_mov_b32_e32 v8, 0
	v_mov_b32_e32 v9, 0
	s_and_not1_b32 vcc_lo, exec_lo, s34
	s_mov_b64 s[2:3], s[24:25]
	s_mov_b32 s28, s38
	s_cbranch_vccz .LBB34_78
.LBB34_70:                              ;   in Loop: Header=BB34_9 Depth=1
	v_cvt_f32_u32_e32 v10, v10
	s_delay_alu instid0(VALU_DEP_3) | instskip(NEXT) | instid1(VALU_DEP_3)
	v_mad_u64_u32 v[32:33], null, s14, v17, v[8:9]
	v_mul_lo_u32 v8, s14, v18
	v_mul_lo_u32 v9, s15, v17
	s_delay_alu instid0(VALU_DEP_4) | instskip(NEXT) | instid1(VALU_DEP_4)
	v_fmaak_f32 v10, 0x2f800000, v10, 0x2f800000
	v_add_co_u32 v17, s1, s8, v32
	s_delay_alu instid0(VALU_DEP_2) | instskip(NEXT) | instid1(VALU_DEP_4)
	v_cvt_f64_f32_e32 v[30:31], v10
	v_add3_u32 v33, v9, v33, v8
	s_delay_alu instid0(VALU_DEP_1) | instskip(SKIP_1) | instid1(VALU_DEP_2)
	v_lshlrev_b64 v[8:9], 3, v[32:33]
	v_add_co_ci_u32_e64 v18, s1, s9, v33, s1
	v_add_co_u32 v8, s1, s10, v8
	s_delay_alu instid0(VALU_DEP_1) | instskip(SKIP_4) | instid1(VALU_DEP_2)
	v_add_co_ci_u32_e64 v9, s1, s11, v9, s1
	v_cmp_gt_f64_e32 vcc_lo, s[18:19], v[30:31]
	v_cndmask_b32_e64 v24, 0, 0x3ff00000, vcc_lo
	v_cndmask_b32_e64 v10, 0, 1, vcc_lo
	s_waitcnt vmcnt(0)
	v_mul_f64 v[30:31], v[4:5], v[23:24]
	s_delay_alu instid0(VALU_DEP_1)
	v_mul_f64 v[30:31], v[25:26], v[30:31]
	global_store_b64 v[8:9], v[30:31], off
	global_store_b8 v[17:18], v10, off
	s_or_b32 exec_lo, exec_lo, s4
	s_and_saveexec_b32 s1, s0
	s_cbranch_execz .LBB34_8
.LBB34_71:                              ;   in Loop: Header=BB34_9 Depth=1
	v_mov_b32_e32 v8, 0
	v_mov_b32_e32 v9, 0
	s_and_not1_b32 vcc_lo, exec_lo, s34
	s_mov_b64 s[2:3], s[24:25]
	s_mov_b32 s4, s38
	s_cbranch_vccz .LBB34_83
	s_branch .LBB34_7
.LBB34_72:                              ;   in Loop: Header=BB34_73 Depth=2
	s_or_b32 exec_lo, exec_lo, s2
	s_load_b64 s[40:41], s[26:27], 0xc8
	v_mul_lo_u32 v8, v35, s28
	v_mul_lo_u32 v24, v34, s29
	v_mad_u64_u32 v[36:37], null, v34, s28, 0
	s_add_i32 s4, s4, -1
	s_add_u32 s26, s26, -8
	s_addc_u32 s27, s27, -1
	s_cmp_gt_u32 s4, 2
	s_delay_alu instid0(VALU_DEP_1) | instskip(NEXT) | instid1(VALU_DEP_2)
	v_add3_u32 v8, v37, v24, v8
	v_sub_co_u32 v24, vcc_lo, v30, v36
	s_delay_alu instid0(VALU_DEP_2) | instskip(SKIP_1) | instid1(VALU_DEP_2)
	v_sub_co_ci_u32_e32 v8, vcc_lo, v31, v8, vcc_lo
	s_waitcnt lgkmcnt(0)
	v_mul_lo_u32 v36, s41, v24
	s_delay_alu instid0(VALU_DEP_2) | instskip(SKIP_1) | instid1(VALU_DEP_1)
	v_mul_lo_u32 v8, s40, v8
	v_mad_u64_u32 v[30:31], null, s40, v24, v[32:33]
	v_add3_u32 v33, v36, v31, v8
	s_delay_alu instid0(VALU_DEP_2)
	v_mov_b32_e32 v32, v30
	v_dual_mov_b32 v30, v34 :: v_dual_mov_b32 v31, v35
	s_cbranch_scc0 .LBB34_68
.LBB34_73:                              ;   Parent Loop BB34_9 Depth=1
                                        ; =>  This Inner Loop Header: Depth=2
	s_load_b64 s[28:29], s[26:27], 0x0
                                        ; implicit-def: $vgpr34_vgpr35
	s_mov_b32 s2, exec_lo
	s_waitcnt lgkmcnt(0)
	v_or_b32_e32 v24, s29, v31
	s_delay_alu instid0(VALU_DEP_1)
	v_cmpx_ne_u64_e32 0, v[23:24]
	s_xor_b32 s39, exec_lo, s2
	s_cbranch_execz .LBB34_75
; %bb.74:                               ;   in Loop: Header=BB34_73 Depth=2
	v_cvt_f32_u32_e32 v8, s28
	v_cvt_f32_u32_e32 v24, s29
	s_sub_u32 s2, 0, s28
	s_subb_u32 s40, 0, s29
	s_delay_alu instid0(VALU_DEP_1) | instskip(NEXT) | instid1(VALU_DEP_1)
	v_fmac_f32_e32 v8, 0x4f800000, v24
	v_rcp_f32_e32 v8, v8
	s_waitcnt_depctr 0xfff
	v_mul_f32_e32 v8, 0x5f7ffffc, v8
	s_delay_alu instid0(VALU_DEP_1) | instskip(NEXT) | instid1(VALU_DEP_1)
	v_mul_f32_e32 v24, 0x2f800000, v8
	v_trunc_f32_e32 v24, v24
	s_delay_alu instid0(VALU_DEP_1) | instskip(SKIP_1) | instid1(VALU_DEP_2)
	v_fmac_f32_e32 v8, 0xcf800000, v24
	v_cvt_u32_f32_e32 v24, v24
	v_cvt_u32_f32_e32 v8, v8
	s_delay_alu instid0(VALU_DEP_2) | instskip(NEXT) | instid1(VALU_DEP_2)
	v_mul_lo_u32 v34, s2, v24
	v_mul_hi_u32 v35, s2, v8
	v_mul_lo_u32 v36, s40, v8
	s_delay_alu instid0(VALU_DEP_2) | instskip(SKIP_1) | instid1(VALU_DEP_2)
	v_add_nc_u32_e32 v34, v35, v34
	v_mul_lo_u32 v35, s2, v8
	v_add_nc_u32_e32 v34, v34, v36
	s_delay_alu instid0(VALU_DEP_2) | instskip(NEXT) | instid1(VALU_DEP_2)
	v_mul_hi_u32 v36, v8, v35
	v_mul_lo_u32 v37, v8, v34
	v_mul_hi_u32 v59, v8, v34
	v_mul_hi_u32 v60, v24, v35
	v_mul_lo_u32 v35, v24, v35
	v_mul_hi_u32 v61, v24, v34
	v_mul_lo_u32 v34, v24, v34
	v_add_co_u32 v36, vcc_lo, v36, v37
	v_add_co_ci_u32_e32 v37, vcc_lo, 0, v59, vcc_lo
	s_delay_alu instid0(VALU_DEP_2) | instskip(NEXT) | instid1(VALU_DEP_2)
	v_add_co_u32 v35, vcc_lo, v36, v35
	v_add_co_ci_u32_e32 v35, vcc_lo, v37, v60, vcc_lo
	v_add_co_ci_u32_e32 v36, vcc_lo, 0, v61, vcc_lo
	s_delay_alu instid0(VALU_DEP_2) | instskip(NEXT) | instid1(VALU_DEP_2)
	v_add_co_u32 v34, vcc_lo, v35, v34
	v_add_co_ci_u32_e32 v35, vcc_lo, 0, v36, vcc_lo
	s_delay_alu instid0(VALU_DEP_2) | instskip(NEXT) | instid1(VALU_DEP_2)
	v_add_co_u32 v8, vcc_lo, v8, v34
	v_add_co_ci_u32_e32 v24, vcc_lo, v24, v35, vcc_lo
	s_delay_alu instid0(VALU_DEP_2) | instskip(SKIP_1) | instid1(VALU_DEP_3)
	v_mul_hi_u32 v34, s2, v8
	v_mul_lo_u32 v36, s40, v8
	v_mul_lo_u32 v35, s2, v24
	s_delay_alu instid0(VALU_DEP_1) | instskip(SKIP_1) | instid1(VALU_DEP_2)
	v_add_nc_u32_e32 v34, v34, v35
	v_mul_lo_u32 v35, s2, v8
	v_add_nc_u32_e32 v34, v34, v36
	s_delay_alu instid0(VALU_DEP_2) | instskip(NEXT) | instid1(VALU_DEP_2)
	v_mul_hi_u32 v36, v8, v35
	v_mul_lo_u32 v37, v8, v34
	v_mul_hi_u32 v59, v8, v34
	v_mul_hi_u32 v60, v24, v35
	v_mul_lo_u32 v35, v24, v35
	v_mul_hi_u32 v61, v24, v34
	v_mul_lo_u32 v34, v24, v34
	v_add_co_u32 v36, vcc_lo, v36, v37
	v_add_co_ci_u32_e32 v37, vcc_lo, 0, v59, vcc_lo
	s_delay_alu instid0(VALU_DEP_2) | instskip(NEXT) | instid1(VALU_DEP_2)
	v_add_co_u32 v35, vcc_lo, v36, v35
	v_add_co_ci_u32_e32 v35, vcc_lo, v37, v60, vcc_lo
	v_add_co_ci_u32_e32 v36, vcc_lo, 0, v61, vcc_lo
	s_delay_alu instid0(VALU_DEP_2) | instskip(NEXT) | instid1(VALU_DEP_2)
	v_add_co_u32 v34, vcc_lo, v35, v34
	v_add_co_ci_u32_e32 v35, vcc_lo, 0, v36, vcc_lo
	s_delay_alu instid0(VALU_DEP_2) | instskip(NEXT) | instid1(VALU_DEP_2)
	v_add_co_u32 v8, vcc_lo, v8, v34
	v_add_co_ci_u32_e32 v24, vcc_lo, v24, v35, vcc_lo
	s_delay_alu instid0(VALU_DEP_2) | instskip(SKIP_1) | instid1(VALU_DEP_3)
	v_mul_hi_u32 v61, v30, v8
	v_mad_u64_u32 v[36:37], null, v31, v8, 0
	v_mad_u64_u32 v[34:35], null, v30, v24, 0
	;; [unrolled: 1-line block ×3, first 2 shown]
	s_delay_alu instid0(VALU_DEP_2) | instskip(NEXT) | instid1(VALU_DEP_3)
	v_add_co_u32 v8, vcc_lo, v61, v34
	v_add_co_ci_u32_e32 v24, vcc_lo, 0, v35, vcc_lo
	s_delay_alu instid0(VALU_DEP_2) | instskip(NEXT) | instid1(VALU_DEP_2)
	v_add_co_u32 v8, vcc_lo, v8, v36
	v_add_co_ci_u32_e32 v8, vcc_lo, v24, v37, vcc_lo
	v_add_co_ci_u32_e32 v24, vcc_lo, 0, v60, vcc_lo
	s_delay_alu instid0(VALU_DEP_2) | instskip(NEXT) | instid1(VALU_DEP_2)
	v_add_co_u32 v8, vcc_lo, v8, v59
	v_add_co_ci_u32_e32 v24, vcc_lo, 0, v24, vcc_lo
	s_delay_alu instid0(VALU_DEP_2) | instskip(SKIP_1) | instid1(VALU_DEP_3)
	v_mul_lo_u32 v36, s29, v8
	v_mad_u64_u32 v[34:35], null, s28, v8, 0
	v_mul_lo_u32 v37, s28, v24
	s_delay_alu instid0(VALU_DEP_2) | instskip(NEXT) | instid1(VALU_DEP_2)
	v_sub_co_u32 v34, vcc_lo, v30, v34
	v_add3_u32 v35, v35, v37, v36
	s_delay_alu instid0(VALU_DEP_1) | instskip(NEXT) | instid1(VALU_DEP_1)
	v_sub_nc_u32_e32 v36, v31, v35
	v_subrev_co_ci_u32_e64 v36, s2, s29, v36, vcc_lo
	v_add_co_u32 v37, s2, v8, 2
	s_delay_alu instid0(VALU_DEP_1) | instskip(SKIP_3) | instid1(VALU_DEP_3)
	v_add_co_ci_u32_e64 v59, s2, 0, v24, s2
	v_sub_co_u32 v60, s2, v34, s28
	v_sub_co_ci_u32_e32 v35, vcc_lo, v31, v35, vcc_lo
	v_subrev_co_ci_u32_e64 v36, s2, 0, v36, s2
	v_cmp_le_u32_e32 vcc_lo, s28, v60
	s_delay_alu instid0(VALU_DEP_3) | instskip(SKIP_1) | instid1(VALU_DEP_4)
	v_cmp_eq_u32_e64 s2, s29, v35
	v_cndmask_b32_e64 v60, 0, -1, vcc_lo
	v_cmp_le_u32_e32 vcc_lo, s29, v36
	v_cndmask_b32_e64 v61, 0, -1, vcc_lo
	v_cmp_le_u32_e32 vcc_lo, s28, v34
	;; [unrolled: 2-line block ×3, first 2 shown]
	v_cndmask_b32_e64 v62, 0, -1, vcc_lo
	v_cmp_eq_u32_e32 vcc_lo, s29, v36
	s_delay_alu instid0(VALU_DEP_2) | instskip(SKIP_3) | instid1(VALU_DEP_3)
	v_cndmask_b32_e64 v34, v62, v34, s2
	v_cndmask_b32_e32 v36, v61, v60, vcc_lo
	v_add_co_u32 v60, vcc_lo, v8, 1
	v_add_co_ci_u32_e32 v61, vcc_lo, 0, v24, vcc_lo
	v_cmp_ne_u32_e32 vcc_lo, 0, v36
	s_delay_alu instid0(VALU_DEP_2) | instskip(SKIP_1) | instid1(VALU_DEP_2)
	v_dual_cndmask_b32 v35, v61, v59 :: v_dual_cndmask_b32 v36, v60, v37
	v_cmp_ne_u32_e32 vcc_lo, 0, v34
	v_cndmask_b32_e32 v35, v24, v35, vcc_lo
	s_delay_alu instid0(VALU_DEP_3)
	v_cndmask_b32_e32 v34, v8, v36, vcc_lo
.LBB34_75:                              ;   in Loop: Header=BB34_73 Depth=2
	s_and_not1_saveexec_b32 s2, s39
	s_cbranch_execz .LBB34_72
; %bb.76:                               ;   in Loop: Header=BB34_73 Depth=2
	v_cvt_f32_u32_e32 v8, s28
	s_sub_i32 s39, 0, s28
	s_delay_alu instid0(VALU_DEP_1) | instskip(SKIP_2) | instid1(VALU_DEP_1)
	v_rcp_iflag_f32_e32 v8, v8
	s_waitcnt_depctr 0xfff
	v_mul_f32_e32 v8, 0x4f7ffffe, v8
	v_cvt_u32_f32_e32 v8, v8
	s_delay_alu instid0(VALU_DEP_1) | instskip(NEXT) | instid1(VALU_DEP_1)
	v_mul_lo_u32 v24, s39, v8
	v_mul_hi_u32 v24, v8, v24
	s_delay_alu instid0(VALU_DEP_1) | instskip(NEXT) | instid1(VALU_DEP_1)
	v_add_nc_u32_e32 v8, v8, v24
	v_mul_hi_u32 v8, v30, v8
	s_delay_alu instid0(VALU_DEP_1) | instskip(SKIP_1) | instid1(VALU_DEP_2)
	v_mul_lo_u32 v24, v8, s28
	v_add_nc_u32_e32 v34, 1, v8
	v_sub_nc_u32_e32 v24, v30, v24
	s_delay_alu instid0(VALU_DEP_1) | instskip(SKIP_1) | instid1(VALU_DEP_2)
	v_subrev_nc_u32_e32 v35, s28, v24
	v_cmp_le_u32_e32 vcc_lo, s28, v24
	v_dual_cndmask_b32 v24, v24, v35 :: v_dual_mov_b32 v35, v23
	v_cndmask_b32_e32 v8, v8, v34, vcc_lo
	s_delay_alu instid0(VALU_DEP_2) | instskip(NEXT) | instid1(VALU_DEP_2)
	v_cmp_le_u32_e32 vcc_lo, s28, v24
	v_add_nc_u32_e32 v34, 1, v8
	s_delay_alu instid0(VALU_DEP_1)
	v_cndmask_b32_e32 v34, v8, v34, vcc_lo
	s_branch .LBB34_72
.LBB34_77:                              ;   in Loop: Header=BB34_78 Depth=2
	s_or_b32 exec_lo, exec_lo, s1
	s_load_b64 s[40:41], s[2:3], 0xc8
	s_delay_alu instid0(VALU_DEP_1)
	v_mul_lo_u32 v24, v31, s26
	v_mul_lo_u32 v34, v30, s27
	v_mad_u64_u32 v[32:33], null, v30, s26, 0
	s_add_i32 s28, s28, -1
	s_add_u32 s2, s2, -8
	s_addc_u32 s3, s3, -1
	s_cmp_gt_u32 s28, 2
	s_delay_alu instid0(VALU_DEP_1) | instskip(NEXT) | instid1(VALU_DEP_2)
	v_add3_u32 v24, v33, v34, v24
	v_sub_co_u32 v32, vcc_lo, v17, v32
	s_delay_alu instid0(VALU_DEP_2) | instskip(SKIP_1) | instid1(VALU_DEP_2)
	v_sub_co_ci_u32_e32 v17, vcc_lo, v18, v24, vcc_lo
	s_waitcnt lgkmcnt(0)
	v_mul_lo_u32 v33, s41, v32
	s_delay_alu instid0(VALU_DEP_2) | instskip(SKIP_1) | instid1(VALU_DEP_1)
	v_mul_lo_u32 v24, s40, v17
	v_mad_u64_u32 v[17:18], null, s40, v32, v[8:9]
	v_add3_u32 v9, v33, v18, v24
	s_delay_alu instid0(VALU_DEP_2)
	v_dual_mov_b32 v8, v17 :: v_dual_mov_b32 v17, v30
	v_mov_b32_e32 v18, v31
	s_cbranch_scc0 .LBB34_70
.LBB34_78:                              ;   Parent Loop BB34_9 Depth=1
                                        ; =>  This Inner Loop Header: Depth=2
	s_load_b64 s[26:27], s[2:3], 0x0
                                        ; implicit-def: $vgpr30_vgpr31
	s_mov_b32 s1, exec_lo
	s_waitcnt lgkmcnt(0)
	v_or_b32_e32 v24, s27, v18
	s_delay_alu instid0(VALU_DEP_1)
	v_cmpx_ne_u64_e32 0, v[23:24]
	s_xor_b32 s29, exec_lo, s1
	s_cbranch_execz .LBB34_80
; %bb.79:                               ;   in Loop: Header=BB34_78 Depth=2
	v_cvt_f32_u32_e32 v24, s26
	v_cvt_f32_u32_e32 v30, s27
	s_sub_u32 s1, 0, s26
	s_subb_u32 s39, 0, s27
	s_delay_alu instid0(VALU_DEP_1) | instskip(NEXT) | instid1(VALU_DEP_1)
	v_fmac_f32_e32 v24, 0x4f800000, v30
	v_rcp_f32_e32 v24, v24
	s_waitcnt_depctr 0xfff
	v_mul_f32_e32 v24, 0x5f7ffffc, v24
	s_delay_alu instid0(VALU_DEP_1) | instskip(NEXT) | instid1(VALU_DEP_1)
	v_mul_f32_e32 v30, 0x2f800000, v24
	v_trunc_f32_e32 v30, v30
	s_delay_alu instid0(VALU_DEP_1) | instskip(SKIP_1) | instid1(VALU_DEP_2)
	v_fmac_f32_e32 v24, 0xcf800000, v30
	v_cvt_u32_f32_e32 v30, v30
	v_cvt_u32_f32_e32 v24, v24
	s_delay_alu instid0(VALU_DEP_2) | instskip(NEXT) | instid1(VALU_DEP_2)
	v_mul_lo_u32 v31, s1, v30
	v_mul_hi_u32 v32, s1, v24
	v_mul_lo_u32 v33, s39, v24
	s_delay_alu instid0(VALU_DEP_2) | instskip(SKIP_1) | instid1(VALU_DEP_2)
	v_add_nc_u32_e32 v31, v32, v31
	v_mul_lo_u32 v32, s1, v24
	v_add_nc_u32_e32 v31, v31, v33
	s_delay_alu instid0(VALU_DEP_2) | instskip(NEXT) | instid1(VALU_DEP_2)
	v_mul_hi_u32 v33, v24, v32
	v_mul_lo_u32 v34, v24, v31
	v_mul_hi_u32 v35, v24, v31
	v_mul_hi_u32 v36, v30, v32
	v_mul_lo_u32 v32, v30, v32
	v_mul_hi_u32 v37, v30, v31
	v_mul_lo_u32 v31, v30, v31
	v_add_co_u32 v33, vcc_lo, v33, v34
	v_add_co_ci_u32_e32 v34, vcc_lo, 0, v35, vcc_lo
	s_delay_alu instid0(VALU_DEP_2) | instskip(NEXT) | instid1(VALU_DEP_2)
	v_add_co_u32 v32, vcc_lo, v33, v32
	v_add_co_ci_u32_e32 v32, vcc_lo, v34, v36, vcc_lo
	v_add_co_ci_u32_e32 v33, vcc_lo, 0, v37, vcc_lo
	s_delay_alu instid0(VALU_DEP_2) | instskip(NEXT) | instid1(VALU_DEP_2)
	v_add_co_u32 v31, vcc_lo, v32, v31
	v_add_co_ci_u32_e32 v32, vcc_lo, 0, v33, vcc_lo
	s_delay_alu instid0(VALU_DEP_2) | instskip(NEXT) | instid1(VALU_DEP_2)
	v_add_co_u32 v24, vcc_lo, v24, v31
	v_add_co_ci_u32_e32 v30, vcc_lo, v30, v32, vcc_lo
	s_delay_alu instid0(VALU_DEP_2) | instskip(SKIP_1) | instid1(VALU_DEP_3)
	v_mul_hi_u32 v31, s1, v24
	v_mul_lo_u32 v33, s39, v24
	v_mul_lo_u32 v32, s1, v30
	s_delay_alu instid0(VALU_DEP_1) | instskip(SKIP_1) | instid1(VALU_DEP_2)
	v_add_nc_u32_e32 v31, v31, v32
	v_mul_lo_u32 v32, s1, v24
	v_add_nc_u32_e32 v31, v31, v33
	s_delay_alu instid0(VALU_DEP_2) | instskip(NEXT) | instid1(VALU_DEP_2)
	v_mul_hi_u32 v33, v24, v32
	v_mul_lo_u32 v34, v24, v31
	v_mul_hi_u32 v35, v24, v31
	v_mul_hi_u32 v36, v30, v32
	v_mul_lo_u32 v32, v30, v32
	v_mul_hi_u32 v37, v30, v31
	v_mul_lo_u32 v31, v30, v31
	v_add_co_u32 v33, vcc_lo, v33, v34
	v_add_co_ci_u32_e32 v34, vcc_lo, 0, v35, vcc_lo
	s_delay_alu instid0(VALU_DEP_2) | instskip(NEXT) | instid1(VALU_DEP_2)
	v_add_co_u32 v32, vcc_lo, v33, v32
	v_add_co_ci_u32_e32 v32, vcc_lo, v34, v36, vcc_lo
	v_add_co_ci_u32_e32 v33, vcc_lo, 0, v37, vcc_lo
	s_delay_alu instid0(VALU_DEP_2) | instskip(NEXT) | instid1(VALU_DEP_2)
	v_add_co_u32 v31, vcc_lo, v32, v31
	v_add_co_ci_u32_e32 v32, vcc_lo, 0, v33, vcc_lo
	s_delay_alu instid0(VALU_DEP_2) | instskip(NEXT) | instid1(VALU_DEP_2)
	v_add_co_u32 v24, vcc_lo, v24, v31
	v_add_co_ci_u32_e32 v36, vcc_lo, v30, v32, vcc_lo
	s_delay_alu instid0(VALU_DEP_2) | instskip(SKIP_1) | instid1(VALU_DEP_3)
	v_mul_hi_u32 v37, v17, v24
	v_mad_u64_u32 v[32:33], null, v18, v24, 0
	v_mad_u64_u32 v[30:31], null, v17, v36, 0
	;; [unrolled: 1-line block ×3, first 2 shown]
	s_delay_alu instid0(VALU_DEP_2) | instskip(NEXT) | instid1(VALU_DEP_3)
	v_add_co_u32 v24, vcc_lo, v37, v30
	v_add_co_ci_u32_e32 v30, vcc_lo, 0, v31, vcc_lo
	s_delay_alu instid0(VALU_DEP_2) | instskip(NEXT) | instid1(VALU_DEP_2)
	v_add_co_u32 v24, vcc_lo, v24, v32
	v_add_co_ci_u32_e32 v24, vcc_lo, v30, v33, vcc_lo
	v_add_co_ci_u32_e32 v30, vcc_lo, 0, v35, vcc_lo
	s_delay_alu instid0(VALU_DEP_2) | instskip(NEXT) | instid1(VALU_DEP_2)
	v_add_co_u32 v24, vcc_lo, v24, v34
	v_add_co_ci_u32_e32 v32, vcc_lo, 0, v30, vcc_lo
	s_delay_alu instid0(VALU_DEP_2) | instskip(SKIP_1) | instid1(VALU_DEP_3)
	v_mul_lo_u32 v33, s27, v24
	v_mad_u64_u32 v[30:31], null, s26, v24, 0
	v_mul_lo_u32 v34, s26, v32
	s_delay_alu instid0(VALU_DEP_2) | instskip(NEXT) | instid1(VALU_DEP_2)
	v_sub_co_u32 v30, vcc_lo, v17, v30
	v_add3_u32 v31, v31, v34, v33
	s_delay_alu instid0(VALU_DEP_1) | instskip(NEXT) | instid1(VALU_DEP_1)
	v_sub_nc_u32_e32 v33, v18, v31
	v_subrev_co_ci_u32_e64 v33, s1, s27, v33, vcc_lo
	v_add_co_u32 v34, s1, v24, 2
	s_delay_alu instid0(VALU_DEP_1) | instskip(SKIP_3) | instid1(VALU_DEP_3)
	v_add_co_ci_u32_e64 v35, s1, 0, v32, s1
	v_sub_co_u32 v36, s1, v30, s26
	v_sub_co_ci_u32_e32 v31, vcc_lo, v18, v31, vcc_lo
	v_subrev_co_ci_u32_e64 v33, s1, 0, v33, s1
	v_cmp_le_u32_e32 vcc_lo, s26, v36
	s_delay_alu instid0(VALU_DEP_3) | instskip(SKIP_1) | instid1(VALU_DEP_4)
	v_cmp_eq_u32_e64 s1, s27, v31
	v_cndmask_b32_e64 v36, 0, -1, vcc_lo
	v_cmp_le_u32_e32 vcc_lo, s27, v33
	v_cndmask_b32_e64 v37, 0, -1, vcc_lo
	v_cmp_le_u32_e32 vcc_lo, s26, v30
	;; [unrolled: 2-line block ×3, first 2 shown]
	v_cndmask_b32_e64 v59, 0, -1, vcc_lo
	v_cmp_eq_u32_e32 vcc_lo, s27, v33
	s_delay_alu instid0(VALU_DEP_2) | instskip(SKIP_3) | instid1(VALU_DEP_3)
	v_cndmask_b32_e64 v30, v59, v30, s1
	v_cndmask_b32_e32 v33, v37, v36, vcc_lo
	v_add_co_u32 v36, vcc_lo, v24, 1
	v_add_co_ci_u32_e32 v37, vcc_lo, 0, v32, vcc_lo
	v_cmp_ne_u32_e32 vcc_lo, 0, v33
	s_delay_alu instid0(VALU_DEP_3) | instskip(NEXT) | instid1(VALU_DEP_3)
	v_cndmask_b32_e32 v33, v36, v34, vcc_lo
	v_cndmask_b32_e32 v31, v37, v35, vcc_lo
	v_cmp_ne_u32_e32 vcc_lo, 0, v30
	s_delay_alu instid0(VALU_DEP_3) | instskip(NEXT) | instid1(VALU_DEP_3)
	v_cndmask_b32_e32 v30, v24, v33, vcc_lo
	v_cndmask_b32_e32 v31, v32, v31, vcc_lo
.LBB34_80:                              ;   in Loop: Header=BB34_78 Depth=2
	s_and_not1_saveexec_b32 s1, s29
	s_cbranch_execz .LBB34_77
; %bb.81:                               ;   in Loop: Header=BB34_78 Depth=2
	v_cvt_f32_u32_e32 v24, s26
	s_sub_i32 s29, 0, s26
	s_delay_alu instid0(VALU_DEP_1) | instskip(SKIP_2) | instid1(VALU_DEP_1)
	v_rcp_iflag_f32_e32 v24, v24
	s_waitcnt_depctr 0xfff
	v_mul_f32_e32 v24, 0x4f7ffffe, v24
	v_cvt_u32_f32_e32 v24, v24
	s_delay_alu instid0(VALU_DEP_1) | instskip(NEXT) | instid1(VALU_DEP_1)
	v_mul_lo_u32 v30, s29, v24
	v_mul_hi_u32 v30, v24, v30
	s_delay_alu instid0(VALU_DEP_1) | instskip(NEXT) | instid1(VALU_DEP_1)
	v_add_nc_u32_e32 v24, v24, v30
	v_mul_hi_u32 v24, v17, v24
	s_delay_alu instid0(VALU_DEP_1) | instskip(SKIP_1) | instid1(VALU_DEP_2)
	v_mul_lo_u32 v30, v24, s26
	v_add_nc_u32_e32 v31, 1, v24
	v_sub_nc_u32_e32 v30, v17, v30
	s_delay_alu instid0(VALU_DEP_1) | instskip(SKIP_1) | instid1(VALU_DEP_2)
	v_subrev_nc_u32_e32 v32, s26, v30
	v_cmp_le_u32_e32 vcc_lo, s26, v30
	v_cndmask_b32_e32 v30, v30, v32, vcc_lo
	v_cndmask_b32_e32 v24, v24, v31, vcc_lo
	s_delay_alu instid0(VALU_DEP_2) | instskip(NEXT) | instid1(VALU_DEP_2)
	v_cmp_le_u32_e32 vcc_lo, s26, v30
	v_add_nc_u32_e32 v31, 1, v24
	s_delay_alu instid0(VALU_DEP_1)
	v_dual_cndmask_b32 v30, v24, v31 :: v_dual_mov_b32 v31, v23
	s_branch .LBB34_77
.LBB34_82:                              ;   in Loop: Header=BB34_83 Depth=2
	s_or_b32 exec_lo, exec_lo, s0
	s_load_b64 s[28:29], s[2:3], 0xc8
	s_delay_alu instid0(VALU_DEP_1)
	v_mul_lo_u32 v10, v18, s26
	v_mul_lo_u32 v24, v17, s27
	v_mad_u64_u32 v[30:31], null, v17, s26, 0
	s_add_i32 s4, s4, -1
	s_add_u32 s2, s2, -8
	s_addc_u32 s3, s3, -1
	s_cmp_gt_u32 s4, 2
	s_delay_alu instid0(VALU_DEP_1) | instskip(NEXT) | instid1(VALU_DEP_2)
	v_add3_u32 v10, v31, v24, v10
	v_sub_co_u32 v24, vcc_lo, v15, v30
	s_delay_alu instid0(VALU_DEP_2) | instskip(SKIP_1) | instid1(VALU_DEP_2)
	v_sub_co_ci_u32_e32 v10, vcc_lo, v16, v10, vcc_lo
	s_waitcnt lgkmcnt(0)
	v_mul_lo_u32 v30, s29, v24
	s_delay_alu instid0(VALU_DEP_2) | instskip(SKIP_1) | instid1(VALU_DEP_1)
	v_mul_lo_u32 v10, s28, v10
	v_mad_u64_u32 v[15:16], null, s28, v24, v[8:9]
	v_add3_u32 v9, v30, v16, v10
	s_delay_alu instid0(VALU_DEP_2)
	v_dual_mov_b32 v8, v15 :: v_dual_mov_b32 v15, v17
	v_mov_b32_e32 v16, v18
	s_cbranch_scc0 .LBB34_7
.LBB34_83:                              ;   Parent Loop BB34_9 Depth=1
                                        ; =>  This Inner Loop Header: Depth=2
	s_load_b64 s[26:27], s[2:3], 0x0
                                        ; implicit-def: $vgpr17_vgpr18
	s_mov_b32 s0, exec_lo
	s_waitcnt lgkmcnt(0)
	v_or_b32_e32 v24, s27, v16
	s_delay_alu instid0(VALU_DEP_1)
	v_cmpx_ne_u64_e32 0, v[23:24]
	s_xor_b32 s28, exec_lo, s0
	s_cbranch_execz .LBB34_85
; %bb.84:                               ;   in Loop: Header=BB34_83 Depth=2
	v_cvt_f32_u32_e32 v10, s26
	v_cvt_f32_u32_e32 v17, s27
	s_sub_u32 s0, 0, s26
	s_subb_u32 s29, 0, s27
	s_delay_alu instid0(VALU_DEP_1) | instskip(NEXT) | instid1(VALU_DEP_1)
	v_fmac_f32_e32 v10, 0x4f800000, v17
	v_rcp_f32_e32 v10, v10
	s_waitcnt_depctr 0xfff
	v_mul_f32_e32 v10, 0x5f7ffffc, v10
	s_delay_alu instid0(VALU_DEP_1) | instskip(NEXT) | instid1(VALU_DEP_1)
	v_mul_f32_e32 v17, 0x2f800000, v10
	v_trunc_f32_e32 v17, v17
	s_delay_alu instid0(VALU_DEP_1) | instskip(SKIP_1) | instid1(VALU_DEP_2)
	v_fmac_f32_e32 v10, 0xcf800000, v17
	v_cvt_u32_f32_e32 v17, v17
	v_cvt_u32_f32_e32 v10, v10
	s_delay_alu instid0(VALU_DEP_2) | instskip(NEXT) | instid1(VALU_DEP_2)
	v_mul_lo_u32 v18, s0, v17
	v_mul_hi_u32 v24, s0, v10
	v_mul_lo_u32 v30, s29, v10
	s_delay_alu instid0(VALU_DEP_2) | instskip(SKIP_1) | instid1(VALU_DEP_2)
	v_add_nc_u32_e32 v18, v24, v18
	v_mul_lo_u32 v24, s0, v10
	v_add_nc_u32_e32 v18, v18, v30
	s_delay_alu instid0(VALU_DEP_2) | instskip(NEXT) | instid1(VALU_DEP_2)
	v_mul_hi_u32 v30, v10, v24
	v_mul_lo_u32 v31, v10, v18
	v_mul_hi_u32 v32, v10, v18
	v_mul_hi_u32 v33, v17, v24
	v_mul_lo_u32 v24, v17, v24
	v_mul_hi_u32 v34, v17, v18
	v_mul_lo_u32 v18, v17, v18
	v_add_co_u32 v30, vcc_lo, v30, v31
	v_add_co_ci_u32_e32 v31, vcc_lo, 0, v32, vcc_lo
	s_delay_alu instid0(VALU_DEP_2) | instskip(NEXT) | instid1(VALU_DEP_2)
	v_add_co_u32 v24, vcc_lo, v30, v24
	v_add_co_ci_u32_e32 v24, vcc_lo, v31, v33, vcc_lo
	v_add_co_ci_u32_e32 v30, vcc_lo, 0, v34, vcc_lo
	s_delay_alu instid0(VALU_DEP_2) | instskip(NEXT) | instid1(VALU_DEP_2)
	v_add_co_u32 v18, vcc_lo, v24, v18
	v_add_co_ci_u32_e32 v24, vcc_lo, 0, v30, vcc_lo
	s_delay_alu instid0(VALU_DEP_2) | instskip(NEXT) | instid1(VALU_DEP_2)
	v_add_co_u32 v10, vcc_lo, v10, v18
	v_add_co_ci_u32_e32 v17, vcc_lo, v17, v24, vcc_lo
	s_delay_alu instid0(VALU_DEP_2) | instskip(SKIP_1) | instid1(VALU_DEP_3)
	v_mul_hi_u32 v18, s0, v10
	v_mul_lo_u32 v30, s29, v10
	v_mul_lo_u32 v24, s0, v17
	s_delay_alu instid0(VALU_DEP_1) | instskip(SKIP_1) | instid1(VALU_DEP_2)
	v_add_nc_u32_e32 v18, v18, v24
	v_mul_lo_u32 v24, s0, v10
	v_add_nc_u32_e32 v18, v18, v30
	s_delay_alu instid0(VALU_DEP_2) | instskip(NEXT) | instid1(VALU_DEP_2)
	v_mul_hi_u32 v30, v10, v24
	v_mul_lo_u32 v31, v10, v18
	v_mul_hi_u32 v32, v10, v18
	v_mul_hi_u32 v33, v17, v24
	v_mul_lo_u32 v24, v17, v24
	v_mul_hi_u32 v34, v17, v18
	v_mul_lo_u32 v18, v17, v18
	v_add_co_u32 v30, vcc_lo, v30, v31
	v_add_co_ci_u32_e32 v31, vcc_lo, 0, v32, vcc_lo
	s_delay_alu instid0(VALU_DEP_2) | instskip(NEXT) | instid1(VALU_DEP_2)
	v_add_co_u32 v24, vcc_lo, v30, v24
	v_add_co_ci_u32_e32 v24, vcc_lo, v31, v33, vcc_lo
	v_add_co_ci_u32_e32 v30, vcc_lo, 0, v34, vcc_lo
	s_delay_alu instid0(VALU_DEP_2) | instskip(NEXT) | instid1(VALU_DEP_2)
	v_add_co_u32 v18, vcc_lo, v24, v18
	v_add_co_ci_u32_e32 v24, vcc_lo, 0, v30, vcc_lo
	s_delay_alu instid0(VALU_DEP_2) | instskip(NEXT) | instid1(VALU_DEP_2)
	v_add_co_u32 v10, vcc_lo, v10, v18
	v_add_co_ci_u32_e32 v24, vcc_lo, v17, v24, vcc_lo
	s_delay_alu instid0(VALU_DEP_2) | instskip(SKIP_1) | instid1(VALU_DEP_3)
	v_mul_hi_u32 v34, v15, v10
	v_mad_u64_u32 v[30:31], null, v16, v10, 0
	v_mad_u64_u32 v[17:18], null, v15, v24, 0
	;; [unrolled: 1-line block ×3, first 2 shown]
	s_delay_alu instid0(VALU_DEP_2) | instskip(NEXT) | instid1(VALU_DEP_3)
	v_add_co_u32 v10, vcc_lo, v34, v17
	v_add_co_ci_u32_e32 v17, vcc_lo, 0, v18, vcc_lo
	s_delay_alu instid0(VALU_DEP_2) | instskip(NEXT) | instid1(VALU_DEP_2)
	v_add_co_u32 v10, vcc_lo, v10, v30
	v_add_co_ci_u32_e32 v10, vcc_lo, v17, v31, vcc_lo
	v_add_co_ci_u32_e32 v17, vcc_lo, 0, v33, vcc_lo
	s_delay_alu instid0(VALU_DEP_2) | instskip(NEXT) | instid1(VALU_DEP_2)
	v_add_co_u32 v10, vcc_lo, v10, v32
	v_add_co_ci_u32_e32 v24, vcc_lo, 0, v17, vcc_lo
	s_delay_alu instid0(VALU_DEP_2) | instskip(SKIP_1) | instid1(VALU_DEP_3)
	v_mul_lo_u32 v30, s27, v10
	v_mad_u64_u32 v[17:18], null, s26, v10, 0
	v_mul_lo_u32 v31, s26, v24
	s_delay_alu instid0(VALU_DEP_2) | instskip(NEXT) | instid1(VALU_DEP_2)
	v_sub_co_u32 v17, vcc_lo, v15, v17
	v_add3_u32 v18, v18, v31, v30
	s_delay_alu instid0(VALU_DEP_1) | instskip(NEXT) | instid1(VALU_DEP_1)
	v_sub_nc_u32_e32 v30, v16, v18
	v_subrev_co_ci_u32_e64 v30, s0, s27, v30, vcc_lo
	v_add_co_u32 v31, s0, v10, 2
	s_delay_alu instid0(VALU_DEP_1) | instskip(SKIP_3) | instid1(VALU_DEP_3)
	v_add_co_ci_u32_e64 v32, s0, 0, v24, s0
	v_sub_co_u32 v33, s0, v17, s26
	v_sub_co_ci_u32_e32 v18, vcc_lo, v16, v18, vcc_lo
	v_subrev_co_ci_u32_e64 v30, s0, 0, v30, s0
	v_cmp_le_u32_e32 vcc_lo, s26, v33
	s_delay_alu instid0(VALU_DEP_3) | instskip(SKIP_1) | instid1(VALU_DEP_4)
	v_cmp_eq_u32_e64 s0, s27, v18
	v_cndmask_b32_e64 v33, 0, -1, vcc_lo
	v_cmp_le_u32_e32 vcc_lo, s27, v30
	v_cndmask_b32_e64 v34, 0, -1, vcc_lo
	v_cmp_le_u32_e32 vcc_lo, s26, v17
	;; [unrolled: 2-line block ×3, first 2 shown]
	v_cndmask_b32_e64 v35, 0, -1, vcc_lo
	v_cmp_eq_u32_e32 vcc_lo, s27, v30
	s_delay_alu instid0(VALU_DEP_2) | instskip(SKIP_3) | instid1(VALU_DEP_3)
	v_cndmask_b32_e64 v17, v35, v17, s0
	v_cndmask_b32_e32 v30, v34, v33, vcc_lo
	v_add_co_u32 v33, vcc_lo, v10, 1
	v_add_co_ci_u32_e32 v34, vcc_lo, 0, v24, vcc_lo
	v_cmp_ne_u32_e32 vcc_lo, 0, v30
	s_delay_alu instid0(VALU_DEP_2) | instskip(NEXT) | instid1(VALU_DEP_4)
	v_cndmask_b32_e32 v18, v34, v32, vcc_lo
	v_cndmask_b32_e32 v30, v33, v31, vcc_lo
	v_cmp_ne_u32_e32 vcc_lo, 0, v17
	s_delay_alu instid0(VALU_DEP_3) | instskip(NEXT) | instid1(VALU_DEP_3)
	v_cndmask_b32_e32 v18, v24, v18, vcc_lo
	v_cndmask_b32_e32 v17, v10, v30, vcc_lo
.LBB34_85:                              ;   in Loop: Header=BB34_83 Depth=2
	s_and_not1_saveexec_b32 s0, s28
	s_cbranch_execz .LBB34_82
; %bb.86:                               ;   in Loop: Header=BB34_83 Depth=2
	v_cvt_f32_u32_e32 v10, s26
	s_sub_i32 s28, 0, s26
	s_delay_alu instid0(VALU_DEP_1) | instskip(SKIP_2) | instid1(VALU_DEP_1)
	v_rcp_iflag_f32_e32 v10, v10
	s_waitcnt_depctr 0xfff
	v_mul_f32_e32 v10, 0x4f7ffffe, v10
	v_cvt_u32_f32_e32 v10, v10
	s_delay_alu instid0(VALU_DEP_1) | instskip(NEXT) | instid1(VALU_DEP_1)
	v_mul_lo_u32 v17, s28, v10
	v_mul_hi_u32 v17, v10, v17
	s_delay_alu instid0(VALU_DEP_1) | instskip(NEXT) | instid1(VALU_DEP_1)
	v_add_nc_u32_e32 v10, v10, v17
	v_mul_hi_u32 v10, v15, v10
	s_delay_alu instid0(VALU_DEP_1) | instskip(SKIP_1) | instid1(VALU_DEP_2)
	v_mul_lo_u32 v17, v10, s26
	v_add_nc_u32_e32 v18, 1, v10
	v_sub_nc_u32_e32 v17, v15, v17
	s_delay_alu instid0(VALU_DEP_1) | instskip(SKIP_1) | instid1(VALU_DEP_2)
	v_subrev_nc_u32_e32 v24, s26, v17
	v_cmp_le_u32_e32 vcc_lo, s26, v17
	v_dual_cndmask_b32 v17, v17, v24 :: v_dual_cndmask_b32 v10, v10, v18
	s_delay_alu instid0(VALU_DEP_1) | instskip(NEXT) | instid1(VALU_DEP_2)
	v_cmp_le_u32_e32 vcc_lo, s26, v17
	v_add_nc_u32_e32 v18, 1, v10
	s_delay_alu instid0(VALU_DEP_1)
	v_dual_cndmask_b32 v17, v10, v18 :: v_dual_mov_b32 v18, v23
	s_branch .LBB34_82
.LBB34_87:
	s_endpgm
.LBB34_88:
                                        ; implicit-def: $sgpr2_sgpr3
	s_branch .LBB34_4
	.section	.rodata,"a",@progbits
	.p2align	6, 0x0
	.amdhsa_kernel _ZN2at6native12_GLOBAL__N_120fused_dropout_kernelIddmLin1ELin1EbEEvNS_4cuda6detail10TensorInfoIKT_T1_EENS5_IS6_S8_EENS5_IT4_S8_EES8_T0_NS_15PhiloxCudaStateE
		.amdhsa_group_segment_fixed_size 0
		.amdhsa_private_segment_fixed_size 0
		.amdhsa_kernarg_size 1552
		.amdhsa_user_sgpr_count 15
		.amdhsa_user_sgpr_dispatch_ptr 0
		.amdhsa_user_sgpr_queue_ptr 0
		.amdhsa_user_sgpr_kernarg_segment_ptr 1
		.amdhsa_user_sgpr_dispatch_id 0
		.amdhsa_user_sgpr_private_segment_size 0
		.amdhsa_wavefront_size32 1
		.amdhsa_uses_dynamic_stack 0
		.amdhsa_enable_private_segment 0
		.amdhsa_system_sgpr_workgroup_id_x 1
		.amdhsa_system_sgpr_workgroup_id_y 0
		.amdhsa_system_sgpr_workgroup_id_z 0
		.amdhsa_system_sgpr_workgroup_info 0
		.amdhsa_system_vgpr_workitem_id 0
		.amdhsa_next_free_vgpr 66
		.amdhsa_next_free_sgpr 44
		.amdhsa_reserve_vcc 1
		.amdhsa_float_round_mode_32 0
		.amdhsa_float_round_mode_16_64 0
		.amdhsa_float_denorm_mode_32 3
		.amdhsa_float_denorm_mode_16_64 3
		.amdhsa_dx10_clamp 1
		.amdhsa_ieee_mode 1
		.amdhsa_fp16_overflow 0
		.amdhsa_workgroup_processor_mode 1
		.amdhsa_memory_ordered 1
		.amdhsa_forward_progress 0
		.amdhsa_shared_vgpr_count 0
		.amdhsa_exception_fp_ieee_invalid_op 0
		.amdhsa_exception_fp_denorm_src 0
		.amdhsa_exception_fp_ieee_div_zero 0
		.amdhsa_exception_fp_ieee_overflow 0
		.amdhsa_exception_fp_ieee_underflow 0
		.amdhsa_exception_fp_ieee_inexact 0
		.amdhsa_exception_int_div_zero 0
	.end_amdhsa_kernel
	.section	.text._ZN2at6native12_GLOBAL__N_120fused_dropout_kernelIddmLin1ELin1EbEEvNS_4cuda6detail10TensorInfoIKT_T1_EENS5_IS6_S8_EENS5_IT4_S8_EES8_T0_NS_15PhiloxCudaStateE,"axG",@progbits,_ZN2at6native12_GLOBAL__N_120fused_dropout_kernelIddmLin1ELin1EbEEvNS_4cuda6detail10TensorInfoIKT_T1_EENS5_IS6_S8_EENS5_IT4_S8_EES8_T0_NS_15PhiloxCudaStateE,comdat
.Lfunc_end34:
	.size	_ZN2at6native12_GLOBAL__N_120fused_dropout_kernelIddmLin1ELin1EbEEvNS_4cuda6detail10TensorInfoIKT_T1_EENS5_IS6_S8_EENS5_IT4_S8_EES8_T0_NS_15PhiloxCudaStateE, .Lfunc_end34-_ZN2at6native12_GLOBAL__N_120fused_dropout_kernelIddmLin1ELin1EbEEvNS_4cuda6detail10TensorInfoIKT_T1_EENS5_IS6_S8_EENS5_IT4_S8_EES8_T0_NS_15PhiloxCudaStateE
                                        ; -- End function
	.section	.AMDGPU.csdata,"",@progbits
; Kernel info:
; codeLenInByte = 12696
; NumSgprs: 46
; NumVgprs: 66
; ScratchSize: 0
; MemoryBound: 0
; FloatMode: 240
; IeeeMode: 1
; LDSByteSize: 0 bytes/workgroup (compile time only)
; SGPRBlocks: 5
; VGPRBlocks: 8
; NumSGPRsForWavesPerEU: 46
; NumVGPRsForWavesPerEU: 66
; Occupancy: 16
; WaveLimiterHint : 1
; COMPUTE_PGM_RSRC2:SCRATCH_EN: 0
; COMPUTE_PGM_RSRC2:USER_SGPR: 15
; COMPUTE_PGM_RSRC2:TRAP_HANDLER: 0
; COMPUTE_PGM_RSRC2:TGID_X_EN: 1
; COMPUTE_PGM_RSRC2:TGID_Y_EN: 0
; COMPUTE_PGM_RSRC2:TGID_Z_EN: 0
; COMPUTE_PGM_RSRC2:TIDIG_COMP_CNT: 0
	.section	.text._ZN2at6native12_GLOBAL__N_124fused_dropout_kernel_vecIffmLi1ELi16EbEEvNS_4cuda6detail10TensorInfoIKT_T1_EENS5_IS6_S8_EENS5_IT4_S8_EES8_T0_NS_15PhiloxCudaStateE,"axG",@progbits,_ZN2at6native12_GLOBAL__N_124fused_dropout_kernel_vecIffmLi1ELi16EbEEvNS_4cuda6detail10TensorInfoIKT_T1_EENS5_IS6_S8_EENS5_IT4_S8_EES8_T0_NS_15PhiloxCudaStateE,comdat
	.globl	_ZN2at6native12_GLOBAL__N_124fused_dropout_kernel_vecIffmLi1ELi16EbEEvNS_4cuda6detail10TensorInfoIKT_T1_EENS5_IS6_S8_EENS5_IT4_S8_EES8_T0_NS_15PhiloxCudaStateE ; -- Begin function _ZN2at6native12_GLOBAL__N_124fused_dropout_kernel_vecIffmLi1ELi16EbEEvNS_4cuda6detail10TensorInfoIKT_T1_EENS5_IS6_S8_EENS5_IT4_S8_EES8_T0_NS_15PhiloxCudaStateE
	.p2align	8
	.type	_ZN2at6native12_GLOBAL__N_124fused_dropout_kernel_vecIffmLi1ELi16EbEEvNS_4cuda6detail10TensorInfoIKT_T1_EENS5_IS6_S8_EENS5_IT4_S8_EES8_T0_NS_15PhiloxCudaStateE,@function
_ZN2at6native12_GLOBAL__N_124fused_dropout_kernel_vecIffmLi1ELi16EbEEvNS_4cuda6detail10TensorInfoIKT_T1_EENS5_IS6_S8_EENS5_IT4_S8_EES8_T0_NS_15PhiloxCudaStateE: ; @_ZN2at6native12_GLOBAL__N_124fused_dropout_kernel_vecIffmLi1ELi16EbEEvNS_4cuda6detail10TensorInfoIKT_T1_EENS5_IS6_S8_EENS5_IT4_S8_EES8_T0_NS_15PhiloxCudaStateE
; %bb.0:
	s_clause 0x1
	s_load_b128 s[4:7], s[0:1], 0x4f0
	s_load_b32 s2, s[0:1], 0x508
	s_waitcnt lgkmcnt(0)
	v_dual_mov_b32 v1, s6 :: v_dual_mov_b32 v2, s7
	v_dual_mov_b32 v11, s5 :: v_dual_mov_b32 v10, s4
	s_bitcmp0_b32 s2, 0
	s_cbranch_scc1 .LBB35_2
; %bb.1:
	v_dual_mov_b32 v1, s6 :: v_dual_mov_b32 v2, s7
	v_dual_mov_b32 v3, s4 :: v_dual_mov_b32 v4, s5
	s_load_b64 s[2:3], s[0:1], 0x500
	flat_load_b64 v[1:2], v[1:2]
	flat_load_b64 v[10:11], v[3:4]
	s_waitcnt vmcnt(1) lgkmcnt(0)
	v_add_co_u32 v1, vcc_lo, v1, s2
	v_add_co_ci_u32_e32 v2, vcc_lo, s3, v2, vcc_lo
.LBB35_2:
	s_clause 0x1
	s_load_b32 s4, s[0:1], 0x51c
	s_load_b64 s[16:17], s[0:1], 0x4e0
	s_add_u32 s2, s0, 0x510
	s_addc_u32 s3, s1, 0
	s_mov_b32 s5, exec_lo
	s_waitcnt lgkmcnt(0)
	s_and_b32 s4, s4, 0xffff
	s_delay_alu instid0(SALU_CYCLE_1) | instskip(SKIP_1) | instid1(VALU_DEP_1)
	v_mad_u64_u32 v[8:9], null, s15, s4, v[0:1]
	v_mov_b32_e32 v9, 0
	v_lshlrev_b64 v[12:13], 4, v[8:9]
	s_delay_alu instid0(VALU_DEP_1)
	v_cmpx_gt_u64_e64 s[16:17], v[12:13]
	s_cbranch_execz .LBB35_45
; %bb.3:
	v_alignbit_b32 v21, v2, v1, 2
	v_mad_u64_u32 v[3:4], null, 0xcd9e8d57, v8, 0
	v_lshrrev_b32_e32 v42, 2, v2
	s_waitcnt vmcnt(0)
	v_mov_b32_e32 v18, v11
	v_mad_u64_u32 v[5:6], null, 0xd2511f53, v21, 0
	v_add_co_u32 v23, null, 0x9e3779b9, v10
	v_xor3_b32 v0, v10, v4, v42
	s_delay_alu instid0(VALU_DEP_4) | instskip(SKIP_2) | instid1(VALU_DEP_4)
	v_add_co_u32 v22, null, 0xbb67ae85, v18
	v_add_co_u32 v24, null, 0x3c6ef372, v10
	v_xor_b32_e32 v2, v6, v11
	v_mad_u64_u32 v[6:7], null, 0xd2511f53, v0, 0
	v_add_co_u32 v25, null, 0x76cf5d0a, v18
	s_delay_alu instid0(VALU_DEP_3) | instskip(SKIP_1) | instid1(VALU_DEP_4)
	v_mad_u64_u32 v[14:15], null, 0xcd9e8d57, v2, 0
	v_add_co_u32 v26, null, 0x32370b8f, v18
	v_xor3_b32 v0, v22, v7, v5
	v_add_co_u32 v27, null, 0xdaa66d2b, v10
	s_load_b32 s28, s[0:1], 0x4e8
	s_delay_alu instid0(VALU_DEP_4) | instskip(NEXT) | instid1(VALU_DEP_3)
	v_xor3_b32 v7, v15, v23, v3
	v_mad_u64_u32 v[2:3], null, 0xcd9e8d57, v0, 0
	v_add_co_u32 v28, null, 0x78dde6e4, v10
	s_delay_alu instid0(VALU_DEP_3) | instskip(SKIP_1) | instid1(VALU_DEP_4)
	v_mad_u64_u32 v[4:5], null, 0xd2511f53, v7, 0
	v_add_co_u32 v29, null, 0xed9eba14, v18
	v_xor3_b32 v0, v24, v3, v14
	v_add_co_u32 v30, null, 0xa9066899, v18
	v_add_co_u32 v31, null, 0x1715609d, v10
	v_xor3_b32 v3, v5, v25, v6
	s_delay_alu instid0(VALU_DEP_4) | instskip(SKIP_1) | instid1(VALU_DEP_3)
	v_mad_u64_u32 v[5:6], null, 0xd2511f53, v0, 0
	v_add_co_u32 v32, null, 0xb54cda56, v10
	v_mad_u64_u32 v[14:15], null, 0xcd9e8d57, v3, 0
	v_add_co_u32 v33, null, 0x5384540f, v10
	s_delay_alu instid0(VALU_DEP_4)
	v_xor3_b32 v0, v26, v6, v4
	s_waitcnt lgkmcnt(0)
	v_div_scale_f32 v20, vcc_lo, 1.0, s28, 1.0
	s_clause 0x2
	s_load_b64 s[18:19], s[0:1], 0x0
	s_load_b64 s[20:21], s[0:1], 0x1a0
	;; [unrolled: 1-line block ×3, first 2 shown]
	v_xor3_b32 v4, v15, v27, v2
	v_mad_u64_u32 v[2:3], null, 0xcd9e8d57, v0, 0
	s_load_b32 s0, s[2:3], 0x0
	v_add_co_u32 v36, null, 0xf1bbcdc8, v10
	s_delay_alu instid0(VALU_DEP_3) | instskip(SKIP_1) | instid1(VALU_DEP_4)
	v_mad_u64_u32 v[6:7], null, 0xd2511f53, v4, 0
	v_add_nc_u32_e32 v39, 0x8ff34781, v10
	v_xor3_b32 v0, v28, v3, v14
	s_mov_b32 s25, 0
	v_and_b32_e32 v38, 3, v1
	s_delay_alu instid0(VALU_DEP_4) | instskip(NEXT) | instid1(VALU_DEP_3)
	v_xor3_b32 v5, v7, v29, v5
	v_mad_u64_u32 v[3:4], null, 0xd2511f53, v0, 0
	v_div_scale_f32 v0, null, s28, s28, 1.0
	s_delay_alu instid0(VALU_DEP_3) | instskip(NEXT) | instid1(VALU_DEP_2)
	v_mad_u64_u32 v[14:15], null, 0xcd9e8d57, v5, 0
	v_rcp_f32_e32 v19, v0
	s_delay_alu instid0(VALU_DEP_3) | instskip(SKIP_2) | instid1(SALU_CYCLE_1)
	v_xor3_b32 v6, v30, v4, v6
	s_waitcnt lgkmcnt(0)
	s_mul_i32 s0, s0, s4
	s_lshl_b32 s24, s0, 4
	s_delay_alu instid0(VALU_DEP_2) | instskip(SKIP_2) | instid1(VALU_DEP_2)
	v_xor3_b32 v2, v15, v31, v2
	v_mad_u64_u32 v[4:5], null, 0xcd9e8d57, v6, 0
	s_lshl_b64 s[26:27], s[24:25], 2
	v_mad_u64_u32 v[6:7], null, 0xd2511f53, v2, 0
	s_waitcnt_depctr 0xfff
	v_fma_f32 v2, -v0, v19, 1.0
	v_xor3_b32 v5, v32, v5, v14
	s_delay_alu instid0(VALU_DEP_2) | instskip(SKIP_3) | instid1(VALU_DEP_3)
	v_fmac_f32_e32 v19, v2, v19
	v_add_co_u32 v34, null, 0x646e171e, v18
	v_add_co_u32 v35, null, 0x1fd5c5a3, v18
	;; [unrolled: 1-line block ×3, first 2 shown]
	v_xor3_b32 v7, v7, v34, v3
	v_mad_u64_u32 v[2:3], null, 0xd2511f53, v5, 0
	s_delay_alu instid0(VALU_DEP_2) | instskip(SKIP_1) | instid1(VALU_DEP_3)
	v_mad_u64_u32 v[14:15], null, 0xcd9e8d57, v7, 0
	v_mul_f32_e32 v7, v20, v19
	v_xor3_b32 v5, v35, v3, v6
	s_delay_alu instid0(VALU_DEP_3) | instskip(NEXT) | instid1(VALU_DEP_2)
	v_xor3_b32 v6, v15, v33, v4
	v_mad_u64_u32 v[3:4], null, 0xcd9e8d57, v5, 0
	s_delay_alu instid0(VALU_DEP_4) | instskip(NEXT) | instid1(VALU_DEP_3)
	v_fma_f32 v15, -v0, v7, v20
	v_mad_u64_u32 v[16:17], null, 0xd2511f53, v6, 0
	s_delay_alu instid0(VALU_DEP_2) | instskip(NEXT) | instid1(VALU_DEP_4)
	v_fmac_f32_e32 v7, v15, v19
	v_xor3_b32 v4, v36, v4, v14
	s_delay_alu instid0(VALU_DEP_3) | instskip(NEXT) | instid1(VALU_DEP_3)
	v_xor3_b32 v2, v17, v37, v2
	v_fma_f32 v14, -v0, v7, v20
	s_delay_alu instid0(VALU_DEP_3) | instskip(SKIP_1) | instid1(VALU_DEP_4)
	v_mad_u64_u32 v[0:1], null, 0xd2511f53, v4, 0
	v_add_nc_u32_e32 v40, 0x96a522ad, v11
	v_mad_u64_u32 v[5:6], null, 0xcd9e8d57, v2, 0
	s_delay_alu instid0(VALU_DEP_4) | instskip(SKIP_2) | instid1(VALU_DEP_3)
	v_div_fmas_f32 v2, v14, v19, v7
	v_lshlrev_b64 v[14:15], 6, v[8:9]
	v_mov_b32_e32 v7, v0
	v_div_fixup_f32 v41, v2, s28, 1.0
	v_xor3_b32 v4, v3, v6, v39
	v_xor3_b32 v6, v1, v16, v40
	s_branch .LBB35_6
.LBB35_4:                               ;   in Loop: Header=BB35_6 Depth=1
	s_or_b32 exec_lo, exec_lo, s1
	s_delay_alu instid0(VALU_DEP_1)
	v_mov_b32_e32 v18, v50
.LBB35_5:                               ;   in Loop: Header=BB35_6 Depth=1
	s_or_b32 exec_lo, exec_lo, s0
	v_add_co_u32 v49, vcc_lo, s18, v14
	v_add_co_ci_u32_e32 v50, vcc_lo, s19, v15, vcc_lo
	v_cvt_f32_u32_e32 v43, v43
	v_cvt_f32_u32_e32 v0, v0
	;; [unrolled: 1-line block ×3, first 2 shown]
	s_clause 0x3
	global_load_b128 v[53:56], v[49:50], off
	global_load_b128 v[57:60], v[49:50], off offset:16
	global_load_b128 v[61:64], v[49:50], off offset:32
	;; [unrolled: 1-line block ×3, first 2 shown]
	v_mov_b32_e32 v7, v19
	v_cvt_f32_u32_e32 v19, v45
	v_cvt_f32_u32_e32 v45, v52
	v_fmaak_f32 v48, 0x2f800000, v48, 0x2f800000
	v_cvt_f32_u32_e32 v20, v20
	v_dual_fmaak_f32 v43, 0x2f800000, v43, 0x2f800000 :: v_dual_fmaak_f32 v0, 0x2f800000, v0, 0x2f800000
	v_cvt_f32_u32_e32 v17, v17
	v_cvt_f32_u32_e32 v46, v46
	;; [unrolled: 1-line block ×6, first 2 shown]
	v_dual_fmaak_f32 v45, 0x2f800000, v45, 0x2f800000 :: v_dual_fmaak_f32 v20, 0x2f800000, v20, 0x2f800000
	v_cmp_gt_f32_e64 s0, s28, v0
	v_cvt_f32_u32_e32 v47, v47
	v_cvt_f32_u32_e32 v16, v16
	;; [unrolled: 1-line block ×4, first 2 shown]
	v_dual_fmaak_f32 v17, 0x2f800000, v17, 0x2f800000 :: v_dual_fmaak_f32 v46, 0x2f800000, v46, 0x2f800000
	s_delay_alu instid0(VALU_DEP_3) | instskip(NEXT) | instid1(VALU_DEP_3)
	v_dual_fmaak_f32 v19, 0x2f800000, v19, 0x2f800000 :: v_dual_fmaak_f32 v44, 0x2f800000, v44, 0x2f800000
	v_dual_fmaak_f32 v1, 0x2f800000, v1, 0x2f800000 :: v_dual_fmaak_f32 v2, 0x2f800000, v2, 0x2f800000
	;; [unrolled: 1-line block ×3, first 2 shown]
	v_cndmask_b32_e64 v0, 0, 1.0, s0
	v_fmaak_f32 v49, 0x2f800000, v49, 0x2f800000
	v_cmp_gt_f32_e64 s9, s28, v48
	v_cmp_gt_f32_e64 s13, s28, v45
	v_cmp_gt_f32_e64 s15, s28, v20
	v_dual_fmaak_f32 v47, 0x2f800000, v47, 0x2f800000 :: v_dual_fmaak_f32 v16, 0x2f800000, v16, 0x2f800000
	v_cmp_gt_f32_e64 s1, s28, v1
	v_cmp_gt_f32_e64 s3, s28, v3
	;; [unrolled: 1-line block ×7, first 2 shown]
	v_cndmask_b32_e64 v79, 0, 1, s9
	v_cndmask_b32_e64 v81, 0, 1, s13
	;; [unrolled: 1-line block ×3, first 2 shown]
	v_cmp_gt_f32_e64 s2, s28, v2
	v_cmp_gt_f32_e64 s4, s28, v16
	;; [unrolled: 1-line block ×3, first 2 shown]
	v_cndmask_b32_e64 v2, 0, 1, s1
	v_cndmask_b32_e64 v73, 0, 1, s3
	;; [unrolled: 1-line block ×4, first 2 shown]
	v_cmp_gt_f32_e64 s6, s28, v44
	v_cndmask_b32_e64 v77, 0, 1, s7
	v_add_co_u32 v69, vcc_lo, s20, v14
	v_cndmask_b32_e64 v78, 0, 1, s8
	v_cndmask_b32_e64 v84, 0, 1, s12
	v_lshlrev_b16 v81, 8, v81
	v_lshlrev_b16 v82, 8, v82
	;; [unrolled: 1-line block ×3, first 2 shown]
	v_add_co_ci_u32_e32 v70, vcc_lo, s21, v15, vcc_lo
	v_cndmask_b32_e64 v1, 0, 1, s0
	v_cndmask_b32_e64 v3, 0, 1, s2
	v_cndmask_b32_e64 v74, 0, 1, s4
	v_cndmask_b32_e64 v80, 0, 1, s10
	v_lshlrev_b16 v83, 8, v83
	v_lshlrev_b16 v75, 8, v75
	;; [unrolled: 1-line block ×4, first 2 shown]
	v_add_co_u32 v71, vcc_lo, s22, v12
	v_cndmask_b32_e64 v76, 0, 1, s6
	v_lshlrev_b16 v77, 8, v77
	v_add_co_ci_u32_e32 v72, vcc_lo, s23, v13, vcc_lo
	v_add_co_u32 v12, vcc_lo, v12, s24
	v_cndmask_b32_e64 v50, 0, 1.0, s1
	v_cndmask_b32_e64 v51, 0, 1.0, s2
	;; [unrolled: 1-line block ×3, first 2 shown]
	v_or_b32_e32 v81, v84, v81
	v_or_b32_e32 v78, v78, v79
	v_cndmask_b32_e64 v16, 0, 1.0, s4
	v_cndmask_b32_e64 v19, 0, 1.0, s5
	v_cndmask_b32_e64 v44, 0, 1.0, s6
	v_cndmask_b32_e64 v43, 0, 1.0, s7
	v_or_b32_e32 v79, v80, v83
	v_or_b32_e32 v74, v74, v75
	;; [unrolled: 1-line block ×4, first 2 shown]
	v_add_co_ci_u32_e32 v13, vcc_lo, 0, v13, vcc_lo
	v_cndmask_b32_e64 v17, 0, 1.0, s8
	v_cndmask_b32_e64 v48, 0, 1.0, s9
	;; [unrolled: 1-line block ×7, first 2 shown]
	v_or_b32_e32 v75, v76, v77
	v_and_b32_e32 v3, 0xffff, v81
	v_and_b32_e32 v76, 0xffff, v78
	v_lshlrev_b32_e32 v77, 16, v79
	v_and_b32_e32 v74, 0xffff, v74
	v_and_b32_e32 v78, 0xffff, v1
	v_lshlrev_b32_e32 v79, 16, v2
	v_cmp_le_u64_e32 vcc_lo, s[16:17], v[12:13]
	v_lshlrev_b32_e32 v75, 16, v75
	s_add_u32 s18, s18, s26
	s_addc_u32 s19, s19, s27
	s_add_u32 s20, s20, s26
	s_addc_u32 s21, s21, s27
	s_or_b32 s25, vcc_lo, s25
	s_waitcnt vmcnt(3)
	v_mul_f32_e32 v0, v53, v0
	v_cmp_gt_f32_e64 s14, s28, v49
	v_dual_mul_f32 v50, v54, v50 :: v_dual_mul_f32 v51, v55, v51
	s_waitcnt vmcnt(2)
	v_dual_mul_f32 v53, v57, v16 :: v_dual_mul_f32 v54, v58, v19
	s_delay_alu instid0(VALU_DEP_3)
	v_cndmask_b32_e64 v85, 0, 1, s14
	v_cndmask_b32_e64 v49, 0, 1.0, s14
	v_mul_f32_e32 v55, v59, v44
	s_waitcnt vmcnt(1)
	v_mul_f32_e32 v48, v62, v48
	v_dual_mul_f32 v58, v63, v47 :: v_dual_mul_f32 v59, v64, v46
	v_or_b32_e32 v82, v85, v82
	s_waitcnt vmcnt(0)
	v_mul_f32_e32 v62, v67, v49
	v_mul_f32_e32 v16, v41, v0
	;; [unrolled: 1-line block ×3, first 2 shown]
	v_dual_mul_f32 v56, v60, v43 :: v_dual_mul_f32 v57, v61, v17
	v_lshlrev_b32_e32 v73, 16, v82
	v_dual_mul_f32 v60, v65, v18 :: v_dual_mul_f32 v61, v66, v45
	v_dual_mul_f32 v20, v68, v20 :: v_dual_mul_f32 v17, v41, v50
	v_mul_f32_e32 v18, v41, v51
	v_mul_f32_e32 v19, v41, v52
	v_mul_f32_e32 v43, v41, v53
	v_mul_f32_e32 v44, v41, v54
	v_mul_f32_e32 v45, v41, v55
	v_mul_f32_e32 v46, v41, v56
	v_mul_f32_e32 v47, v41, v57
	v_mul_f32_e32 v48, v41, v48
	v_mul_f32_e32 v49, v41, v58
	v_mul_f32_e32 v50, v41, v59
	v_mul_f32_e32 v51, v41, v60
	v_mul_f32_e32 v52, v41, v61
	v_mul_f32_e32 v53, v41, v62
	v_mul_f32_e32 v54, v41, v20
	v_or_b32_e32 v3, v3, v73
	v_or_b32_e32 v2, v76, v77
	;; [unrolled: 1-line block ×4, first 2 shown]
	s_clause 0x3
	global_store_b128 v[69:70], v[16:19], off
	global_store_b128 v[69:70], v[43:46], off offset:16
	global_store_b128 v[69:70], v[47:50], off offset:32
	;; [unrolled: 1-line block ×3, first 2 shown]
	global_store_b128 v[71:72], v[0:3], off
	s_waitcnt_vscnt null, 0x0
	s_barrier
	buffer_gl0_inv
	s_and_not1_b32 exec_lo, exec_lo, s25
	s_cbranch_execz .LBB35_45
.LBB35_6:                               ; =>This Inner Loop Header: Depth=1
	v_add_co_u32 v2, vcc_lo, v21, 1
	s_delay_alu instid0(VALU_DEP_1) | instskip(SKIP_2) | instid1(VALU_DEP_1)
	v_cndmask_b32_e64 v0, 0, 1, vcc_lo
	v_add_co_ci_u32_e32 v18, vcc_lo, 0, v42, vcc_lo
	s_mov_b32 s0, exec_lo
	v_cmp_eq_u32_e32 vcc_lo, 0, v18
	s_delay_alu instid0(VALU_DEP_3) | instskip(SKIP_1) | instid1(VALU_DEP_2)
	v_cndmask_b32_e32 v3, 0, v0, vcc_lo
	v_mad_u64_u32 v[0:1], null, 0xd2511f53, v2, 0
	v_add_nc_u32_e32 v20, v3, v8
	s_delay_alu instid0(VALU_DEP_2) | instskip(NEXT) | instid1(VALU_DEP_2)
	v_xor_b32_e32 v8, v1, v11
	v_cmp_eq_u32_e32 vcc_lo, 0, v20
	v_cndmask_b32_e32 v3, 0, v3, vcc_lo
	v_mad_u64_u32 v[1:2], null, 0xcd9e8d57, v20, 0
	s_delay_alu instid0(VALU_DEP_2) | instskip(NEXT) | instid1(VALU_DEP_2)
	v_add_nc_u32_e32 v42, v3, v9
	v_xor3_b32 v16, v2, v10, v18
	s_delay_alu instid0(VALU_DEP_2) | instskip(NEXT) | instid1(VALU_DEP_1)
	v_xor_b32_e32 v8, v42, v8
	v_mad_u64_u32 v[2:3], null, 0xcd9e8d57, v8, 0
	s_delay_alu instid0(VALU_DEP_3) | instskip(NEXT) | instid1(VALU_DEP_2)
	v_mad_u64_u32 v[8:9], null, 0xd2511f53, v16, 0
	v_xor3_b32 v3, v23, v3, v1
	s_delay_alu instid0(VALU_DEP_2) | instskip(NEXT) | instid1(VALU_DEP_2)
	v_xor3_b32 v9, v22, v9, v0
	v_mad_u64_u32 v[0:1], null, 0xd2511f53, v3, 0
	s_delay_alu instid0(VALU_DEP_2) | instskip(NEXT) | instid1(VALU_DEP_2)
	v_mad_u64_u32 v[16:17], null, 0xcd9e8d57, v9, 0
	v_xor3_b32 v3, v25, v1, v8
	s_delay_alu instid0(VALU_DEP_2) | instskip(NEXT) | instid1(VALU_DEP_2)
	v_xor3_b32 v17, v24, v17, v2
	v_mad_u64_u32 v[1:2], null, 0xcd9e8d57, v3, 0
	s_delay_alu instid0(VALU_DEP_2) | instskip(NEXT) | instid1(VALU_DEP_2)
	;; [unrolled: 6-line block ×8, first 2 shown]
	v_mad_u64_u32 v[16:17], null, 0xd2511f53, v2, 0
	v_xor3_b32 v19, v9, v43, v39
	s_delay_alu instid0(VALU_DEP_2)
	v_xor3_b32 v9, v17, v0, v40
                                        ; implicit-def: $vgpr0_vgpr1_vgpr2_vgpr3
	v_cmpx_lt_i32_e32 1, v38
	s_xor_b32 s0, exec_lo, s0
	s_cbranch_execz .LBB35_12
; %bb.7:                                ;   in Loop: Header=BB35_6 Depth=1
	s_mov_b32 s1, exec_lo
                                        ; implicit-def: $vgpr0_vgpr1_vgpr2_vgpr3
	v_cmpx_lt_i32_e32 2, v38
	s_xor_b32 s1, exec_lo, s1
; %bb.8:                                ;   in Loop: Header=BB35_6 Depth=1
	v_mov_b32_e32 v6, v7
	v_mov_b32_e32 v7, v19
	s_delay_alu instid0(VALU_DEP_1)
	v_dual_mov_b32 v0, v6 :: v_dual_mov_b32 v1, v7
	v_dual_mov_b32 v2, v8 :: v_dual_mov_b32 v3, v9
                                        ; implicit-def: $vgpr4_vgpr5_vgpr6_vgpr7
; %bb.9:                                ;   in Loop: Header=BB35_6 Depth=1
	s_and_not1_saveexec_b32 s1, s1
; %bb.10:                               ;   in Loop: Header=BB35_6 Depth=1
	v_dual_mov_b32 v0, v6 :: v_dual_mov_b32 v1, v7
	v_dual_mov_b32 v2, v19 :: v_dual_mov_b32 v3, v8
; %bb.11:                               ;   in Loop: Header=BB35_6 Depth=1
	s_or_b32 exec_lo, exec_lo, s1
                                        ; implicit-def: $vgpr4_vgpr5_vgpr6_vgpr7
.LBB35_12:                              ;   in Loop: Header=BB35_6 Depth=1
	s_and_not1_saveexec_b32 s0, s0
	s_cbranch_execz .LBB35_16
; %bb.13:                               ;   in Loop: Header=BB35_6 Depth=1
	s_mov_b32 s1, exec_lo
	v_cmpx_eq_u32_e32 1, v38
; %bb.14:                               ;   in Loop: Header=BB35_6 Depth=1
	v_dual_mov_b32 v4, v5 :: v_dual_mov_b32 v5, v6
	v_mov_b32_e32 v6, v7
	v_mov_b32_e32 v7, v19
; %bb.15:                               ;   in Loop: Header=BB35_6 Depth=1
	s_or_b32 exec_lo, exec_lo, s1
	s_delay_alu instid0(VALU_DEP_3) | instskip(NEXT) | instid1(VALU_DEP_2)
	v_dual_mov_b32 v0, v4 :: v_dual_mov_b32 v1, v5
	v_dual_mov_b32 v2, v6 :: v_dual_mov_b32 v3, v7
.LBB35_16:                              ;   in Loop: Header=BB35_6 Depth=1
	s_or_b32 exec_lo, exec_lo, s0
	v_add_nc_u32_e32 v6, 2, v21
	s_mov_b32 s0, exec_lo
	s_delay_alu instid0(VALU_DEP_1) | instskip(SKIP_2) | instid1(VALU_DEP_1)
	v_cmp_eq_u32_e32 vcc_lo, 0, v6
	v_cndmask_b32_e64 v4, 0, 1, vcc_lo
	v_add_co_ci_u32_e32 v7, vcc_lo, 0, v18, vcc_lo
	v_cmp_eq_u32_e32 vcc_lo, 0, v7
	s_delay_alu instid0(VALU_DEP_3) | instskip(SKIP_1) | instid1(VALU_DEP_2)
	v_cndmask_b32_e32 v17, 0, v4, vcc_lo
	v_mad_u64_u32 v[4:5], null, 0xd2511f53, v6, 0
	v_add_nc_u32_e32 v20, v17, v20
	s_delay_alu instid0(VALU_DEP_2) | instskip(NEXT) | instid1(VALU_DEP_2)
	v_xor_b32_e32 v5, v5, v11
	v_cmp_eq_u32_e32 vcc_lo, 0, v20
	v_cndmask_b32_e32 v6, 0, v17, vcc_lo
	v_mad_u64_u32 v[17:18], null, 0xcd9e8d57, v20, 0
	s_delay_alu instid0(VALU_DEP_2) | instskip(NEXT) | instid1(VALU_DEP_2)
	v_add_nc_u32_e32 v42, v6, v42
	v_xor3_b32 v18, v18, v10, v7
	s_delay_alu instid0(VALU_DEP_2) | instskip(NEXT) | instid1(VALU_DEP_2)
	v_xor_b32_e32 v45, v42, v5
	v_mad_u64_u32 v[5:6], null, 0xd2511f53, v18, 0
	s_delay_alu instid0(VALU_DEP_2) | instskip(NEXT) | instid1(VALU_DEP_2)
	v_mad_u64_u32 v[43:44], null, 0xcd9e8d57, v45, 0
	v_xor3_b32 v4, v22, v6, v4
	s_delay_alu instid0(VALU_DEP_2) | instskip(NEXT) | instid1(VALU_DEP_2)
	v_xor3_b32 v6, v23, v44, v17
	v_mad_u64_u32 v[17:18], null, 0xcd9e8d57, v4, 0
	s_delay_alu instid0(VALU_DEP_2) | instskip(NEXT) | instid1(VALU_DEP_2)
	v_mad_u64_u32 v[44:45], null, 0xd2511f53, v6, 0
	v_xor3_b32 v6, v24, v18, v43
	s_delay_alu instid0(VALU_DEP_2) | instskip(NEXT) | instid1(VALU_DEP_2)
	v_xor3_b32 v18, v25, v45, v5
	;; [unrolled: 6-line block ×7, first 2 shown]
	v_mad_u64_u32 v[44:45], null, 0xcd9e8d57, v6, 0
	s_delay_alu instid0(VALU_DEP_2) | instskip(NEXT) | instid1(VALU_DEP_2)
	v_mad_u64_u32 v[46:47], null, 0xd2511f53, v4, 0
	v_xor3_b32 v4, v36, v45, v43
                                        ; implicit-def: $vgpr43
                                        ; implicit-def: $vgpr45
	s_delay_alu instid0(VALU_DEP_2) | instskip(NEXT) | instid1(VALU_DEP_2)
	v_xor3_b32 v6, v37, v47, v5
	v_mad_u64_u32 v[17:18], null, 0xd2511f53, v4, 0
	s_delay_alu instid0(VALU_DEP_2) | instskip(NEXT) | instid1(VALU_DEP_2)
	v_mad_u64_u32 v[4:5], null, 0xcd9e8d57, v6, 0
	v_xor3_b32 v6, v18, v46, v40
	s_delay_alu instid0(VALU_DEP_2)
	v_xor3_b32 v5, v5, v44, v39
                                        ; implicit-def: $vgpr44
	v_cmpx_lt_i32_e32 1, v38
	s_xor_b32 s0, exec_lo, s0
	s_cbranch_execz .LBB35_22
; %bb.17:                               ;   in Loop: Header=BB35_6 Depth=1
	s_mov_b32 s1, exec_lo
	v_cmpx_lt_i32_e32 2, v38
	s_xor_b32 s1, exec_lo, s1
; %bb.18:                               ;   in Loop: Header=BB35_6 Depth=1
                                        ; implicit-def: $vgpr9
; %bb.19:                               ;   in Loop: Header=BB35_6 Depth=1
	s_delay_alu instid0(SALU_CYCLE_1)
	s_or_saveexec_b32 s1, s1
	v_dual_mov_b32 v43, v6 :: v_dual_mov_b32 v44, v4
	v_mov_b32_e32 v45, v5
	s_xor_b32 exec_lo, exec_lo, s1
; %bb.20:                               ;   in Loop: Header=BB35_6 Depth=1
	v_dual_mov_b32 v43, v4 :: v_dual_mov_b32 v44, v5
	v_dual_mov_b32 v45, v16 :: v_dual_mov_b32 v16, v9
; %bb.21:                               ;   in Loop: Header=BB35_6 Depth=1
	s_or_b32 exec_lo, exec_lo, s1
                                        ; implicit-def: $vgpr9
                                        ; implicit-def: $vgpr19
.LBB35_22:                              ;   in Loop: Header=BB35_6 Depth=1
	s_and_not1_saveexec_b32 s0, s0
	s_cbranch_execz .LBB35_26
; %bb.23:                               ;   in Loop: Header=BB35_6 Depth=1
	s_delay_alu instid0(VALU_DEP_1)
	v_dual_mov_b32 v43, v16 :: v_dual_mov_b32 v44, v9
	v_mov_b32_e32 v45, v8
	s_mov_b32 s1, exec_lo
	v_cmpx_eq_u32_e32 1, v38
; %bb.24:                               ;   in Loop: Header=BB35_6 Depth=1
	v_dual_mov_b32 v43, v5 :: v_dual_mov_b32 v44, v16
	v_mov_b32_e32 v45, v9
	v_mov_b32_e32 v19, v8
; %bb.25:                               ;   in Loop: Header=BB35_6 Depth=1
	s_or_b32 exec_lo, exec_lo, s1
	s_delay_alu instid0(VALU_DEP_1)
	v_mov_b32_e32 v16, v19
.LBB35_26:                              ;   in Loop: Header=BB35_6 Depth=1
	s_or_b32 exec_lo, exec_lo, s0
	v_add_nc_u32_e32 v18, 3, v21
	s_mov_b32 s0, exec_lo
	s_delay_alu instid0(VALU_DEP_1) | instskip(SKIP_2) | instid1(VALU_DEP_1)
	v_cmp_eq_u32_e32 vcc_lo, 0, v18
	v_cndmask_b32_e64 v8, 0, 1, vcc_lo
	v_add_co_ci_u32_e32 v9, vcc_lo, 0, v7, vcc_lo
	v_cmp_eq_u32_e32 vcc_lo, 0, v9
	s_delay_alu instid0(VALU_DEP_3) | instskip(SKIP_1) | instid1(VALU_DEP_2)
	v_cndmask_b32_e32 v19, 0, v8, vcc_lo
	v_mad_u64_u32 v[7:8], null, 0xd2511f53, v18, 0
	v_add_nc_u32_e32 v20, v19, v20
	s_delay_alu instid0(VALU_DEP_2) | instskip(NEXT) | instid1(VALU_DEP_2)
	v_xor_b32_e32 v8, v8, v11
	v_cmp_eq_u32_e32 vcc_lo, 0, v20
	v_cndmask_b32_e32 v46, 0, v19, vcc_lo
	v_mad_u64_u32 v[18:19], null, 0xcd9e8d57, v20, 0
	s_delay_alu instid0(VALU_DEP_2) | instskip(NEXT) | instid1(VALU_DEP_2)
	v_add_nc_u32_e32 v51, v46, v42
	v_xor3_b32 v19, v19, v10, v9
	s_delay_alu instid0(VALU_DEP_2) | instskip(NEXT) | instid1(VALU_DEP_2)
	v_xor_b32_e32 v8, v51, v8
	v_mad_u64_u32 v[46:47], null, 0xd2511f53, v19, 0
	s_delay_alu instid0(VALU_DEP_2) | instskip(NEXT) | instid1(VALU_DEP_2)
	v_mad_u64_u32 v[48:49], null, 0xcd9e8d57, v8, 0
	v_xor3_b32 v19, v22, v47, v7
	s_delay_alu instid0(VALU_DEP_2) | instskip(NEXT) | instid1(VALU_DEP_2)
	v_xor3_b32 v42, v23, v49, v18
	v_mad_u64_u32 v[7:8], null, 0xcd9e8d57, v19, 0
	s_delay_alu instid0(VALU_DEP_2) | instskip(NEXT) | instid1(VALU_DEP_2)
	v_mad_u64_u32 v[18:19], null, 0xd2511f53, v42, 0
	v_xor3_b32 v8, v24, v8, v48
	s_delay_alu instid0(VALU_DEP_2) | instskip(NEXT) | instid1(VALU_DEP_2)
	v_xor3_b32 v19, v25, v19, v46
	;; [unrolled: 6-line block ×6, first 2 shown]
	v_mad_u64_u32 v[46:47], null, 0xd2511f53, v8, 0
	s_delay_alu instid0(VALU_DEP_2) | instskip(NEXT) | instid1(VALU_DEP_2)
	v_mad_u64_u32 v[48:49], null, 0xcd9e8d57, v19, 0
	v_xor3_b32 v8, v35, v47, v18
                                        ; implicit-def: $vgpr47
	s_delay_alu instid0(VALU_DEP_2) | instskip(NEXT) | instid1(VALU_DEP_2)
	v_xor3_b32 v7, v33, v49, v7
	v_mad_u64_u32 v[52:53], null, 0xcd9e8d57, v8, 0
	s_delay_alu instid0(VALU_DEP_2) | instskip(NEXT) | instid1(VALU_DEP_2)
	v_mad_u64_u32 v[49:50], null, 0xd2511f53, v7, 0
	v_xor3_b32 v7, v36, v53, v48
                                        ; implicit-def: $vgpr48
	s_delay_alu instid0(VALU_DEP_2) | instskip(NEXT) | instid1(VALU_DEP_2)
	v_xor3_b32 v42, v37, v50, v46
                                        ; implicit-def: $vgpr46
	v_mad_u64_u32 v[18:19], null, 0xd2511f53, v7, 0
	s_delay_alu instid0(VALU_DEP_2) | instskip(NEXT) | instid1(VALU_DEP_2)
	v_mad_u64_u32 v[7:8], null, 0xcd9e8d57, v42, 0
	v_xor3_b32 v49, v19, v49, v40
	s_delay_alu instid0(VALU_DEP_2)
	v_xor3_b32 v50, v8, v52, v39
	v_cmpx_lt_i32_e32 1, v38
	s_xor_b32 s0, exec_lo, s0
	s_cbranch_execz .LBB35_32
; %bb.27:                               ;   in Loop: Header=BB35_6 Depth=1
	s_mov_b32 s1, exec_lo
	v_cmpx_lt_i32_e32 2, v38
	s_xor_b32 s1, exec_lo, s1
; %bb.28:                               ;   in Loop: Header=BB35_6 Depth=1
                                        ; implicit-def: $vgpr6
; %bb.29:                               ;   in Loop: Header=BB35_6 Depth=1
	s_delay_alu instid0(SALU_CYCLE_1)
	s_or_saveexec_b32 s1, s1
	v_dual_mov_b32 v46, v49 :: v_dual_mov_b32 v47, v7
	v_mov_b32_e32 v48, v50
	s_xor_b32 exec_lo, exec_lo, s1
; %bb.30:                               ;   in Loop: Header=BB35_6 Depth=1
	v_dual_mov_b32 v46, v7 :: v_dual_mov_b32 v47, v50
	v_dual_mov_b32 v48, v17 :: v_dual_mov_b32 v17, v6
; %bb.31:                               ;   in Loop: Header=BB35_6 Depth=1
	s_or_b32 exec_lo, exec_lo, s1
                                        ; implicit-def: $vgpr6
                                        ; implicit-def: $vgpr4
                                        ; implicit-def: $vgpr5
.LBB35_32:                              ;   in Loop: Header=BB35_6 Depth=1
	s_and_not1_saveexec_b32 s0, s0
	s_cbranch_execz .LBB35_36
; %bb.33:                               ;   in Loop: Header=BB35_6 Depth=1
	s_delay_alu instid0(VALU_DEP_1)
	v_dual_mov_b32 v46, v17 :: v_dual_mov_b32 v47, v6
	v_mov_b32_e32 v48, v4
	s_mov_b32 s1, exec_lo
	v_cmpx_eq_u32_e32 1, v38
; %bb.34:                               ;   in Loop: Header=BB35_6 Depth=1
	v_dual_mov_b32 v46, v50 :: v_dual_mov_b32 v47, v17
	v_dual_mov_b32 v48, v6 :: v_dual_mov_b32 v5, v4
; %bb.35:                               ;   in Loop: Header=BB35_6 Depth=1
	s_or_b32 exec_lo, exec_lo, s1
	s_delay_alu instid0(VALU_DEP_1)
	v_mov_b32_e32 v17, v5
.LBB35_36:                              ;   in Loop: Header=BB35_6 Depth=1
	s_or_b32 exec_lo, exec_lo, s0
	v_add_nc_u32_e32 v21, 4, v21
	s_mov_b32 s0, exec_lo
	s_delay_alu instid0(VALU_DEP_1) | instskip(SKIP_2) | instid1(VALU_DEP_1)
	v_cmp_eq_u32_e32 vcc_lo, 0, v21
	v_cndmask_b32_e64 v4, 0, 1, vcc_lo
	v_add_co_ci_u32_e32 v42, vcc_lo, 0, v9, vcc_lo
	v_cmp_eq_u32_e32 vcc_lo, 0, v42
	s_delay_alu instid0(VALU_DEP_3) | instskip(NEXT) | instid1(VALU_DEP_1)
	v_cndmask_b32_e32 v4, 0, v4, vcc_lo
	v_add_nc_u32_e32 v8, v4, v20
	s_delay_alu instid0(VALU_DEP_1) | instskip(SKIP_2) | instid1(VALU_DEP_2)
	v_cmp_eq_u32_e32 vcc_lo, 0, v8
	v_mad_u64_u32 v[19:20], null, 0xcd9e8d57, v8, 0
	v_cndmask_b32_e32 v4, 0, v4, vcc_lo
	v_xor3_b32 v20, v20, v10, v42
	s_delay_alu instid0(VALU_DEP_2) | instskip(SKIP_1) | instid1(VALU_DEP_1)
	v_add_nc_u32_e32 v9, v4, v51
	v_mad_u64_u32 v[4:5], null, 0xd2511f53, v21, 0
	v_xor_b32_e32 v5, v5, v11
	s_delay_alu instid0(VALU_DEP_1) | instskip(NEXT) | instid1(VALU_DEP_1)
	v_xor_b32_e32 v51, v9, v5
	v_mad_u64_u32 v[5:6], null, 0xcd9e8d57, v51, 0
	v_mad_u64_u32 v[51:52], null, 0xd2511f53, v20, 0
	s_delay_alu instid0(VALU_DEP_2) | instskip(NEXT) | instid1(VALU_DEP_2)
	v_xor3_b32 v6, v23, v6, v19
	v_xor3_b32 v4, v22, v52, v4
	s_delay_alu instid0(VALU_DEP_2) | instskip(NEXT) | instid1(VALU_DEP_2)
	v_mad_u64_u32 v[19:20], null, 0xd2511f53, v6, 0
	v_mad_u64_u32 v[52:53], null, 0xcd9e8d57, v4, 0
	s_delay_alu instid0(VALU_DEP_2) | instskip(NEXT) | instid1(VALU_DEP_2)
	v_xor3_b32 v6, v25, v20, v51
	v_xor3_b32 v20, v24, v53, v5
	s_delay_alu instid0(VALU_DEP_2) | instskip(NEXT) | instid1(VALU_DEP_2)
	;; [unrolled: 6-line block ×8, first 2 shown]
	v_mad_u64_u32 v[5:6], null, 0xcd9e8d57, v4, 0
	v_mad_u64_u32 v[19:20], null, 0xd2511f53, v51, 0
                                        ; implicit-def: $vgpr51
	s_delay_alu instid0(VALU_DEP_2) | instskip(NEXT) | instid1(VALU_DEP_2)
	v_xor3_b32 v4, v6, v54, v39
	v_xor3_b32 v6, v20, v52, v40
                                        ; implicit-def: $vgpr20
                                        ; implicit-def: $vgpr52
	v_cmpx_lt_i32_e32 1, v38
	s_xor_b32 s0, exec_lo, s0
	s_cbranch_execz .LBB35_42
; %bb.37:                               ;   in Loop: Header=BB35_6 Depth=1
	s_mov_b32 s1, exec_lo
	v_cmpx_lt_i32_e32 2, v38
	s_xor_b32 s1, exec_lo, s1
; %bb.38:                               ;   in Loop: Header=BB35_6 Depth=1
                                        ; implicit-def: $vgpr49
; %bb.39:                               ;   in Loop: Header=BB35_6 Depth=1
	s_delay_alu instid0(SALU_CYCLE_1)
	s_or_saveexec_b32 s1, s1
	v_dual_mov_b32 v20, v6 :: v_dual_mov_b32 v51, v5
	v_mov_b32_e32 v52, v4
	s_xor_b32 exec_lo, exec_lo, s1
; %bb.40:                               ;   in Loop: Header=BB35_6 Depth=1
	v_dual_mov_b32 v20, v5 :: v_dual_mov_b32 v51, v4
	v_mov_b32_e32 v52, v18
	v_mov_b32_e32 v18, v49
; %bb.41:                               ;   in Loop: Header=BB35_6 Depth=1
	s_or_b32 exec_lo, exec_lo, s1
                                        ; implicit-def: $vgpr49
                                        ; implicit-def: $vgpr7
                                        ; implicit-def: $vgpr50
.LBB35_42:                              ;   in Loop: Header=BB35_6 Depth=1
	s_and_not1_saveexec_b32 s0, s0
	s_cbranch_execz .LBB35_5
; %bb.43:                               ;   in Loop: Header=BB35_6 Depth=1
	s_delay_alu instid0(VALU_DEP_1)
	v_dual_mov_b32 v20, v18 :: v_dual_mov_b32 v51, v49
	v_mov_b32_e32 v52, v7
	s_mov_b32 s1, exec_lo
	v_cmpx_eq_u32_e32 1, v38
	s_cbranch_execz .LBB35_4
; %bb.44:                               ;   in Loop: Header=BB35_6 Depth=1
	v_dual_mov_b32 v20, v4 :: v_dual_mov_b32 v51, v18
	v_mov_b32_e32 v52, v49
	v_mov_b32_e32 v50, v7
	s_branch .LBB35_4
.LBB35_45:
	s_endpgm
	.section	.rodata,"a",@progbits
	.p2align	6, 0x0
	.amdhsa_kernel _ZN2at6native12_GLOBAL__N_124fused_dropout_kernel_vecIffmLi1ELi16EbEEvNS_4cuda6detail10TensorInfoIKT_T1_EENS5_IS6_S8_EENS5_IT4_S8_EES8_T0_NS_15PhiloxCudaStateE
		.amdhsa_group_segment_fixed_size 0
		.amdhsa_private_segment_fixed_size 0
		.amdhsa_kernarg_size 1552
		.amdhsa_user_sgpr_count 15
		.amdhsa_user_sgpr_dispatch_ptr 0
		.amdhsa_user_sgpr_queue_ptr 0
		.amdhsa_user_sgpr_kernarg_segment_ptr 1
		.amdhsa_user_sgpr_dispatch_id 0
		.amdhsa_user_sgpr_private_segment_size 0
		.amdhsa_wavefront_size32 1
		.amdhsa_uses_dynamic_stack 0
		.amdhsa_enable_private_segment 0
		.amdhsa_system_sgpr_workgroup_id_x 1
		.amdhsa_system_sgpr_workgroup_id_y 0
		.amdhsa_system_sgpr_workgroup_id_z 0
		.amdhsa_system_sgpr_workgroup_info 0
		.amdhsa_system_vgpr_workitem_id 0
		.amdhsa_next_free_vgpr 86
		.amdhsa_next_free_sgpr 29
		.amdhsa_reserve_vcc 1
		.amdhsa_float_round_mode_32 0
		.amdhsa_float_round_mode_16_64 0
		.amdhsa_float_denorm_mode_32 3
		.amdhsa_float_denorm_mode_16_64 3
		.amdhsa_dx10_clamp 1
		.amdhsa_ieee_mode 1
		.amdhsa_fp16_overflow 0
		.amdhsa_workgroup_processor_mode 1
		.amdhsa_memory_ordered 1
		.amdhsa_forward_progress 0
		.amdhsa_shared_vgpr_count 0
		.amdhsa_exception_fp_ieee_invalid_op 0
		.amdhsa_exception_fp_denorm_src 0
		.amdhsa_exception_fp_ieee_div_zero 0
		.amdhsa_exception_fp_ieee_overflow 0
		.amdhsa_exception_fp_ieee_underflow 0
		.amdhsa_exception_fp_ieee_inexact 0
		.amdhsa_exception_int_div_zero 0
	.end_amdhsa_kernel
	.section	.text._ZN2at6native12_GLOBAL__N_124fused_dropout_kernel_vecIffmLi1ELi16EbEEvNS_4cuda6detail10TensorInfoIKT_T1_EENS5_IS6_S8_EENS5_IT4_S8_EES8_T0_NS_15PhiloxCudaStateE,"axG",@progbits,_ZN2at6native12_GLOBAL__N_124fused_dropout_kernel_vecIffmLi1ELi16EbEEvNS_4cuda6detail10TensorInfoIKT_T1_EENS5_IS6_S8_EENS5_IT4_S8_EES8_T0_NS_15PhiloxCudaStateE,comdat
.Lfunc_end35:
	.size	_ZN2at6native12_GLOBAL__N_124fused_dropout_kernel_vecIffmLi1ELi16EbEEvNS_4cuda6detail10TensorInfoIKT_T1_EENS5_IS6_S8_EENS5_IT4_S8_EES8_T0_NS_15PhiloxCudaStateE, .Lfunc_end35-_ZN2at6native12_GLOBAL__N_124fused_dropout_kernel_vecIffmLi1ELi16EbEEvNS_4cuda6detail10TensorInfoIKT_T1_EENS5_IS6_S8_EENS5_IT4_S8_EES8_T0_NS_15PhiloxCudaStateE
                                        ; -- End function
	.section	.AMDGPU.csdata,"",@progbits
; Kernel info:
; codeLenInByte = 4796
; NumSgprs: 31
; NumVgprs: 86
; ScratchSize: 0
; MemoryBound: 0
; FloatMode: 240
; IeeeMode: 1
; LDSByteSize: 0 bytes/workgroup (compile time only)
; SGPRBlocks: 3
; VGPRBlocks: 10
; NumSGPRsForWavesPerEU: 31
; NumVGPRsForWavesPerEU: 86
; Occupancy: 16
; WaveLimiterHint : 1
; COMPUTE_PGM_RSRC2:SCRATCH_EN: 0
; COMPUTE_PGM_RSRC2:USER_SGPR: 15
; COMPUTE_PGM_RSRC2:TRAP_HANDLER: 0
; COMPUTE_PGM_RSRC2:TGID_X_EN: 1
; COMPUTE_PGM_RSRC2:TGID_Y_EN: 0
; COMPUTE_PGM_RSRC2:TGID_Z_EN: 0
; COMPUTE_PGM_RSRC2:TIDIG_COMP_CNT: 0
	.section	.text._ZN2at6native12_GLOBAL__N_124fused_dropout_kernel_vecIffmLi1ELi8EbEEvNS_4cuda6detail10TensorInfoIKT_T1_EENS5_IS6_S8_EENS5_IT4_S8_EES8_T0_NS_15PhiloxCudaStateE,"axG",@progbits,_ZN2at6native12_GLOBAL__N_124fused_dropout_kernel_vecIffmLi1ELi8EbEEvNS_4cuda6detail10TensorInfoIKT_T1_EENS5_IS6_S8_EENS5_IT4_S8_EES8_T0_NS_15PhiloxCudaStateE,comdat
	.globl	_ZN2at6native12_GLOBAL__N_124fused_dropout_kernel_vecIffmLi1ELi8EbEEvNS_4cuda6detail10TensorInfoIKT_T1_EENS5_IS6_S8_EENS5_IT4_S8_EES8_T0_NS_15PhiloxCudaStateE ; -- Begin function _ZN2at6native12_GLOBAL__N_124fused_dropout_kernel_vecIffmLi1ELi8EbEEvNS_4cuda6detail10TensorInfoIKT_T1_EENS5_IS6_S8_EENS5_IT4_S8_EES8_T0_NS_15PhiloxCudaStateE
	.p2align	8
	.type	_ZN2at6native12_GLOBAL__N_124fused_dropout_kernel_vecIffmLi1ELi8EbEEvNS_4cuda6detail10TensorInfoIKT_T1_EENS5_IS6_S8_EENS5_IT4_S8_EES8_T0_NS_15PhiloxCudaStateE,@function
_ZN2at6native12_GLOBAL__N_124fused_dropout_kernel_vecIffmLi1ELi8EbEEvNS_4cuda6detail10TensorInfoIKT_T1_EENS5_IS6_S8_EENS5_IT4_S8_EES8_T0_NS_15PhiloxCudaStateE: ; @_ZN2at6native12_GLOBAL__N_124fused_dropout_kernel_vecIffmLi1ELi8EbEEvNS_4cuda6detail10TensorInfoIKT_T1_EENS5_IS6_S8_EENS5_IT4_S8_EES8_T0_NS_15PhiloxCudaStateE
; %bb.0:
	s_clause 0x1
	s_load_b128 s[4:7], s[0:1], 0x4f0
	s_load_b32 s2, s[0:1], 0x508
	s_waitcnt lgkmcnt(0)
	v_dual_mov_b32 v1, s6 :: v_dual_mov_b32 v2, s7
	v_dual_mov_b32 v11, s5 :: v_dual_mov_b32 v10, s4
	s_bitcmp0_b32 s2, 0
	s_cbranch_scc1 .LBB36_2
; %bb.1:
	v_dual_mov_b32 v1, s6 :: v_dual_mov_b32 v2, s7
	v_dual_mov_b32 v3, s4 :: v_dual_mov_b32 v4, s5
	s_load_b64 s[2:3], s[0:1], 0x500
	flat_load_b64 v[1:2], v[1:2]
	flat_load_b64 v[10:11], v[3:4]
	s_waitcnt vmcnt(1) lgkmcnt(0)
	v_add_co_u32 v1, vcc_lo, v1, s2
	v_add_co_ci_u32_e32 v2, vcc_lo, s3, v2, vcc_lo
.LBB36_2:
	s_clause 0x1
	s_load_b32 s4, s[0:1], 0x51c
	s_load_b64 s[8:9], s[0:1], 0x4e0
	s_add_u32 s2, s0, 0x510
	s_addc_u32 s3, s1, 0
	s_mov_b32 s5, exec_lo
	s_waitcnt lgkmcnt(0)
	s_and_b32 s4, s4, 0xffff
	s_delay_alu instid0(SALU_CYCLE_1) | instskip(SKIP_1) | instid1(VALU_DEP_1)
	v_mad_u64_u32 v[14:15], null, s15, s4, v[0:1]
	v_mov_b32_e32 v15, 0
	v_lshlrev_b64 v[12:13], 3, v[14:15]
	s_delay_alu instid0(VALU_DEP_1)
	v_cmpx_gt_u64_e64 s[8:9], v[12:13]
	s_cbranch_execz .LBB36_25
; %bb.3:
	v_alignbit_b32 v21, v2, v1, 2
	v_mad_u64_u32 v[3:4], null, 0xcd9e8d57, v14, 0
	v_lshrrev_b32_e32 v42, 2, v2
	s_waitcnt vmcnt(0)
	v_mov_b32_e32 v16, v11
	v_mad_u64_u32 v[5:6], null, 0xd2511f53, v21, 0
	v_add_co_u32 v23, null, 0x9e3779b9, v10
	v_xor3_b32 v0, v10, v4, v42
	s_delay_alu instid0(VALU_DEP_4) | instskip(SKIP_2) | instid1(VALU_DEP_4)
	v_add_co_u32 v22, null, 0xbb67ae85, v16
	v_add_co_u32 v24, null, 0x3c6ef372, v10
	v_xor_b32_e32 v2, v6, v11
	v_mad_u64_u32 v[6:7], null, 0xd2511f53, v0, 0
	v_add_co_u32 v25, null, 0x76cf5d0a, v16
	s_delay_alu instid0(VALU_DEP_3) | instskip(SKIP_1) | instid1(VALU_DEP_4)
	v_mad_u64_u32 v[8:9], null, 0xcd9e8d57, v2, 0
	v_add_co_u32 v26, null, 0x32370b8f, v16
	v_xor3_b32 v0, v22, v7, v5
	v_add_co_u32 v27, null, 0xdaa66d2b, v10
	s_load_b32 s7, s[0:1], 0x4e8
	s_delay_alu instid0(VALU_DEP_4) | instskip(NEXT) | instid1(VALU_DEP_3)
	v_xor3_b32 v7, v9, v23, v3
	v_mad_u64_u32 v[2:3], null, 0xcd9e8d57, v0, 0
	v_add_co_u32 v28, null, 0x78dde6e4, v10
	s_delay_alu instid0(VALU_DEP_3) | instskip(SKIP_1) | instid1(VALU_DEP_4)
	v_mad_u64_u32 v[4:5], null, 0xd2511f53, v7, 0
	v_add_co_u32 v29, null, 0xed9eba14, v16
	v_xor3_b32 v0, v24, v3, v8
	v_add_co_u32 v31, null, 0x1715609d, v10
	v_add_co_u32 v30, null, 0xa9066899, v16
	v_xor3_b32 v3, v5, v25, v6
	s_delay_alu instid0(VALU_DEP_4) | instskip(SKIP_1) | instid1(VALU_DEP_3)
	v_mad_u64_u32 v[5:6], null, 0xd2511f53, v0, 0
	v_add_co_u32 v32, null, 0xb54cda56, v10
	v_mad_u64_u32 v[7:8], null, 0xcd9e8d57, v3, 0
	v_add_co_u32 v33, null, 0x5384540f, v10
	s_delay_alu instid0(VALU_DEP_4)
	v_xor3_b32 v0, v26, v6, v4
	s_waitcnt lgkmcnt(0)
	v_div_scale_f32 v18, vcc_lo, 1.0, s7, 1.0
	s_clause 0x2
	s_load_b64 s[10:11], s[0:1], 0x0
	s_load_b64 s[12:13], s[0:1], 0x1a0
	;; [unrolled: 1-line block ×3, first 2 shown]
	v_xor3_b32 v4, v8, v27, v2
	v_mad_u64_u32 v[2:3], null, 0xcd9e8d57, v0, 0
	s_load_b32 s0, s[2:3], 0x0
	v_add_co_u32 v36, null, 0xf1bbcdc8, v10
	s_delay_alu instid0(VALU_DEP_3) | instskip(SKIP_1) | instid1(VALU_DEP_4)
	v_mad_u64_u32 v[8:9], null, 0xd2511f53, v4, 0
	v_and_b32_e32 v38, 3, v1
	v_xor3_b32 v0, v28, v3, v7
	v_add_nc_u32_e32 v39, 0x8ff34781, v10
	s_mov_b32 s17, 0
	v_add_nc_u32_e32 v40, 0x96a522ad, v11
	v_xor3_b32 v7, v9, v29, v5
	v_mad_u64_u32 v[3:4], null, 0xd2511f53, v0, 0
	v_div_scale_f32 v0, null, s7, s7, 1.0
	s_delay_alu instid0(VALU_DEP_3) | instskip(NEXT) | instid1(VALU_DEP_2)
	v_mad_u64_u32 v[5:6], null, 0xcd9e8d57, v7, 0
	v_rcp_f32_e32 v17, v0
	s_delay_alu instid0(VALU_DEP_3) | instskip(SKIP_2) | instid1(SALU_CYCLE_1)
	v_xor3_b32 v4, v30, v4, v8
	s_waitcnt lgkmcnt(0)
	s_mul_i32 s0, s0, s4
	s_lshl_b32 s16, s0, 3
	s_delay_alu instid0(VALU_DEP_2) | instskip(SKIP_2) | instid1(VALU_DEP_2)
	v_xor3_b32 v2, v6, v31, v2
	v_mad_u64_u32 v[6:7], null, 0xcd9e8d57, v4, 0
	s_lshl_b64 s[18:19], s[16:17], 2
	v_mad_u64_u32 v[8:9], null, 0xd2511f53, v2, 0
	s_waitcnt_depctr 0xfff
	v_fma_f32 v2, -v0, v17, 1.0
	v_xor3_b32 v4, v32, v7, v5
	s_delay_alu instid0(VALU_DEP_2) | instskip(SKIP_3) | instid1(VALU_DEP_3)
	v_fmac_f32_e32 v17, v2, v17
	v_add_co_u32 v34, null, 0x646e171e, v16
	v_add_co_u32 v35, null, 0x1fd5c5a3, v16
	;; [unrolled: 1-line block ×3, first 2 shown]
	v_xor3_b32 v7, v9, v34, v3
	v_mad_u64_u32 v[2:3], null, 0xd2511f53, v4, 0
	v_mul_f32_e32 v9, v18, v17
	s_delay_alu instid0(VALU_DEP_3) | instskip(NEXT) | instid1(VALU_DEP_2)
	v_mad_u64_u32 v[4:5], null, 0xcd9e8d57, v7, 0
	v_fma_f32 v20, -v0, v9, v18
	s_delay_alu instid0(VALU_DEP_4) | instskip(NEXT) | instid1(VALU_DEP_3)
	v_xor3_b32 v3, v35, v3, v8
	v_xor3_b32 v19, v5, v33, v6
	s_delay_alu instid0(VALU_DEP_2) | instskip(NEXT) | instid1(VALU_DEP_4)
	v_mad_u64_u32 v[5:6], null, 0xcd9e8d57, v3, 0
	v_fmac_f32_e32 v9, v20, v17
	s_delay_alu instid0(VALU_DEP_3) | instskip(NEXT) | instid1(VALU_DEP_2)
	v_mad_u64_u32 v[7:8], null, 0xd2511f53, v19, 0
	v_fma_f32 v0, -v0, v9, v18
	s_delay_alu instid0(VALU_DEP_4) | instskip(NEXT) | instid1(VALU_DEP_3)
	v_xor3_b32 v6, v36, v6, v4
	v_xor3_b32 v8, v8, v37, v2
	s_delay_alu instid0(VALU_DEP_2) | instskip(NEXT) | instid1(VALU_DEP_4)
	v_mad_u64_u32 v[3:4], null, 0xd2511f53, v6, 0
	v_div_fmas_f32 v0, v0, v17, v9
	v_lshlrev_b64 v[16:17], 5, v[14:15]
	s_delay_alu instid0(VALU_DEP_4) | instskip(NEXT) | instid1(VALU_DEP_3)
	v_mad_u64_u32 v[1:2], null, 0xcd9e8d57, v8, 0
	v_div_fixup_f32 v41, v0, s7, 1.0
	s_delay_alu instid0(VALU_DEP_2)
	v_xor3_b32 v0, v5, v2, v39
	v_xor3_b32 v2, v4, v7, v40
	s_branch .LBB36_6
.LBB36_4:                               ;   in Loop: Header=BB36_6 Depth=1
	s_or_b32 exec_lo, exec_lo, s1
	s_delay_alu instid0(VALU_DEP_1)
	v_mov_b32_e32 v18, v43
.LBB36_5:                               ;   in Loop: Header=BB36_6 Depth=1
	s_or_b32 exec_lo, exec_lo, s0
	v_add_co_u32 v8, vcc_lo, s10, v16
	v_add_co_ci_u32_e32 v9, vcc_lo, s11, v17, vcc_lo
	v_cvt_f32_u32_e32 v4, v4
	v_cvt_f32_u32_e32 v43, v18
	v_mov_b32_e32 v3, v19
	s_clause 0x1
	global_load_b128 v[46:49], v[8:9], off
	global_load_b128 v[50:53], v[8:9], off offset:16
	v_add_co_u32 v8, vcc_lo, s12, v16
	v_fmaak_f32 v4, 0x2f800000, v4, 0x2f800000
	v_add_co_ci_u32_e32 v9, vcc_lo, s13, v17, vcc_lo
	v_add_co_u32 v18, vcc_lo, s14, v12
	v_add_co_ci_u32_e32 v19, vcc_lo, s15, v13, vcc_lo
	v_add_co_u32 v12, vcc_lo, v12, s16
	v_add_co_ci_u32_e32 v13, vcc_lo, 0, v13, vcc_lo
	v_cvt_f32_u32_e32 v5, v5
	v_cvt_f32_u32_e32 v45, v45
	v_cvt_f32_u32_e32 v20, v20
	v_cmp_gt_f32_e32 vcc_lo, s7, v4
	v_cvt_f32_u32_e32 v7, v7
	v_cvt_f32_u32_e32 v6, v6
	;; [unrolled: 1-line block ×3, first 2 shown]
	v_fmaak_f32 v5, 0x2f800000, v5, 0x2f800000
	v_dual_fmaak_f32 v43, 0x2f800000, v43, 0x2f800000 :: v_dual_fmaak_f32 v20, 0x2f800000, v20, 0x2f800000
	v_cndmask_b32_e64 v4, 0, 1.0, vcc_lo
	v_fmaak_f32 v45, 0x2f800000, v45, 0x2f800000
	v_dual_fmaak_f32 v7, 0x2f800000, v7, 0x2f800000 :: v_dual_fmaak_f32 v44, 0x2f800000, v44, 0x2f800000
	v_fmaak_f32 v6, 0x2f800000, v6, 0x2f800000
	v_cmp_gt_f32_e64 s0, s7, v5
	v_cmp_gt_f32_e64 s6, s7, v20
	s_delay_alu instid0(VALU_DEP_4)
	v_cmp_gt_f32_e64 s2, s7, v7
	v_cmp_gt_f32_e64 s3, s7, v43
	;; [unrolled: 1-line block ×3, first 2 shown]
	v_cndmask_b32_e64 v55, 0, 1, s0
	v_cndmask_b32_e64 v57, 0, 1, s6
	v_cmp_gt_f32_e64 s1, s7, v6
	v_cndmask_b32_e64 v58, 0, 1, s2
	v_cndmask_b32_e64 v54, 0, 1, vcc_lo
	v_cndmask_b32_e64 v59, 0, 1, s3
	v_cndmask_b32_e64 v60, 0, 1, s5
	v_lshlrev_b16 v57, 8, v57
	v_lshlrev_b16 v55, 8, v55
	v_cndmask_b32_e64 v61, 0, 1, s1
	v_lshlrev_b16 v58, 8, v58
	v_cndmask_b32_e64 v5, 0, 1.0, s0
	v_cndmask_b32_e64 v6, 0, 1.0, s1
	v_cndmask_b32_e64 v7, 0, 1.0, s2
	v_or_b32_e32 v57, v60, v57
	v_or_b32_e32 v54, v54, v55
	v_cndmask_b32_e64 v43, 0, 1.0, s3
	v_cndmask_b32_e64 v44, 0, 1.0, s5
	;; [unrolled: 1-line block ×3, first 2 shown]
	v_or_b32_e32 v55, v61, v58
	v_lshlrev_b32_e32 v57, 16, v57
	v_and_b32_e32 v58, 0xffff, v54
	v_cmp_le_u64_e32 vcc_lo, s[8:9], v[12:13]
	s_add_u32 s12, s12, s18
	v_lshlrev_b32_e32 v55, 16, v55
	s_addc_u32 s13, s13, s19
	s_add_u32 s10, s10, s18
	s_addc_u32 s11, s11, s19
	s_or_b32 s17, vcc_lo, s17
	s_waitcnt vmcnt(1)
	v_mul_f32_e32 v4, v46, v4
	s_waitcnt vmcnt(0)
	v_mul_f32_e32 v46, v52, v44
	v_cmp_gt_f32_e64 s4, s7, v45
	v_dual_mul_f32 v6, v48, v6 :: v_dual_mul_f32 v7, v49, v7
	v_dual_mul_f32 v43, v50, v43 :: v_dual_mul_f32 v20, v53, v20
	s_delay_alu instid0(VALU_DEP_3) | instskip(SKIP_1) | instid1(VALU_DEP_4)
	v_cndmask_b32_e64 v56, 0, 1, s4
	v_cndmask_b32_e64 v45, 0, 1.0, s4
	v_mul_f32_e32 v6, v41, v6
	v_mul_f32_e32 v4, v41, v4
	v_mul_f32_e32 v7, v41, v7
	v_lshlrev_b16 v56, 8, v56
	v_mul_f32_e32 v45, v51, v45
	v_mul_f32_e32 v43, v41, v43
	v_or_b32_e32 v53, v58, v55
	v_mul_f32_e32 v5, v47, v5
	v_or_b32_e32 v56, v59, v56
	v_mul_f32_e32 v44, v41, v45
	v_mul_f32_e32 v45, v41, v46
	;; [unrolled: 1-line block ×3, first 2 shown]
	s_delay_alu instid0(VALU_DEP_4) | instskip(NEXT) | instid1(VALU_DEP_1)
	v_dual_mul_f32 v5, v41, v5 :: v_dual_and_b32 v56, 0xffff, v56
	v_or_b32_e32 v54, v56, v57
	s_clause 0x1
	global_store_b128 v[8:9], v[4:7], off
	global_store_b128 v[8:9], v[43:46], off offset:16
	global_store_b64 v[18:19], v[53:54], off
	s_waitcnt_vscnt null, 0x0
	s_barrier
	buffer_gl0_inv
	s_and_not1_b32 exec_lo, exec_lo, s17
	s_cbranch_execz .LBB36_25
.LBB36_6:                               ; =>This Inner Loop Header: Depth=1
	v_add_co_u32 v6, vcc_lo, v21, 1
	s_delay_alu instid0(VALU_DEP_1) | instskip(SKIP_2) | instid1(VALU_DEP_1)
	v_cndmask_b32_e64 v4, 0, 1, vcc_lo
	v_add_co_ci_u32_e32 v20, vcc_lo, 0, v42, vcc_lo
	s_mov_b32 s0, exec_lo
	v_cmp_eq_u32_e32 vcc_lo, 0, v20
	s_delay_alu instid0(VALU_DEP_3) | instskip(SKIP_1) | instid1(VALU_DEP_2)
	v_cndmask_b32_e32 v7, 0, v4, vcc_lo
	v_mad_u64_u32 v[4:5], null, 0xd2511f53, v6, 0
	v_add_nc_u32_e32 v14, v7, v14
	s_delay_alu instid0(VALU_DEP_2) | instskip(NEXT) | instid1(VALU_DEP_2)
	v_xor_b32_e32 v8, v5, v11
	v_cmp_eq_u32_e32 vcc_lo, 0, v14
	v_cndmask_b32_e32 v7, 0, v7, vcc_lo
	v_mad_u64_u32 v[5:6], null, 0xcd9e8d57, v14, 0
	s_delay_alu instid0(VALU_DEP_2) | instskip(NEXT) | instid1(VALU_DEP_2)
	v_add_nc_u32_e32 v15, v7, v15
	v_xor3_b32 v18, v6, v10, v20
	s_delay_alu instid0(VALU_DEP_2) | instskip(NEXT) | instid1(VALU_DEP_1)
	v_xor_b32_e32 v8, v15, v8
	v_mad_u64_u32 v[6:7], null, 0xcd9e8d57, v8, 0
	s_delay_alu instid0(VALU_DEP_3) | instskip(NEXT) | instid1(VALU_DEP_2)
	v_mad_u64_u32 v[8:9], null, 0xd2511f53, v18, 0
	v_xor3_b32 v7, v23, v7, v5
	s_delay_alu instid0(VALU_DEP_2) | instskip(NEXT) | instid1(VALU_DEP_2)
	v_xor3_b32 v9, v22, v9, v4
	v_mad_u64_u32 v[4:5], null, 0xd2511f53, v7, 0
	s_delay_alu instid0(VALU_DEP_2) | instskip(NEXT) | instid1(VALU_DEP_2)
	v_mad_u64_u32 v[18:19], null, 0xcd9e8d57, v9, 0
	v_xor3_b32 v7, v25, v5, v8
	s_delay_alu instid0(VALU_DEP_2) | instskip(NEXT) | instid1(VALU_DEP_2)
	v_xor3_b32 v9, v24, v19, v6
	v_mad_u64_u32 v[5:6], null, 0xcd9e8d57, v7, 0
	s_delay_alu instid0(VALU_DEP_2) | instskip(NEXT) | instid1(VALU_DEP_2)
	;; [unrolled: 6-line block ×8, first 2 shown]
	v_mad_u64_u32 v[18:19], null, 0xd2511f53, v4, 0
	v_xor3_b32 v43, v9, v42, v39
	s_delay_alu instid0(VALU_DEP_2)
	v_xor3_b32 v9, v19, v5, v40
                                        ; implicit-def: $vgpr4_vgpr5_vgpr6_vgpr7
	v_cmpx_lt_i32_e32 1, v38
	s_xor_b32 s0, exec_lo, s0
	s_cbranch_execz .LBB36_12
; %bb.7:                                ;   in Loop: Header=BB36_6 Depth=1
	s_mov_b32 s1, exec_lo
                                        ; implicit-def: $vgpr4_vgpr5_vgpr6_vgpr7
	v_cmpx_lt_i32_e32 2, v38
	s_xor_b32 s1, exec_lo, s1
; %bb.8:                                ;   in Loop: Header=BB36_6 Depth=1
	v_mov_b32_e32 v6, v3
	v_mov_b32_e32 v7, v43
                                        ; implicit-def: $vgpr0_vgpr1_vgpr2_vgpr3
	s_delay_alu instid0(VALU_DEP_2) | instskip(NEXT) | instid1(VALU_DEP_2)
	v_mov_b32_e32 v4, v6
	v_dual_mov_b32 v5, v7 :: v_dual_mov_b32 v6, v8
	v_mov_b32_e32 v7, v9
; %bb.9:                                ;   in Loop: Header=BB36_6 Depth=1
	s_and_not1_saveexec_b32 s1, s1
; %bb.10:                               ;   in Loop: Header=BB36_6 Depth=1
	v_dual_mov_b32 v4, v2 :: v_dual_mov_b32 v5, v3
	v_dual_mov_b32 v6, v43 :: v_dual_mov_b32 v7, v8
; %bb.11:                               ;   in Loop: Header=BB36_6 Depth=1
	s_or_b32 exec_lo, exec_lo, s1
                                        ; implicit-def: $vgpr0_vgpr1_vgpr2_vgpr3
.LBB36_12:                              ;   in Loop: Header=BB36_6 Depth=1
	s_and_not1_saveexec_b32 s0, s0
	s_cbranch_execz .LBB36_16
; %bb.13:                               ;   in Loop: Header=BB36_6 Depth=1
	s_mov_b32 s1, exec_lo
	v_cmpx_eq_u32_e32 1, v38
; %bb.14:                               ;   in Loop: Header=BB36_6 Depth=1
	v_dual_mov_b32 v0, v1 :: v_dual_mov_b32 v1, v2
	v_mov_b32_e32 v2, v3
	v_mov_b32_e32 v3, v43
; %bb.15:                               ;   in Loop: Header=BB36_6 Depth=1
	s_or_b32 exec_lo, exec_lo, s1
	s_delay_alu instid0(VALU_DEP_1)
	v_dual_mov_b32 v7, v3 :: v_dual_mov_b32 v6, v2
	v_dual_mov_b32 v5, v1 :: v_dual_mov_b32 v4, v0
.LBB36_16:                              ;   in Loop: Header=BB36_6 Depth=1
	s_or_b32 exec_lo, exec_lo, s0
	v_add_nc_u32_e32 v21, 2, v21
	s_mov_b32 s0, exec_lo
	s_delay_alu instid0(VALU_DEP_1) | instskip(SKIP_2) | instid1(VALU_DEP_1)
	v_cmp_eq_u32_e32 vcc_lo, 0, v21
	v_cndmask_b32_e64 v0, 0, 1, vcc_lo
	v_add_co_ci_u32_e32 v42, vcc_lo, 0, v20, vcc_lo
	v_cmp_eq_u32_e32 vcc_lo, 0, v42
	s_delay_alu instid0(VALU_DEP_3) | instskip(NEXT) | instid1(VALU_DEP_1)
	v_cndmask_b32_e32 v0, 0, v0, vcc_lo
	v_add_nc_u32_e32 v14, v0, v14
	s_delay_alu instid0(VALU_DEP_1) | instskip(SKIP_2) | instid1(VALU_DEP_2)
	v_cmp_eq_u32_e32 vcc_lo, 0, v14
	v_mad_u64_u32 v[2:3], null, 0xcd9e8d57, v14, 0
	v_cndmask_b32_e32 v0, 0, v0, vcc_lo
	v_xor3_b32 v3, v3, v10, v42
	s_delay_alu instid0(VALU_DEP_2) | instskip(SKIP_1) | instid1(VALU_DEP_3)
	v_add_nc_u32_e32 v15, v0, v15
	v_mad_u64_u32 v[0:1], null, 0xd2511f53, v21, 0
	v_mad_u64_u32 v[44:45], null, 0xd2511f53, v3, 0
	s_delay_alu instid0(VALU_DEP_2) | instskip(NEXT) | instid1(VALU_DEP_1)
	v_xor_b32_e32 v1, v1, v11
	v_xor_b32_e32 v1, v15, v1
	s_delay_alu instid0(VALU_DEP_1) | instskip(NEXT) | instid1(VALU_DEP_1)
	v_mad_u64_u32 v[19:20], null, 0xcd9e8d57, v1, 0
	v_xor3_b32 v2, v23, v20, v2
	v_xor3_b32 v20, v22, v45, v0
	s_delay_alu instid0(VALU_DEP_2) | instskip(NEXT) | instid1(VALU_DEP_2)
	v_mad_u64_u32 v[0:1], null, 0xd2511f53, v2, 0
	v_mad_u64_u32 v[2:3], null, 0xcd9e8d57, v20, 0
	s_delay_alu instid0(VALU_DEP_2) | instskip(NEXT) | instid1(VALU_DEP_2)
	v_xor3_b32 v1, v25, v1, v44
	v_xor3_b32 v3, v24, v3, v19
	s_delay_alu instid0(VALU_DEP_2) | instskip(NEXT) | instid1(VALU_DEP_2)
	v_mad_u64_u32 v[19:20], null, 0xcd9e8d57, v1, 0
	v_mad_u64_u32 v[44:45], null, 0xd2511f53, v3, 0
	s_delay_alu instid0(VALU_DEP_2) | instskip(NEXT) | instid1(VALU_DEP_2)
	;; [unrolled: 6-line block ×7, first 2 shown]
	v_xor3_b32 v3, v37, v46, v44
	v_xor3_b32 v44, v36, v1, v19
	s_delay_alu instid0(VALU_DEP_2) | instskip(NEXT) | instid1(VALU_DEP_2)
	v_mad_u64_u32 v[1:2], null, 0xcd9e8d57, v3, 0
	v_mad_u64_u32 v[19:20], null, 0xd2511f53, v44, 0
                                        ; implicit-def: $vgpr44
	s_delay_alu instid0(VALU_DEP_2) | instskip(NEXT) | instid1(VALU_DEP_2)
	v_xor3_b32 v0, v2, v0, v39
	v_xor3_b32 v2, v20, v45, v40
                                        ; implicit-def: $vgpr20
                                        ; implicit-def: $vgpr45
	v_cmpx_lt_i32_e32 1, v38
	s_xor_b32 s0, exec_lo, s0
	s_cbranch_execz .LBB36_22
; %bb.17:                               ;   in Loop: Header=BB36_6 Depth=1
	s_mov_b32 s1, exec_lo
	v_cmpx_lt_i32_e32 2, v38
	s_xor_b32 s1, exec_lo, s1
; %bb.18:                               ;   in Loop: Header=BB36_6 Depth=1
                                        ; implicit-def: $vgpr9
; %bb.19:                               ;   in Loop: Header=BB36_6 Depth=1
	s_delay_alu instid0(SALU_CYCLE_1)
	s_or_saveexec_b32 s1, s1
	v_dual_mov_b32 v20, v2 :: v_dual_mov_b32 v45, v0
	v_mov_b32_e32 v44, v1
	s_xor_b32 exec_lo, exec_lo, s1
; %bb.20:                               ;   in Loop: Header=BB36_6 Depth=1
	v_dual_mov_b32 v20, v1 :: v_dual_mov_b32 v45, v18
	v_mov_b32_e32 v44, v0
	v_mov_b32_e32 v18, v9
; %bb.21:                               ;   in Loop: Header=BB36_6 Depth=1
	s_or_b32 exec_lo, exec_lo, s1
                                        ; implicit-def: $vgpr9
                                        ; implicit-def: $vgpr43
.LBB36_22:                              ;   in Loop: Header=BB36_6 Depth=1
	s_and_not1_saveexec_b32 s0, s0
	s_cbranch_execz .LBB36_5
; %bb.23:                               ;   in Loop: Header=BB36_6 Depth=1
	s_delay_alu instid0(VALU_DEP_1)
	v_dual_mov_b32 v20, v18 :: v_dual_mov_b32 v45, v8
	v_mov_b32_e32 v44, v9
	s_mov_b32 s1, exec_lo
	v_cmpx_eq_u32_e32 1, v38
	s_cbranch_execz .LBB36_4
; %bb.24:                               ;   in Loop: Header=BB36_6 Depth=1
	v_dual_mov_b32 v20, v0 :: v_dual_mov_b32 v45, v9
	v_dual_mov_b32 v44, v18 :: v_dual_mov_b32 v43, v8
	s_branch .LBB36_4
.LBB36_25:
	s_endpgm
	.section	.rodata,"a",@progbits
	.p2align	6, 0x0
	.amdhsa_kernel _ZN2at6native12_GLOBAL__N_124fused_dropout_kernel_vecIffmLi1ELi8EbEEvNS_4cuda6detail10TensorInfoIKT_T1_EENS5_IS6_S8_EENS5_IT4_S8_EES8_T0_NS_15PhiloxCudaStateE
		.amdhsa_group_segment_fixed_size 0
		.amdhsa_private_segment_fixed_size 0
		.amdhsa_kernarg_size 1552
		.amdhsa_user_sgpr_count 15
		.amdhsa_user_sgpr_dispatch_ptr 0
		.amdhsa_user_sgpr_queue_ptr 0
		.amdhsa_user_sgpr_kernarg_segment_ptr 1
		.amdhsa_user_sgpr_dispatch_id 0
		.amdhsa_user_sgpr_private_segment_size 0
		.amdhsa_wavefront_size32 1
		.amdhsa_uses_dynamic_stack 0
		.amdhsa_enable_private_segment 0
		.amdhsa_system_sgpr_workgroup_id_x 1
		.amdhsa_system_sgpr_workgroup_id_y 0
		.amdhsa_system_sgpr_workgroup_id_z 0
		.amdhsa_system_sgpr_workgroup_info 0
		.amdhsa_system_vgpr_workitem_id 0
		.amdhsa_next_free_vgpr 62
		.amdhsa_next_free_sgpr 20
		.amdhsa_reserve_vcc 1
		.amdhsa_float_round_mode_32 0
		.amdhsa_float_round_mode_16_64 0
		.amdhsa_float_denorm_mode_32 3
		.amdhsa_float_denorm_mode_16_64 3
		.amdhsa_dx10_clamp 1
		.amdhsa_ieee_mode 1
		.amdhsa_fp16_overflow 0
		.amdhsa_workgroup_processor_mode 1
		.amdhsa_memory_ordered 1
		.amdhsa_forward_progress 0
		.amdhsa_shared_vgpr_count 0
		.amdhsa_exception_fp_ieee_invalid_op 0
		.amdhsa_exception_fp_denorm_src 0
		.amdhsa_exception_fp_ieee_div_zero 0
		.amdhsa_exception_fp_ieee_overflow 0
		.amdhsa_exception_fp_ieee_underflow 0
		.amdhsa_exception_fp_ieee_inexact 0
		.amdhsa_exception_int_div_zero 0
	.end_amdhsa_kernel
	.section	.text._ZN2at6native12_GLOBAL__N_124fused_dropout_kernel_vecIffmLi1ELi8EbEEvNS_4cuda6detail10TensorInfoIKT_T1_EENS5_IS6_S8_EENS5_IT4_S8_EES8_T0_NS_15PhiloxCudaStateE,"axG",@progbits,_ZN2at6native12_GLOBAL__N_124fused_dropout_kernel_vecIffmLi1ELi8EbEEvNS_4cuda6detail10TensorInfoIKT_T1_EENS5_IS6_S8_EENS5_IT4_S8_EES8_T0_NS_15PhiloxCudaStateE,comdat
.Lfunc_end36:
	.size	_ZN2at6native12_GLOBAL__N_124fused_dropout_kernel_vecIffmLi1ELi8EbEEvNS_4cuda6detail10TensorInfoIKT_T1_EENS5_IS6_S8_EENS5_IT4_S8_EES8_T0_NS_15PhiloxCudaStateE, .Lfunc_end36-_ZN2at6native12_GLOBAL__N_124fused_dropout_kernel_vecIffmLi1ELi8EbEEvNS_4cuda6detail10TensorInfoIKT_T1_EENS5_IS6_S8_EENS5_IT4_S8_EES8_T0_NS_15PhiloxCudaStateE
                                        ; -- End function
	.section	.AMDGPU.csdata,"",@progbits
; Kernel info:
; codeLenInByte = 2996
; NumSgprs: 22
; NumVgprs: 62
; ScratchSize: 0
; MemoryBound: 0
; FloatMode: 240
; IeeeMode: 1
; LDSByteSize: 0 bytes/workgroup (compile time only)
; SGPRBlocks: 2
; VGPRBlocks: 7
; NumSGPRsForWavesPerEU: 22
; NumVGPRsForWavesPerEU: 62
; Occupancy: 16
; WaveLimiterHint : 1
; COMPUTE_PGM_RSRC2:SCRATCH_EN: 0
; COMPUTE_PGM_RSRC2:USER_SGPR: 15
; COMPUTE_PGM_RSRC2:TRAP_HANDLER: 0
; COMPUTE_PGM_RSRC2:TGID_X_EN: 1
; COMPUTE_PGM_RSRC2:TGID_Y_EN: 0
; COMPUTE_PGM_RSRC2:TGID_Z_EN: 0
; COMPUTE_PGM_RSRC2:TIDIG_COMP_CNT: 0
	.section	.text._ZN2at6native12_GLOBAL__N_124fused_dropout_kernel_vecIffmLi1ELi4EbEEvNS_4cuda6detail10TensorInfoIKT_T1_EENS5_IS6_S8_EENS5_IT4_S8_EES8_T0_NS_15PhiloxCudaStateE,"axG",@progbits,_ZN2at6native12_GLOBAL__N_124fused_dropout_kernel_vecIffmLi1ELi4EbEEvNS_4cuda6detail10TensorInfoIKT_T1_EENS5_IS6_S8_EENS5_IT4_S8_EES8_T0_NS_15PhiloxCudaStateE,comdat
	.globl	_ZN2at6native12_GLOBAL__N_124fused_dropout_kernel_vecIffmLi1ELi4EbEEvNS_4cuda6detail10TensorInfoIKT_T1_EENS5_IS6_S8_EENS5_IT4_S8_EES8_T0_NS_15PhiloxCudaStateE ; -- Begin function _ZN2at6native12_GLOBAL__N_124fused_dropout_kernel_vecIffmLi1ELi4EbEEvNS_4cuda6detail10TensorInfoIKT_T1_EENS5_IS6_S8_EENS5_IT4_S8_EES8_T0_NS_15PhiloxCudaStateE
	.p2align	8
	.type	_ZN2at6native12_GLOBAL__N_124fused_dropout_kernel_vecIffmLi1ELi4EbEEvNS_4cuda6detail10TensorInfoIKT_T1_EENS5_IS6_S8_EENS5_IT4_S8_EES8_T0_NS_15PhiloxCudaStateE,@function
_ZN2at6native12_GLOBAL__N_124fused_dropout_kernel_vecIffmLi1ELi4EbEEvNS_4cuda6detail10TensorInfoIKT_T1_EENS5_IS6_S8_EENS5_IT4_S8_EES8_T0_NS_15PhiloxCudaStateE: ; @_ZN2at6native12_GLOBAL__N_124fused_dropout_kernel_vecIffmLi1ELi4EbEEvNS_4cuda6detail10TensorInfoIKT_T1_EENS5_IS6_S8_EENS5_IT4_S8_EES8_T0_NS_15PhiloxCudaStateE
; %bb.0:
	s_clause 0x1
	s_load_b128 s[4:7], s[0:1], 0x4f0
	s_load_b32 s2, s[0:1], 0x508
	s_waitcnt lgkmcnt(0)
	v_dual_mov_b32 v1, s6 :: v_dual_mov_b32 v2, s7
	v_dual_mov_b32 v12, s5 :: v_dual_mov_b32 v11, s4
	s_bitcmp0_b32 s2, 0
	s_cbranch_scc1 .LBB37_2
; %bb.1:
	v_dual_mov_b32 v1, s6 :: v_dual_mov_b32 v2, s7
	v_dual_mov_b32 v3, s4 :: v_dual_mov_b32 v4, s5
	s_load_b64 s[2:3], s[0:1], 0x500
	flat_load_b64 v[1:2], v[1:2]
	flat_load_b64 v[11:12], v[3:4]
	s_waitcnt vmcnt(1) lgkmcnt(0)
	v_add_co_u32 v1, vcc_lo, v1, s2
	v_add_co_ci_u32_e32 v2, vcc_lo, s3, v2, vcc_lo
.LBB37_2:
	s_clause 0x1
	s_load_b32 s4, s[0:1], 0x51c
	s_load_b64 s[2:3], s[0:1], 0x4e0
	s_add_u32 s10, s0, 0x510
	s_addc_u32 s11, s1, 0
	s_waitcnt lgkmcnt(0)
	s_and_b32 s12, s4, 0xffff
	s_mov_b32 s4, exec_lo
	v_mad_u64_u32 v[13:14], null, s15, s12, v[0:1]
	v_mov_b32_e32 v14, 0
	s_delay_alu instid0(VALU_DEP_1) | instskip(NEXT) | instid1(VALU_DEP_1)
	v_lshlrev_b64 v[15:16], 2, v[13:14]
	v_cmpx_gt_u64_e64 s[2:3], v[15:16]
	s_cbranch_execz .LBB37_15
; %bb.3:
	v_alignbit_b32 v21, v2, v1, 2
	v_mad_u64_u32 v[3:4], null, 0xcd9e8d57, v13, 0
	v_lshrrev_b32_e32 v22, 2, v2
	s_waitcnt vmcnt(0)
	v_mov_b32_e32 v10, v12
	v_mad_u64_u32 v[5:6], null, 0xd2511f53, v21, 0
	v_add_co_u32 v24, null, 0x9e3779b9, v11
	v_xor3_b32 v0, v11, v4, v22
	s_delay_alu instid0(VALU_DEP_4) | instskip(SKIP_2) | instid1(VALU_DEP_4)
	v_add_co_u32 v23, null, 0xbb67ae85, v10
	v_add_co_u32 v25, null, 0x3c6ef372, v11
	v_xor_b32_e32 v2, v6, v12
	v_mad_u64_u32 v[6:7], null, 0xd2511f53, v0, 0
	v_add_co_u32 v26, null, 0x76cf5d0a, v10
	s_delay_alu instid0(VALU_DEP_3) | instskip(SKIP_1) | instid1(VALU_DEP_4)
	v_mad_u64_u32 v[8:9], null, 0xcd9e8d57, v2, 0
	v_add_co_u32 v27, null, 0x32370b8f, v10
	v_xor3_b32 v0, v23, v7, v5
	v_add_co_u32 v28, null, 0xdaa66d2b, v11
	s_load_b32 s14, s[0:1], 0x4e8
	s_delay_alu instid0(VALU_DEP_4) | instskip(NEXT) | instid1(VALU_DEP_3)
	v_xor3_b32 v7, v9, v24, v3
	v_mad_u64_u32 v[2:3], null, 0xcd9e8d57, v0, 0
	v_add_co_u32 v29, null, 0x78dde6e4, v11
	s_delay_alu instid0(VALU_DEP_3) | instskip(SKIP_1) | instid1(VALU_DEP_4)
	v_mad_u64_u32 v[4:5], null, 0xd2511f53, v7, 0
	v_add_co_u32 v30, null, 0xed9eba14, v10
	v_xor3_b32 v0, v25, v3, v8
	v_add_co_u32 v32, null, 0x1715609d, v11
	v_add_co_u32 v31, null, 0xa9066899, v10
	v_xor3_b32 v3, v5, v26, v6
	s_delay_alu instid0(VALU_DEP_4) | instskip(SKIP_1) | instid1(VALU_DEP_3)
	v_mad_u64_u32 v[5:6], null, 0xd2511f53, v0, 0
	v_add_co_u32 v33, null, 0xb54cda56, v11
	v_mad_u64_u32 v[7:8], null, 0xcd9e8d57, v3, 0
	v_add_co_u32 v34, null, 0x5384540f, v11
	s_delay_alu instid0(VALU_DEP_4)
	v_xor3_b32 v0, v27, v6, v4
	s_waitcnt lgkmcnt(0)
	v_div_scale_f32 v18, vcc_lo, 1.0, s14, 1.0
	s_clause 0x2
	s_load_b64 s[4:5], s[0:1], 0x0
	s_load_b64 s[6:7], s[0:1], 0x1a0
	;; [unrolled: 1-line block ×3, first 2 shown]
	v_xor3_b32 v4, v8, v28, v2
	v_mad_u64_u32 v[2:3], null, 0xcd9e8d57, v0, 0
	s_load_b32 s0, s[10:11], 0x0
	v_add_co_u32 v37, null, 0xf1bbcdc8, v11
	s_delay_alu instid0(VALU_DEP_3) | instskip(SKIP_1) | instid1(VALU_DEP_4)
	v_mad_u64_u32 v[8:9], null, 0xd2511f53, v4, 0
	v_and_b32_e32 v39, 3, v1
	v_xor3_b32 v0, v29, v3, v7
	v_add_nc_u32_e32 v41, 0x96a522ad, v12
	s_mov_b32 s11, 0
	v_add_nc_u32_e32 v40, 0x8ff34781, v11
	v_xor3_b32 v7, v9, v30, v5
	v_mad_u64_u32 v[3:4], null, 0xd2511f53, v0, 0
	v_div_scale_f32 v0, null, s14, s14, 1.0
	s_delay_alu instid0(VALU_DEP_3) | instskip(NEXT) | instid1(VALU_DEP_2)
	v_mad_u64_u32 v[5:6], null, 0xcd9e8d57, v7, 0
	v_rcp_f32_e32 v17, v0
	s_delay_alu instid0(VALU_DEP_3) | instskip(SKIP_2) | instid1(SALU_CYCLE_1)
	v_xor3_b32 v4, v31, v4, v8
	s_waitcnt lgkmcnt(0)
	s_mul_i32 s0, s0, s12
	s_lshl_b32 s10, s0, 2
	s_delay_alu instid0(VALU_DEP_2) | instskip(SKIP_2) | instid1(VALU_DEP_2)
	v_xor3_b32 v2, v6, v32, v2
	v_mad_u64_u32 v[6:7], null, 0xcd9e8d57, v4, 0
	s_lshl_b64 s[12:13], s[10:11], 2
	v_mad_u64_u32 v[8:9], null, 0xd2511f53, v2, 0
	s_waitcnt_depctr 0xfff
	v_fma_f32 v2, -v0, v17, 1.0
	v_xor3_b32 v4, v33, v7, v5
	s_delay_alu instid0(VALU_DEP_2) | instskip(SKIP_3) | instid1(VALU_DEP_3)
	v_fmac_f32_e32 v17, v2, v17
	v_add_co_u32 v35, null, 0x646e171e, v10
	v_add_co_u32 v36, null, 0x1fd5c5a3, v10
	;; [unrolled: 1-line block ×3, first 2 shown]
	v_xor3_b32 v7, v9, v35, v3
	v_mad_u64_u32 v[2:3], null, 0xd2511f53, v4, 0
	v_mul_f32_e32 v9, v18, v17
	s_delay_alu instid0(VALU_DEP_3) | instskip(NEXT) | instid1(VALU_DEP_2)
	v_mad_u64_u32 v[4:5], null, 0xcd9e8d57, v7, 0
	v_fma_f32 v20, -v0, v9, v18
	s_delay_alu instid0(VALU_DEP_4) | instskip(NEXT) | instid1(VALU_DEP_3)
	v_xor3_b32 v3, v36, v3, v8
	v_xor3_b32 v19, v5, v34, v6
	s_delay_alu instid0(VALU_DEP_2) | instskip(NEXT) | instid1(VALU_DEP_4)
	v_mad_u64_u32 v[5:6], null, 0xcd9e8d57, v3, 0
	v_fmac_f32_e32 v9, v20, v17
	s_delay_alu instid0(VALU_DEP_3) | instskip(NEXT) | instid1(VALU_DEP_2)
	v_mad_u64_u32 v[7:8], null, 0xd2511f53, v19, 0
	v_fma_f32 v0, -v0, v9, v18
	s_delay_alu instid0(VALU_DEP_4) | instskip(NEXT) | instid1(VALU_DEP_3)
	v_xor3_b32 v6, v37, v6, v4
	v_xor3_b32 v8, v8, v38, v2
	s_delay_alu instid0(VALU_DEP_2) | instskip(NEXT) | instid1(VALU_DEP_4)
	v_mad_u64_u32 v[3:4], null, 0xd2511f53, v6, 0
	v_div_fmas_f32 v0, v0, v17, v9
	v_lshlrev_b64 v[17:18], 4, v[13:14]
	s_delay_alu instid0(VALU_DEP_4) | instskip(NEXT) | instid1(VALU_DEP_3)
	v_mad_u64_u32 v[1:2], null, 0xcd9e8d57, v8, 0
	v_div_fixup_f32 v42, v0, s14, 1.0
	s_delay_alu instid0(VALU_DEP_2)
	v_xor3_b32 v0, v5, v2, v40
	v_xor3_b32 v2, v4, v7, v41
	s_branch .LBB37_6
.LBB37_4:                               ;   in Loop: Header=BB37_6 Depth=1
	s_or_b32 exec_lo, exec_lo, s1
.LBB37_5:                               ;   in Loop: Header=BB37_6 Depth=1
	s_delay_alu instid0(SALU_CYCLE_1)
	s_or_b32 exec_lo, exec_lo, s0
	v_add_co_u32 v7, vcc_lo, s4, v17
	v_add_co_ci_u32_e32 v8, vcc_lo, s5, v18, vcc_lo
	v_cvt_f32_u32_e32 v0, v0
	v_cvt_f32_u32_e32 v1, v1
	;; [unrolled: 1-line block ×3, first 2 shown]
	global_load_b128 v[43:46], v[7:8], off
	v_dual_mov_b32 v7, v19 :: v_dual_fmaak_f32 v0, 0x2f800000, v0, 0x2f800000
	v_add_co_u32 v8, vcc_lo, s6, v17
	v_add_co_ci_u32_e32 v9, vcc_lo, s7, v18, vcc_lo
	s_delay_alu instid0(VALU_DEP_3) | instskip(SKIP_3) | instid1(VALU_DEP_4)
	v_cmp_gt_f32_e64 s0, s14, v0
	v_add_co_u32 v19, vcc_lo, s8, v15
	v_cvt_f32_u32_e32 v2, v2
	v_fmaak_f32 v1, 0x2f800000, v1, 0x2f800000
	v_cndmask_b32_e64 v0, 0, 1.0, s0
	v_fmaak_f32 v3, 0x2f800000, v3, 0x2f800000
	v_add_co_ci_u32_e32 v20, vcc_lo, s9, v16, vcc_lo
	v_add_co_u32 v15, vcc_lo, v15, s10
	v_add_co_ci_u32_e32 v16, vcc_lo, 0, v16, vcc_lo
	v_fmaak_f32 v2, 0x2f800000, v2, 0x2f800000
	v_cmp_gt_f32_e32 vcc_lo, s14, v1
	v_cndmask_b32_e64 v47, 0, 1, s0
	s_add_u32 s6, s6, s12
	s_addc_u32 s7, s7, s13
	s_add_u32 s4, s4, s12
	v_cndmask_b32_e64 v1, 0, 1.0, vcc_lo
	s_addc_u32 s5, s5, s13
	s_waitcnt vmcnt(0)
	v_mul_f32_e32 v0, v43, v0
	v_cmp_gt_f32_e64 s1, s14, v3
	v_cndmask_b32_e64 v3, 0, 1, vcc_lo
	v_cmp_gt_f32_e32 vcc_lo, s14, v2
	s_delay_alu instid0(VALU_DEP_4) | instskip(NEXT) | instid1(VALU_DEP_4)
	v_mul_f32_e32 v43, v42, v0
	v_cndmask_b32_e64 v2, 0, 1, s1
	s_delay_alu instid0(VALU_DEP_4)
	v_lshlrev_b16 v3, 8, v3
	v_cndmask_b32_e64 v49, 0, 1, vcc_lo
	v_cndmask_b32_e64 v10, 0, 1.0, s1
	v_cndmask_b32_e64 v48, 0, 1.0, vcc_lo
	v_lshlrev_b16 v2, 8, v2
	v_or_b32_e32 v3, v47, v3
	v_cmp_le_u64_e32 vcc_lo, s[2:3], v[15:16]
	v_mul_f32_e32 v10, v46, v10
	s_delay_alu instid0(VALU_DEP_4) | instskip(NEXT) | instid1(VALU_DEP_4)
	v_or_b32_e32 v2, v49, v2
	v_and_b32_e32 v3, 0xffff, v3
	v_mul_f32_e32 v1, v44, v1
	s_or_b32 s11, vcc_lo, s11
	v_mul_f32_e32 v46, v42, v10
	v_dual_mul_f32 v45, v45, v48 :: v_dual_lshlrev_b32 v2, 16, v2
	s_delay_alu instid0(VALU_DEP_3) | instskip(NEXT) | instid1(VALU_DEP_2)
	v_mul_f32_e32 v44, v42, v1
	v_or_b32_e32 v10, v3, v2
	s_delay_alu instid0(VALU_DEP_3)
	v_dual_mov_b32 v0, v4 :: v_dual_mul_f32 v45, v42, v45
	v_dual_mov_b32 v1, v5 :: v_dual_mov_b32 v2, v6
	v_mov_b32_e32 v3, v7
	global_store_b128 v[8:9], v[43:46], off
	global_store_b32 v[19:20], v10, off
	s_waitcnt_vscnt null, 0x0
	s_barrier
	buffer_gl0_inv
	s_and_not1_b32 exec_lo, exec_lo, s11
	s_cbranch_execz .LBB37_15
.LBB37_6:                               ; =>This Inner Loop Header: Depth=1
	v_add_co_u32 v21, vcc_lo, v21, 1
	s_delay_alu instid0(VALU_DEP_1) | instskip(SKIP_2) | instid1(VALU_DEP_1)
	v_cndmask_b32_e64 v4, 0, 1, vcc_lo
	v_add_co_ci_u32_e32 v22, vcc_lo, 0, v22, vcc_lo
	s_mov_b32 s0, exec_lo
	v_cmp_eq_u32_e32 vcc_lo, 0, v22
	s_delay_alu instid0(VALU_DEP_3) | instskip(NEXT) | instid1(VALU_DEP_1)
	v_cndmask_b32_e32 v4, 0, v4, vcc_lo
	v_add_nc_u32_e32 v13, v4, v13
	s_delay_alu instid0(VALU_DEP_1) | instskip(SKIP_2) | instid1(VALU_DEP_2)
	v_cmp_eq_u32_e32 vcc_lo, 0, v13
	v_cndmask_b32_e32 v4, 0, v4, vcc_lo
	v_mad_u64_u32 v[6:7], null, 0xcd9e8d57, v13, 0
	v_add_nc_u32_e32 v14, v4, v14
	v_mad_u64_u32 v[4:5], null, 0xd2511f53, v21, 0
	s_delay_alu instid0(VALU_DEP_3) | instskip(NEXT) | instid1(VALU_DEP_2)
	v_xor3_b32 v9, v7, v11, v22
	v_xor_b32_e32 v5, v5, v12
	s_delay_alu instid0(VALU_DEP_2) | instskip(NEXT) | instid1(VALU_DEP_2)
	v_mad_u64_u32 v[7:8], null, 0xd2511f53, v9, 0
	v_xor_b32_e32 v5, v14, v5
	s_delay_alu instid0(VALU_DEP_2) | instskip(NEXT) | instid1(VALU_DEP_2)
	v_xor3_b32 v8, v23, v8, v4
	v_mad_u64_u32 v[9:10], null, 0xcd9e8d57, v5, 0
	s_delay_alu instid0(VALU_DEP_2) | instskip(NEXT) | instid1(VALU_DEP_2)
	v_mad_u64_u32 v[4:5], null, 0xcd9e8d57, v8, 0
	v_xor3_b32 v6, v24, v10, v6
	s_delay_alu instid0(VALU_DEP_2) | instskip(NEXT) | instid1(VALU_DEP_2)
	v_xor3_b32 v8, v25, v5, v9
	v_mad_u64_u32 v[19:20], null, 0xd2511f53, v6, 0
	s_delay_alu instid0(VALU_DEP_2) | instskip(NEXT) | instid1(VALU_DEP_2)
	v_mad_u64_u32 v[5:6], null, 0xd2511f53, v8, 0
	v_xor3_b32 v9, v26, v20, v7
	s_delay_alu instid0(VALU_DEP_2) | instskip(NEXT) | instid1(VALU_DEP_2)
	v_xor3_b32 v6, v27, v6, v19
	v_mad_u64_u32 v[7:8], null, 0xcd9e8d57, v9, 0
	s_delay_alu instid0(VALU_DEP_1) | instskip(NEXT) | instid1(VALU_DEP_3)
	v_xor3_b32 v4, v28, v8, v4
	v_mad_u64_u32 v[8:9], null, 0xcd9e8d57, v6, 0
	s_delay_alu instid0(VALU_DEP_2) | instskip(NEXT) | instid1(VALU_DEP_2)
	v_mad_u64_u32 v[19:20], null, 0xd2511f53, v4, 0
	v_xor3_b32 v6, v29, v9, v7
	s_delay_alu instid0(VALU_DEP_2) | instskip(NEXT) | instid1(VALU_DEP_2)
	v_xor3_b32 v9, v30, v20, v5
	v_mad_u64_u32 v[4:5], null, 0xd2511f53, v6, 0
	s_delay_alu instid0(VALU_DEP_2) | instskip(NEXT) | instid1(VALU_DEP_2)
	v_mad_u64_u32 v[6:7], null, 0xcd9e8d57, v9, 0
	v_xor3_b32 v5, v31, v5, v19
	s_delay_alu instid0(VALU_DEP_2) | instskip(NEXT) | instid1(VALU_DEP_2)
	;; [unrolled: 6-line block ×6, first 2 shown]
	v_xor3_b32 v4, v6, v7, v40
	v_mov_b32_e32 v6, v10
	v_cmpx_lt_i32_e32 1, v39
	s_xor_b32 s0, exec_lo, s0
	s_cbranch_execz .LBB37_12
; %bb.7:                                ;   in Loop: Header=BB37_6 Depth=1
	s_mov_b32 s1, exec_lo
	v_cmpx_lt_i32_e32 2, v39
	s_xor_b32 s1, exec_lo, s1
; %bb.8:                                ;   in Loop: Header=BB37_6 Depth=1
	v_dual_mov_b32 v7, v3 :: v_dual_mov_b32 v8, v4
	v_mov_b32_e32 v9, v5
	s_delay_alu instid0(VALU_DEP_2) | instskip(NEXT) | instid1(VALU_DEP_2)
	v_dual_mov_b32 v0, v7 :: v_dual_mov_b32 v1, v8
	v_dual_mov_b32 v2, v9 :: v_dual_mov_b32 v3, v10
; %bb.9:                                ;   in Loop: Header=BB37_6 Depth=1
	s_and_not1_saveexec_b32 s1, s1
; %bb.10:                               ;   in Loop: Header=BB37_6 Depth=1
	s_delay_alu instid0(VALU_DEP_1)
	v_dual_mov_b32 v0, v2 :: v_dual_mov_b32 v1, v3
	v_dual_mov_b32 v2, v4 :: v_dual_mov_b32 v3, v5
; %bb.11:                               ;   in Loop: Header=BB37_6 Depth=1
	s_or_b32 exec_lo, exec_lo, s1
.LBB37_12:                              ;   in Loop: Header=BB37_6 Depth=1
	s_and_not1_saveexec_b32 s0, s0
	s_cbranch_execz .LBB37_5
; %bb.13:                               ;   in Loop: Header=BB37_6 Depth=1
	s_mov_b32 s1, exec_lo
	v_cmpx_eq_u32_e32 1, v39
	s_cbranch_execz .LBB37_4
; %bb.14:                               ;   in Loop: Header=BB37_6 Depth=1
	v_dual_mov_b32 v0, v1 :: v_dual_mov_b32 v1, v2
	v_dual_mov_b32 v2, v3 :: v_dual_mov_b32 v3, v4
	s_branch .LBB37_4
.LBB37_15:
	s_endpgm
	.section	.rodata,"a",@progbits
	.p2align	6, 0x0
	.amdhsa_kernel _ZN2at6native12_GLOBAL__N_124fused_dropout_kernel_vecIffmLi1ELi4EbEEvNS_4cuda6detail10TensorInfoIKT_T1_EENS5_IS6_S8_EENS5_IT4_S8_EES8_T0_NS_15PhiloxCudaStateE
		.amdhsa_group_segment_fixed_size 0
		.amdhsa_private_segment_fixed_size 0
		.amdhsa_kernarg_size 1552
		.amdhsa_user_sgpr_count 15
		.amdhsa_user_sgpr_dispatch_ptr 0
		.amdhsa_user_sgpr_queue_ptr 0
		.amdhsa_user_sgpr_kernarg_segment_ptr 1
		.amdhsa_user_sgpr_dispatch_id 0
		.amdhsa_user_sgpr_private_segment_size 0
		.amdhsa_wavefront_size32 1
		.amdhsa_uses_dynamic_stack 0
		.amdhsa_enable_private_segment 0
		.amdhsa_system_sgpr_workgroup_id_x 1
		.amdhsa_system_sgpr_workgroup_id_y 0
		.amdhsa_system_sgpr_workgroup_id_z 0
		.amdhsa_system_sgpr_workgroup_info 0
		.amdhsa_system_vgpr_workitem_id 0
		.amdhsa_next_free_vgpr 50
		.amdhsa_next_free_sgpr 16
		.amdhsa_reserve_vcc 1
		.amdhsa_float_round_mode_32 0
		.amdhsa_float_round_mode_16_64 0
		.amdhsa_float_denorm_mode_32 3
		.amdhsa_float_denorm_mode_16_64 3
		.amdhsa_dx10_clamp 1
		.amdhsa_ieee_mode 1
		.amdhsa_fp16_overflow 0
		.amdhsa_workgroup_processor_mode 1
		.amdhsa_memory_ordered 1
		.amdhsa_forward_progress 0
		.amdhsa_shared_vgpr_count 0
		.amdhsa_exception_fp_ieee_invalid_op 0
		.amdhsa_exception_fp_denorm_src 0
		.amdhsa_exception_fp_ieee_div_zero 0
		.amdhsa_exception_fp_ieee_overflow 0
		.amdhsa_exception_fp_ieee_underflow 0
		.amdhsa_exception_fp_ieee_inexact 0
		.amdhsa_exception_int_div_zero 0
	.end_amdhsa_kernel
	.section	.text._ZN2at6native12_GLOBAL__N_124fused_dropout_kernel_vecIffmLi1ELi4EbEEvNS_4cuda6detail10TensorInfoIKT_T1_EENS5_IS6_S8_EENS5_IT4_S8_EES8_T0_NS_15PhiloxCudaStateE,"axG",@progbits,_ZN2at6native12_GLOBAL__N_124fused_dropout_kernel_vecIffmLi1ELi4EbEEvNS_4cuda6detail10TensorInfoIKT_T1_EENS5_IS6_S8_EENS5_IT4_S8_EES8_T0_NS_15PhiloxCudaStateE,comdat
.Lfunc_end37:
	.size	_ZN2at6native12_GLOBAL__N_124fused_dropout_kernel_vecIffmLi1ELi4EbEEvNS_4cuda6detail10TensorInfoIKT_T1_EENS5_IS6_S8_EENS5_IT4_S8_EES8_T0_NS_15PhiloxCudaStateE, .Lfunc_end37-_ZN2at6native12_GLOBAL__N_124fused_dropout_kernel_vecIffmLi1ELi4EbEEvNS_4cuda6detail10TensorInfoIKT_T1_EENS5_IS6_S8_EENS5_IT4_S8_EES8_T0_NS_15PhiloxCudaStateE
                                        ; -- End function
	.section	.AMDGPU.csdata,"",@progbits
; Kernel info:
; codeLenInByte = 2108
; NumSgprs: 18
; NumVgprs: 50
; ScratchSize: 0
; MemoryBound: 0
; FloatMode: 240
; IeeeMode: 1
; LDSByteSize: 0 bytes/workgroup (compile time only)
; SGPRBlocks: 2
; VGPRBlocks: 6
; NumSGPRsForWavesPerEU: 18
; NumVGPRsForWavesPerEU: 50
; Occupancy: 16
; WaveLimiterHint : 1
; COMPUTE_PGM_RSRC2:SCRATCH_EN: 0
; COMPUTE_PGM_RSRC2:USER_SGPR: 15
; COMPUTE_PGM_RSRC2:TRAP_HANDLER: 0
; COMPUTE_PGM_RSRC2:TGID_X_EN: 1
; COMPUTE_PGM_RSRC2:TGID_Y_EN: 0
; COMPUTE_PGM_RSRC2:TGID_Z_EN: 0
; COMPUTE_PGM_RSRC2:TIDIG_COMP_CNT: 0
	.section	.text._ZN2at6native12_GLOBAL__N_124fused_dropout_kernel_vecIffmLi1ELi2EbEEvNS_4cuda6detail10TensorInfoIKT_T1_EENS5_IS6_S8_EENS5_IT4_S8_EES8_T0_NS_15PhiloxCudaStateE,"axG",@progbits,_ZN2at6native12_GLOBAL__N_124fused_dropout_kernel_vecIffmLi1ELi2EbEEvNS_4cuda6detail10TensorInfoIKT_T1_EENS5_IS6_S8_EENS5_IT4_S8_EES8_T0_NS_15PhiloxCudaStateE,comdat
	.globl	_ZN2at6native12_GLOBAL__N_124fused_dropout_kernel_vecIffmLi1ELi2EbEEvNS_4cuda6detail10TensorInfoIKT_T1_EENS5_IS6_S8_EENS5_IT4_S8_EES8_T0_NS_15PhiloxCudaStateE ; -- Begin function _ZN2at6native12_GLOBAL__N_124fused_dropout_kernel_vecIffmLi1ELi2EbEEvNS_4cuda6detail10TensorInfoIKT_T1_EENS5_IS6_S8_EENS5_IT4_S8_EES8_T0_NS_15PhiloxCudaStateE
	.p2align	8
	.type	_ZN2at6native12_GLOBAL__N_124fused_dropout_kernel_vecIffmLi1ELi2EbEEvNS_4cuda6detail10TensorInfoIKT_T1_EENS5_IS6_S8_EENS5_IT4_S8_EES8_T0_NS_15PhiloxCudaStateE,@function
_ZN2at6native12_GLOBAL__N_124fused_dropout_kernel_vecIffmLi1ELi2EbEEvNS_4cuda6detail10TensorInfoIKT_T1_EENS5_IS6_S8_EENS5_IT4_S8_EES8_T0_NS_15PhiloxCudaStateE: ; @_ZN2at6native12_GLOBAL__N_124fused_dropout_kernel_vecIffmLi1ELi2EbEEvNS_4cuda6detail10TensorInfoIKT_T1_EENS5_IS6_S8_EENS5_IT4_S8_EES8_T0_NS_15PhiloxCudaStateE
; %bb.0:
	s_clause 0x1
	s_load_b128 s[4:7], s[0:1], 0x4f0
	s_load_b32 s2, s[0:1], 0x508
	s_waitcnt lgkmcnt(0)
	v_dual_mov_b32 v1, s6 :: v_dual_mov_b32 v2, s7
	v_dual_mov_b32 v9, s5 :: v_dual_mov_b32 v8, s4
	s_bitcmp0_b32 s2, 0
	s_cbranch_scc1 .LBB38_2
; %bb.1:
	v_dual_mov_b32 v1, s6 :: v_dual_mov_b32 v2, s7
	v_dual_mov_b32 v3, s4 :: v_dual_mov_b32 v4, s5
	s_load_b64 s[2:3], s[0:1], 0x500
	flat_load_b64 v[1:2], v[1:2]
	flat_load_b64 v[8:9], v[3:4]
	s_waitcnt vmcnt(1) lgkmcnt(0)
	v_add_co_u32 v1, vcc_lo, v1, s2
	v_add_co_ci_u32_e32 v2, vcc_lo, s3, v2, vcc_lo
.LBB38_2:
	s_clause 0x1
	s_load_b32 s4, s[0:1], 0x51c
	s_load_b64 s[2:3], s[0:1], 0x4e0
	s_add_u32 s10, s0, 0x510
	s_addc_u32 s11, s1, 0
	s_waitcnt lgkmcnt(0)
	s_and_b32 s12, s4, 0xffff
	s_mov_b32 s4, exec_lo
	v_mad_u64_u32 v[10:11], null, s15, s12, v[0:1]
	v_mov_b32_e32 v11, 0
	s_delay_alu instid0(VALU_DEP_1) | instskip(NEXT) | instid1(VALU_DEP_1)
	v_lshlrev_b64 v[12:13], 1, v[10:11]
	v_cmpx_gt_u64_e64 s[2:3], v[12:13]
	s_cbranch_execz .LBB38_15
; %bb.3:
	v_alignbit_b32 v18, v2, v1, 2
	v_mad_u64_u32 v[3:4], null, 0xcd9e8d57, v10, 0
	v_lshrrev_b32_e32 v19, 2, v2
	s_waitcnt vmcnt(0)
	v_mov_b32_e32 v16, v9
	v_mad_u64_u32 v[5:6], null, 0xd2511f53, v18, 0
	v_add_co_u32 v21, null, 0x9e3779b9, v8
	v_xor3_b32 v0, v8, v4, v19
	s_delay_alu instid0(VALU_DEP_4) | instskip(SKIP_2) | instid1(VALU_DEP_4)
	v_add_co_u32 v20, null, 0xbb67ae85, v16
	v_add_co_u32 v22, null, 0x3c6ef372, v8
	v_xor_b32_e32 v2, v6, v9
	v_mad_u64_u32 v[6:7], null, 0xd2511f53, v0, 0
	v_add_co_u32 v23, null, 0x76cf5d0a, v16
	s_delay_alu instid0(VALU_DEP_3) | instskip(SKIP_1) | instid1(VALU_DEP_4)
	v_mad_u64_u32 v[14:15], null, 0xcd9e8d57, v2, 0
	v_add_co_u32 v24, null, 0x32370b8f, v16
	v_xor3_b32 v0, v20, v7, v5
	v_add_co_u32 v25, null, 0xdaa66d2b, v8
	s_load_b32 s14, s[0:1], 0x4e8
	s_delay_alu instid0(VALU_DEP_4) | instskip(NEXT) | instid1(VALU_DEP_3)
	v_xor3_b32 v7, v15, v21, v3
	v_mad_u64_u32 v[2:3], null, 0xcd9e8d57, v0, 0
	v_add_co_u32 v26, null, 0x78dde6e4, v8
	s_delay_alu instid0(VALU_DEP_3) | instskip(SKIP_1) | instid1(VALU_DEP_4)
	v_mad_u64_u32 v[4:5], null, 0xd2511f53, v7, 0
	v_add_co_u32 v27, null, 0xed9eba14, v16
	v_xor3_b32 v0, v22, v3, v14
	v_add_co_u32 v28, null, 0xa9066899, v16
	v_add_co_u32 v29, null, 0x1715609d, v8
	v_xor3_b32 v3, v5, v23, v6
	s_delay_alu instid0(VALU_DEP_4) | instskip(SKIP_1) | instid1(VALU_DEP_3)
	v_mad_u64_u32 v[5:6], null, 0xd2511f53, v0, 0
	v_add_co_u32 v30, null, 0xb54cda56, v8
	v_mad_u64_u32 v[14:15], null, 0xcd9e8d57, v3, 0
	v_add_co_u32 v31, null, 0x5384540f, v8
	s_delay_alu instid0(VALU_DEP_4)
	v_xor3_b32 v0, v24, v6, v4
	s_waitcnt lgkmcnt(0)
	v_div_scale_f32 v37, vcc_lo, 1.0, s14, 1.0
	v_add_co_u32 v34, null, 0xf1bbcdc8, v8
	v_xor3_b32 v4, v15, v25, v2
	v_mad_u64_u32 v[2:3], null, 0xcd9e8d57, v0, 0
	s_clause 0x2
	s_load_b64 s[4:5], s[0:1], 0x0
	s_load_b64 s[6:7], s[0:1], 0x1a0
	;; [unrolled: 1-line block ×3, first 2 shown]
	s_load_b32 s0, s[10:11], 0x0
	v_mad_u64_u32 v[6:7], null, 0xd2511f53, v4, 0
	v_and_b32_e32 v36, 3, v1
	s_mov_b32 s11, 0
	v_xor3_b32 v0, v26, v3, v14
	s_delay_alu instid0(VALU_DEP_3) | instskip(NEXT) | instid1(VALU_DEP_2)
	v_xor3_b32 v5, v7, v27, v5
	v_mad_u64_u32 v[3:4], null, 0xd2511f53, v0, 0
	v_div_scale_f32 v0, null, s14, s14, 1.0
	s_delay_alu instid0(VALU_DEP_3) | instskip(NEXT) | instid1(VALU_DEP_2)
	v_mad_u64_u32 v[14:15], null, 0xcd9e8d57, v5, 0
	v_rcp_f32_e32 v17, v0
	s_delay_alu instid0(VALU_DEP_3) | instskip(SKIP_2) | instid1(VALU_DEP_2)
	v_xor3_b32 v6, v28, v4, v6
	s_waitcnt lgkmcnt(0)
	s_mul_i32 s0, s0, s12
	v_xor3_b32 v2, v15, v29, v2
	s_delay_alu instid0(VALU_DEP_2) | instskip(SKIP_1) | instid1(VALU_DEP_2)
	v_mad_u64_u32 v[4:5], null, 0xcd9e8d57, v6, 0
	s_lshl_b32 s10, s0, 1
	v_mad_u64_u32 v[6:7], null, 0xd2511f53, v2, 0
	s_waitcnt_depctr 0xfff
	v_fma_f32 v2, -v0, v17, 1.0
	s_lshl_b64 s[12:13], s[10:11], 2
	v_xor3_b32 v5, v30, v5, v14
	s_delay_alu instid0(VALU_DEP_2) | instskip(SKIP_2) | instid1(VALU_DEP_3)
	v_fmac_f32_e32 v17, v2, v17
	v_add_co_u32 v32, null, 0x646e171e, v16
	v_add_co_u32 v33, null, 0x1fd5c5a3, v16
	v_mul_f32_e32 v38, v37, v17
	s_delay_alu instid0(VALU_DEP_3) | instskip(SKIP_2) | instid1(VALU_DEP_3)
	v_xor3_b32 v7, v7, v32, v3
	v_mad_u64_u32 v[2:3], null, 0xd2511f53, v5, 0
	v_add_co_u32 v35, null, 0xdb3d7428, v16
	v_mad_u64_u32 v[14:15], null, 0xcd9e8d57, v7, 0
	s_delay_alu instid0(VALU_DEP_3) | instskip(NEXT) | instid1(VALU_DEP_2)
	v_xor3_b32 v5, v33, v3, v6
	v_xor3_b32 v7, v15, v31, v4
	s_delay_alu instid0(VALU_DEP_2) | instskip(SKIP_1) | instid1(VALU_DEP_3)
	v_mad_u64_u32 v[3:4], null, 0xcd9e8d57, v5, 0
	v_fma_f32 v15, -v0, v38, v37
	v_mad_u64_u32 v[5:6], null, 0xd2511f53, v7, 0
	s_delay_alu instid0(VALU_DEP_3) | instskip(NEXT) | instid1(VALU_DEP_2)
	v_xor3_b32 v4, v34, v4, v14
	v_xor3_b32 v14, v6, v35, v2
	s_delay_alu instid0(VALU_DEP_2) | instskip(SKIP_1) | instid1(VALU_DEP_3)
	v_mad_u64_u32 v[6:7], null, 0xd2511f53, v4, 0
	v_fmac_f32_e32 v38, v15, v17
	v_mad_u64_u32 v[1:2], null, 0xcd9e8d57, v14, 0
	v_lshlrev_b64 v[14:15], 3, v[10:11]
	s_delay_alu instid0(VALU_DEP_3) | instskip(SKIP_1) | instid1(VALU_DEP_2)
	v_fma_f32 v0, -v0, v38, v37
	v_add_nc_u32_e32 v37, 0x8ff34781, v8
	v_div_fmas_f32 v0, v0, v17, v38
	v_add_nc_u32_e32 v38, 0x96a522ad, v9
	s_delay_alu instid0(VALU_DEP_2) | instskip(NEXT) | instid1(VALU_DEP_4)
	v_div_fixup_f32 v39, v0, s14, 1.0
	v_xor3_b32 v0, v3, v2, v37
	v_mov_b32_e32 v3, v6
	s_delay_alu instid0(VALU_DEP_4)
	v_xor3_b32 v2, v7, v5, v38
	s_branch .LBB38_6
.LBB38_4:                               ;   in Loop: Header=BB38_6 Depth=1
	s_or_b32 exec_lo, exec_lo, s1
.LBB38_5:                               ;   in Loop: Header=BB38_6 Depth=1
	s_delay_alu instid0(SALU_CYCLE_1)
	s_or_b32 exec_lo, exec_lo, s0
	v_add_co_u32 v2, vcc_lo, s4, v14
	v_add_co_ci_u32_e32 v3, vcc_lo, s5, v15, vcc_lo
	v_cvt_f32_u32_e32 v1, v1
	v_cvt_f32_u32_e32 v0, v0
	global_load_b64 v[2:3], v[2:3], off
	v_mov_b32_e32 v7, v16
	v_dual_fmaak_f32 v1, 0x2f800000, v1, 0x2f800000 :: v_dual_fmaak_f32 v0, 0x2f800000, v0, 0x2f800000
	v_add_co_u32 v16, s0, s8, v12
	s_delay_alu instid0(VALU_DEP_1) | instskip(NEXT) | instid1(VALU_DEP_3)
	v_add_co_ci_u32_e64 v17, s0, s9, v13, s0
	v_cmp_gt_f32_e32 vcc_lo, s14, v1
	s_delay_alu instid0(VALU_DEP_4) | instskip(SKIP_1) | instid1(VALU_DEP_2)
	v_cmp_gt_f32_e64 s0, s14, v0
	v_cndmask_b32_e64 v1, 0, 1.0, vcc_lo
	v_cndmask_b32_e64 v0, 0, 1.0, s0
	v_cndmask_b32_e64 v40, 0, 1, vcc_lo
	v_add_co_u32 v12, vcc_lo, v12, s10
	v_add_co_ci_u32_e32 v13, vcc_lo, 0, v13, vcc_lo
	v_cndmask_b32_e64 v42, 0, 1, s0
	s_delay_alu instid0(VALU_DEP_4)
	v_lshlrev_b16 v43, 8, v40
	v_add_co_u32 v40, vcc_lo, s6, v14
	v_add_co_ci_u32_e32 v41, vcc_lo, s7, v15, vcc_lo
	v_cmp_le_u64_e32 vcc_lo, s[2:3], v[12:13]
	v_add_co_u32 v14, s0, v14, s12
	v_or_b32_e32 v44, v42, v43
	v_add_co_ci_u32_e64 v15, s0, s13, v15, s0
	s_or_b32 s11, vcc_lo, s11
	s_waitcnt vmcnt(0)
	v_dual_mul_f32 v0, v2, v0 :: v_dual_mul_f32 v1, v3, v1
	s_delay_alu instid0(VALU_DEP_1) | instskip(NEXT) | instid1(VALU_DEP_2)
	v_mul_f32_e32 v42, v39, v0
	v_dual_mul_f32 v43, v39, v1 :: v_dual_mov_b32 v0, v4
	v_dual_mov_b32 v1, v5 :: v_dual_mov_b32 v2, v6
	v_mov_b32_e32 v3, v7
	global_store_b64 v[40:41], v[42:43], off
	global_store_b16 v[16:17], v44, off
	s_waitcnt_vscnt null, 0x0
	s_barrier
	buffer_gl0_inv
	s_and_not1_b32 exec_lo, exec_lo, s11
	s_cbranch_execz .LBB38_15
.LBB38_6:                               ; =>This Inner Loop Header: Depth=1
	v_add_co_u32 v18, vcc_lo, v18, 1
	s_delay_alu instid0(VALU_DEP_1) | instskip(SKIP_2) | instid1(VALU_DEP_1)
	v_cndmask_b32_e64 v4, 0, 1, vcc_lo
	v_add_co_ci_u32_e32 v19, vcc_lo, 0, v19, vcc_lo
	s_mov_b32 s0, exec_lo
	v_cmp_eq_u32_e32 vcc_lo, 0, v19
	s_delay_alu instid0(VALU_DEP_3) | instskip(NEXT) | instid1(VALU_DEP_1)
	v_cndmask_b32_e32 v4, 0, v4, vcc_lo
	v_add_nc_u32_e32 v10, v4, v10
	s_delay_alu instid0(VALU_DEP_1) | instskip(SKIP_2) | instid1(VALU_DEP_2)
	v_cmp_eq_u32_e32 vcc_lo, 0, v10
	v_mad_u64_u32 v[6:7], null, 0xcd9e8d57, v10, 0
	v_cndmask_b32_e32 v4, 0, v4, vcc_lo
	v_xor3_b32 v7, v7, v8, v19
	s_delay_alu instid0(VALU_DEP_2) | instskip(SKIP_1) | instid1(VALU_DEP_3)
	v_add_nc_u32_e32 v11, v4, v11
	v_mad_u64_u32 v[4:5], null, 0xd2511f53, v18, 0
	v_mad_u64_u32 v[40:41], null, 0xd2511f53, v7, 0
	s_delay_alu instid0(VALU_DEP_2) | instskip(NEXT) | instid1(VALU_DEP_1)
	v_xor_b32_e32 v5, v5, v9
	v_xor_b32_e32 v5, v11, v5
	s_delay_alu instid0(VALU_DEP_1) | instskip(NEXT) | instid1(VALU_DEP_1)
	v_mad_u64_u32 v[16:17], null, 0xcd9e8d57, v5, 0
	v_xor3_b32 v6, v21, v17, v6
	v_xor3_b32 v17, v20, v41, v4
	s_delay_alu instid0(VALU_DEP_2) | instskip(NEXT) | instid1(VALU_DEP_2)
	v_mad_u64_u32 v[4:5], null, 0xd2511f53, v6, 0
	v_mad_u64_u32 v[6:7], null, 0xcd9e8d57, v17, 0
	s_delay_alu instid0(VALU_DEP_2) | instskip(NEXT) | instid1(VALU_DEP_2)
	v_xor3_b32 v5, v23, v5, v40
	v_xor3_b32 v7, v22, v7, v16
	s_delay_alu instid0(VALU_DEP_2) | instskip(NEXT) | instid1(VALU_DEP_2)
	v_mad_u64_u32 v[16:17], null, 0xcd9e8d57, v5, 0
	v_mad_u64_u32 v[40:41], null, 0xd2511f53, v7, 0
	s_delay_alu instid0(VALU_DEP_2) | instskip(NEXT) | instid1(VALU_DEP_2)
	v_xor3_b32 v6, v25, v17, v6
	v_xor3_b32 v17, v24, v41, v4
	s_delay_alu instid0(VALU_DEP_2) | instskip(NEXT) | instid1(VALU_DEP_2)
	v_mad_u64_u32 v[4:5], null, 0xd2511f53, v6, 0
	v_mad_u64_u32 v[6:7], null, 0xcd9e8d57, v17, 0
	s_delay_alu instid0(VALU_DEP_2) | instskip(NEXT) | instid1(VALU_DEP_2)
	v_xor3_b32 v5, v27, v5, v40
	v_xor3_b32 v7, v26, v7, v16
	s_delay_alu instid0(VALU_DEP_2) | instskip(NEXT) | instid1(VALU_DEP_2)
	v_mad_u64_u32 v[16:17], null, 0xcd9e8d57, v5, 0
	v_mad_u64_u32 v[40:41], null, 0xd2511f53, v7, 0
	s_delay_alu instid0(VALU_DEP_2) | instskip(NEXT) | instid1(VALU_DEP_2)
	v_xor3_b32 v6, v29, v17, v6
	v_xor3_b32 v17, v28, v41, v4
	s_delay_alu instid0(VALU_DEP_2) | instskip(NEXT) | instid1(VALU_DEP_2)
	v_mad_u64_u32 v[4:5], null, 0xd2511f53, v6, 0
	v_mad_u64_u32 v[6:7], null, 0xcd9e8d57, v17, 0
	s_delay_alu instid0(VALU_DEP_2) | instskip(NEXT) | instid1(VALU_DEP_2)
	v_xor3_b32 v5, v32, v5, v40
	v_xor3_b32 v7, v30, v7, v16
	s_delay_alu instid0(VALU_DEP_2) | instskip(NEXT) | instid1(VALU_DEP_2)
	v_mad_u64_u32 v[16:17], null, 0xcd9e8d57, v5, 0
	v_mad_u64_u32 v[40:41], null, 0xd2511f53, v7, 0
	s_delay_alu instid0(VALU_DEP_2) | instskip(NEXT) | instid1(VALU_DEP_2)
	v_xor3_b32 v5, v31, v17, v6
	v_xor3_b32 v6, v33, v41, v4
	s_delay_alu instid0(VALU_DEP_2) | instskip(NEXT) | instid1(VALU_DEP_2)
	v_mad_u64_u32 v[41:42], null, 0xd2511f53, v5, 0
	v_mad_u64_u32 v[4:5], null, 0xcd9e8d57, v6, 0
	s_delay_alu instid0(VALU_DEP_2) | instskip(NEXT) | instid1(VALU_DEP_2)
	v_xor3_b32 v7, v35, v42, v40
	v_xor3_b32 v40, v34, v5, v16
	s_delay_alu instid0(VALU_DEP_2) | instskip(NEXT) | instid1(VALU_DEP_2)
	v_mad_u64_u32 v[5:6], null, 0xcd9e8d57, v7, 0
	v_mad_u64_u32 v[16:17], null, 0xd2511f53, v40, 0
	s_delay_alu instid0(VALU_DEP_2) | instskip(NEXT) | instid1(VALU_DEP_2)
	v_xor3_b32 v4, v6, v4, v37
	v_xor3_b32 v6, v17, v41, v38
	v_cmpx_lt_i32_e32 1, v36
	s_xor_b32 s0, exec_lo, s0
	s_cbranch_execz .LBB38_12
; %bb.7:                                ;   in Loop: Header=BB38_6 Depth=1
	s_mov_b32 s1, exec_lo
	v_cmpx_lt_i32_e32 2, v36
	s_xor_b32 s1, exec_lo, s1
; %bb.8:                                ;   in Loop: Header=BB38_6 Depth=1
	v_dual_mov_b32 v0, v3 :: v_dual_mov_b32 v1, v4
; %bb.9:                                ;   in Loop: Header=BB38_6 Depth=1
	s_and_not1_saveexec_b32 s1, s1
; %bb.10:                               ;   in Loop: Header=BB38_6 Depth=1
	v_dual_mov_b32 v0, v2 :: v_dual_mov_b32 v1, v3
; %bb.11:                               ;   in Loop: Header=BB38_6 Depth=1
	s_or_b32 exec_lo, exec_lo, s1
.LBB38_12:                              ;   in Loop: Header=BB38_6 Depth=1
	s_and_not1_saveexec_b32 s0, s0
	s_cbranch_execz .LBB38_5
; %bb.13:                               ;   in Loop: Header=BB38_6 Depth=1
	s_mov_b32 s1, exec_lo
	v_cmpx_eq_u32_e32 1, v36
	s_cbranch_execz .LBB38_4
; %bb.14:                               ;   in Loop: Header=BB38_6 Depth=1
	v_dual_mov_b32 v0, v1 :: v_dual_mov_b32 v1, v2
	s_branch .LBB38_4
.LBB38_15:
	s_endpgm
	.section	.rodata,"a",@progbits
	.p2align	6, 0x0
	.amdhsa_kernel _ZN2at6native12_GLOBAL__N_124fused_dropout_kernel_vecIffmLi1ELi2EbEEvNS_4cuda6detail10TensorInfoIKT_T1_EENS5_IS6_S8_EENS5_IT4_S8_EES8_T0_NS_15PhiloxCudaStateE
		.amdhsa_group_segment_fixed_size 0
		.amdhsa_private_segment_fixed_size 0
		.amdhsa_kernarg_size 1552
		.amdhsa_user_sgpr_count 15
		.amdhsa_user_sgpr_dispatch_ptr 0
		.amdhsa_user_sgpr_queue_ptr 0
		.amdhsa_user_sgpr_kernarg_segment_ptr 1
		.amdhsa_user_sgpr_dispatch_id 0
		.amdhsa_user_sgpr_private_segment_size 0
		.amdhsa_wavefront_size32 1
		.amdhsa_uses_dynamic_stack 0
		.amdhsa_enable_private_segment 0
		.amdhsa_system_sgpr_workgroup_id_x 1
		.amdhsa_system_sgpr_workgroup_id_y 0
		.amdhsa_system_sgpr_workgroup_id_z 0
		.amdhsa_system_sgpr_workgroup_info 0
		.amdhsa_system_vgpr_workitem_id 0
		.amdhsa_next_free_vgpr 45
		.amdhsa_next_free_sgpr 16
		.amdhsa_reserve_vcc 1
		.amdhsa_float_round_mode_32 0
		.amdhsa_float_round_mode_16_64 0
		.amdhsa_float_denorm_mode_32 3
		.amdhsa_float_denorm_mode_16_64 3
		.amdhsa_dx10_clamp 1
		.amdhsa_ieee_mode 1
		.amdhsa_fp16_overflow 0
		.amdhsa_workgroup_processor_mode 1
		.amdhsa_memory_ordered 1
		.amdhsa_forward_progress 0
		.amdhsa_shared_vgpr_count 0
		.amdhsa_exception_fp_ieee_invalid_op 0
		.amdhsa_exception_fp_denorm_src 0
		.amdhsa_exception_fp_ieee_div_zero 0
		.amdhsa_exception_fp_ieee_overflow 0
		.amdhsa_exception_fp_ieee_underflow 0
		.amdhsa_exception_fp_ieee_inexact 0
		.amdhsa_exception_int_div_zero 0
	.end_amdhsa_kernel
	.section	.text._ZN2at6native12_GLOBAL__N_124fused_dropout_kernel_vecIffmLi1ELi2EbEEvNS_4cuda6detail10TensorInfoIKT_T1_EENS5_IS6_S8_EENS5_IT4_S8_EES8_T0_NS_15PhiloxCudaStateE,"axG",@progbits,_ZN2at6native12_GLOBAL__N_124fused_dropout_kernel_vecIffmLi1ELi2EbEEvNS_4cuda6detail10TensorInfoIKT_T1_EENS5_IS6_S8_EENS5_IT4_S8_EES8_T0_NS_15PhiloxCudaStateE,comdat
.Lfunc_end38:
	.size	_ZN2at6native12_GLOBAL__N_124fused_dropout_kernel_vecIffmLi1ELi2EbEEvNS_4cuda6detail10TensorInfoIKT_T1_EENS5_IS6_S8_EENS5_IT4_S8_EES8_T0_NS_15PhiloxCudaStateE, .Lfunc_end38-_ZN2at6native12_GLOBAL__N_124fused_dropout_kernel_vecIffmLi1ELi2EbEEvNS_4cuda6detail10TensorInfoIKT_T1_EENS5_IS6_S8_EENS5_IT4_S8_EES8_T0_NS_15PhiloxCudaStateE
                                        ; -- End function
	.section	.AMDGPU.csdata,"",@progbits
; Kernel info:
; codeLenInByte = 1940
; NumSgprs: 18
; NumVgprs: 45
; ScratchSize: 0
; MemoryBound: 0
; FloatMode: 240
; IeeeMode: 1
; LDSByteSize: 0 bytes/workgroup (compile time only)
; SGPRBlocks: 2
; VGPRBlocks: 5
; NumSGPRsForWavesPerEU: 18
; NumVGPRsForWavesPerEU: 45
; Occupancy: 16
; WaveLimiterHint : 1
; COMPUTE_PGM_RSRC2:SCRATCH_EN: 0
; COMPUTE_PGM_RSRC2:USER_SGPR: 15
; COMPUTE_PGM_RSRC2:TRAP_HANDLER: 0
; COMPUTE_PGM_RSRC2:TGID_X_EN: 1
; COMPUTE_PGM_RSRC2:TGID_Y_EN: 0
; COMPUTE_PGM_RSRC2:TGID_Z_EN: 0
; COMPUTE_PGM_RSRC2:TIDIG_COMP_CNT: 0
	.section	.text._ZN2at6native12_GLOBAL__N_120fused_dropout_kernelIffmLi1ELi1EbEEvNS_4cuda6detail10TensorInfoIKT_T1_EENS5_IS6_S8_EENS5_IT4_S8_EES8_T0_NS_15PhiloxCudaStateE,"axG",@progbits,_ZN2at6native12_GLOBAL__N_120fused_dropout_kernelIffmLi1ELi1EbEEvNS_4cuda6detail10TensorInfoIKT_T1_EENS5_IS6_S8_EENS5_IT4_S8_EES8_T0_NS_15PhiloxCudaStateE,comdat
	.globl	_ZN2at6native12_GLOBAL__N_120fused_dropout_kernelIffmLi1ELi1EbEEvNS_4cuda6detail10TensorInfoIKT_T1_EENS5_IS6_S8_EENS5_IT4_S8_EES8_T0_NS_15PhiloxCudaStateE ; -- Begin function _ZN2at6native12_GLOBAL__N_120fused_dropout_kernelIffmLi1ELi1EbEEvNS_4cuda6detail10TensorInfoIKT_T1_EENS5_IS6_S8_EENS5_IT4_S8_EES8_T0_NS_15PhiloxCudaStateE
	.p2align	8
	.type	_ZN2at6native12_GLOBAL__N_120fused_dropout_kernelIffmLi1ELi1EbEEvNS_4cuda6detail10TensorInfoIKT_T1_EENS5_IS6_S8_EENS5_IT4_S8_EES8_T0_NS_15PhiloxCudaStateE,@function
_ZN2at6native12_GLOBAL__N_120fused_dropout_kernelIffmLi1ELi1EbEEvNS_4cuda6detail10TensorInfoIKT_T1_EENS5_IS6_S8_EENS5_IT4_S8_EES8_T0_NS_15PhiloxCudaStateE: ; @_ZN2at6native12_GLOBAL__N_120fused_dropout_kernelIffmLi1ELi1EbEEvNS_4cuda6detail10TensorInfoIKT_T1_EENS5_IS6_S8_EENS5_IT4_S8_EES8_T0_NS_15PhiloxCudaStateE
; %bb.0:
	s_clause 0x1
	s_load_b128 s[4:7], s[0:1], 0x4f0
	s_load_b32 s2, s[0:1], 0x508
	s_waitcnt lgkmcnt(0)
	v_dual_mov_b32 v1, s6 :: v_dual_mov_b32 v2, s7
	v_dual_mov_b32 v16, s5 :: v_dual_mov_b32 v15, s4
	s_bitcmp0_b32 s2, 0
	s_mov_b32 s2, 0
	s_cbranch_scc1 .LBB39_2
; %bb.1:
	v_dual_mov_b32 v1, s6 :: v_dual_mov_b32 v2, s7
	v_dual_mov_b32 v3, s4 :: v_dual_mov_b32 v4, s5
	s_load_b64 s[4:5], s[0:1], 0x500
	flat_load_b64 v[1:2], v[1:2]
	flat_load_b64 v[15:16], v[3:4]
	s_waitcnt vmcnt(1) lgkmcnt(0)
	v_add_co_u32 v1, vcc_lo, v1, s4
	v_add_co_ci_u32_e32 v2, vcc_lo, s5, v2, vcc_lo
.LBB39_2:
	s_clause 0x2
	s_load_b32 s3, s[0:1], 0x51c
	s_load_b64 s[4:5], s[0:1], 0x4e0
	s_load_b32 s6, s[0:1], 0x510
	s_waitcnt lgkmcnt(0)
	s_and_b32 s7, s3, 0xffff
	s_add_u32 s8, s4, -1
	s_mul_i32 s20, s6, s7
	s_addc_u32 s3, s5, -1
	s_lshl_b32 s21, s20, 2
	s_cmp_lg_u64 s[2:3], 0
	s_cbranch_scc0 .LBB39_35
; %bb.3:
	v_cvt_f32_u32_e32 v3, s21
	s_sub_u32 s10, 0, s21
	s_subb_u32 s11, 0, 0
	s_delay_alu instid0(VALU_DEP_1) | instskip(NEXT) | instid1(VALU_DEP_1)
	v_fmamk_f32 v3, 0, 0x4f800000, v3
	v_rcp_f32_e32 v3, v3
	s_waitcnt_depctr 0xfff
	v_mul_f32_e32 v3, 0x5f7ffffc, v3
	s_delay_alu instid0(VALU_DEP_1) | instskip(NEXT) | instid1(VALU_DEP_1)
	v_mul_f32_e32 v4, 0x2f800000, v3
	v_trunc_f32_e32 v4, v4
	s_delay_alu instid0(VALU_DEP_1) | instskip(SKIP_1) | instid1(VALU_DEP_2)
	v_fmamk_f32 v3, v4, 0xcf800000, v3
	v_cvt_u32_f32_e32 v4, v4
	v_cvt_u32_f32_e32 v3, v3
	s_delay_alu instid0(VALU_DEP_2) | instskip(NEXT) | instid1(VALU_DEP_2)
	v_readfirstlane_b32 s2, v4
	v_readfirstlane_b32 s9, v3
	s_delay_alu instid0(VALU_DEP_2) | instskip(NEXT) | instid1(VALU_DEP_1)
	s_mul_i32 s12, s10, s2
	s_mul_hi_u32 s14, s10, s9
	s_mul_i32 s13, s11, s9
	s_add_i32 s12, s14, s12
	s_mul_i32 s16, s10, s9
	s_add_i32 s12, s12, s13
	s_mul_hi_u32 s14, s9, s16
	s_mul_hi_u32 s17, s2, s16
	s_mul_i32 s13, s2, s16
	s_mul_hi_u32 s16, s9, s12
	s_mul_i32 s9, s9, s12
	s_mul_hi_u32 s18, s2, s12
	s_add_u32 s9, s14, s9
	s_addc_u32 s14, 0, s16
	s_add_u32 s9, s9, s13
	s_mul_i32 s12, s2, s12
	s_addc_u32 s9, s14, s17
	s_addc_u32 s13, s18, 0
	s_add_u32 s9, s9, s12
	s_addc_u32 s12, 0, s13
	v_add_co_u32 v3, s9, v3, s9
	s_delay_alu instid0(VALU_DEP_1) | instskip(SKIP_1) | instid1(VALU_DEP_1)
	s_cmp_lg_u32 s9, 0
	s_addc_u32 s2, s2, s12
	v_readfirstlane_b32 s9, v3
	s_mul_i32 s12, s10, s2
	s_delay_alu instid0(VALU_DEP_1)
	s_mul_hi_u32 s13, s10, s9
	s_mul_i32 s11, s11, s9
	s_add_i32 s12, s13, s12
	s_mul_i32 s10, s10, s9
	s_add_i32 s12, s12, s11
	s_mul_hi_u32 s13, s2, s10
	s_mul_i32 s14, s2, s10
	s_mul_hi_u32 s10, s9, s10
	s_mul_hi_u32 s16, s9, s12
	s_mul_i32 s9, s9, s12
	s_mul_hi_u32 s11, s2, s12
	s_add_u32 s9, s10, s9
	s_addc_u32 s10, 0, s16
	s_add_u32 s9, s9, s14
	s_mul_i32 s12, s2, s12
	s_addc_u32 s9, s10, s13
	s_addc_u32 s10, s11, 0
	s_add_u32 s9, s9, s12
	s_addc_u32 s10, 0, s10
	v_add_co_u32 v3, s9, v3, s9
	s_delay_alu instid0(VALU_DEP_1) | instskip(SKIP_1) | instid1(VALU_DEP_1)
	s_cmp_lg_u32 s9, 0
	s_addc_u32 s2, s2, s10
	v_readfirstlane_b32 s9, v3
	s_mul_i32 s11, s8, s2
	s_mul_hi_u32 s10, s8, s2
	s_mul_hi_u32 s12, s3, s2
	s_mul_i32 s2, s3, s2
	s_mul_hi_u32 s13, s8, s9
	s_mul_hi_u32 s14, s3, s9
	s_mul_i32 s9, s3, s9
	s_add_u32 s11, s13, s11
	s_addc_u32 s10, 0, s10
	s_add_u32 s9, s11, s9
	s_addc_u32 s9, s10, s14
	s_addc_u32 s10, s12, 0
	s_add_u32 s2, s9, s2
	s_addc_u32 s10, 0, s10
	s_mul_i32 s11, s21, s2
	s_add_u32 s9, s2, 1
	v_sub_co_u32 v3, s11, s8, s11
	s_mul_hi_u32 s12, s21, s2
	s_addc_u32 s13, s10, 0
	s_mul_i32 s14, s21, s10
	s_delay_alu instid0(VALU_DEP_1)
	v_sub_co_u32 v4, s16, v3, s21
	s_add_u32 s17, s2, 2
	s_addc_u32 s18, s10, 0
	s_add_i32 s12, s12, s14
	s_cmp_lg_u32 s11, 0
	v_readfirstlane_b32 s11, v4
	s_subb_u32 s3, s3, s12
	s_cmp_lg_u32 s16, 0
	s_subb_u32 s12, s3, 0
	s_delay_alu instid0(VALU_DEP_1) | instskip(SKIP_4) | instid1(SALU_CYCLE_1)
	s_cmp_ge_u32 s11, s21
	s_cselect_b32 s11, -1, 0
	s_cmp_eq_u32 s12, 0
	v_readfirstlane_b32 s12, v3
	s_cselect_b32 s11, s11, -1
	s_cmp_lg_u32 s11, 0
	s_cselect_b32 s11, s17, s9
	s_cselect_b32 s13, s18, s13
	s_cmp_ge_u32 s12, s21
	s_cselect_b32 s9, -1, 0
	s_cmp_eq_u32 s3, 0
	s_cselect_b32 s3, s9, -1
	s_delay_alu instid0(SALU_CYCLE_1)
	s_cmp_lg_u32 s3, 0
	s_cselect_b32 s3, s13, s10
	s_cselect_b32 s2, s11, s2
	s_cbranch_execnz .LBB39_5
.LBB39_4:
	v_cvt_f32_u32_e32 v3, s21
	s_sub_i32 s3, 0, s21
	s_delay_alu instid0(VALU_DEP_1) | instskip(SKIP_2) | instid1(VALU_DEP_1)
	v_rcp_iflag_f32_e32 v3, v3
	s_waitcnt_depctr 0xfff
	v_mul_f32_e32 v3, 0x4f7ffffe, v3
	v_cvt_u32_f32_e32 v3, v3
	s_delay_alu instid0(VALU_DEP_1) | instskip(NEXT) | instid1(VALU_DEP_1)
	v_readfirstlane_b32 s2, v3
	s_mul_i32 s3, s3, s2
	s_delay_alu instid0(SALU_CYCLE_1) | instskip(NEXT) | instid1(SALU_CYCLE_1)
	s_mul_hi_u32 s3, s2, s3
	s_add_i32 s2, s2, s3
	s_delay_alu instid0(SALU_CYCLE_1) | instskip(NEXT) | instid1(SALU_CYCLE_1)
	s_mul_hi_u32 s2, s8, s2
	s_mul_i32 s3, s2, s21
	s_delay_alu instid0(SALU_CYCLE_1)
	s_sub_i32 s3, s8, s3
	s_add_i32 s8, s2, 1
	s_sub_i32 s9, s3, s21
	s_cmp_ge_u32 s3, s21
	s_cselect_b32 s2, s8, s2
	s_cselect_b32 s3, s9, s3
	s_add_i32 s8, s2, 1
	s_cmp_ge_u32 s3, s21
	s_mov_b32 s3, 0
	s_cselect_b32 s2, s8, s2
.LBB39_5:
	s_delay_alu instid0(SALU_CYCLE_1)
	s_add_u32 s2, s2, 1
	s_addc_u32 s3, s3, 0
	v_mad_u64_u32 v[17:18], null, s15, s7, v[0:1]
	s_mul_i32 s3, s20, s3
	s_mul_hi_u32 s8, s20, s2
	s_mul_hi_u32 s6, s6, s7
	s_add_i32 s3, s8, s3
	s_mul_i32 s6, s6, s2
	v_mov_b32_e32 v18, 0
	s_add_i32 s3, s3, s6
	s_mul_i32 s2, s20, s2
	s_delay_alu instid0(SALU_CYCLE_1)
	s_lshl_b64 s[6:7], s[2:3], 2
	s_mov_b32 s2, exec_lo
	v_cmpx_gt_u64_e64 s[6:7], v[17:18]
	s_cbranch_execz .LBB39_34
; %bb.6:
	v_alignbit_b32 v47, v2, v1, 2
	v_mad_u64_u32 v[3:4], null, 0xcd9e8d57, v17, 0
	v_lshrrev_b32_e32 v48, 2, v2
	s_waitcnt vmcnt(0)
	v_dual_mov_b32 v10, v16 :: v_dual_and_b32 v57, 3, v1
	v_mad_u64_u32 v[5:6], null, 0xd2511f53, v47, 0
	v_add_co_u32 v50, null, 0x9e3779b9, v15
	v_xor3_b32 v0, v15, v4, v48
	s_delay_alu instid0(VALU_DEP_4) | instskip(SKIP_2) | instid1(VALU_DEP_4)
	v_add_co_u32 v49, null, 0xbb67ae85, v10
	v_add_co_u32 v51, null, 0x3c6ef372, v15
	v_xor_b32_e32 v2, v6, v16
	v_mad_u64_u32 v[6:7], null, 0xd2511f53, v0, 0
	v_add_co_u32 v52, null, 0x76cf5d0a, v10
	s_delay_alu instid0(VALU_DEP_3) | instskip(SKIP_1) | instid1(VALU_DEP_4)
	v_mad_u64_u32 v[8:9], null, 0xcd9e8d57, v2, 0
	v_add_co_u32 v54, null, 0x32370b8f, v10
	v_xor3_b32 v0, v49, v7, v5
	v_add_co_u32 v53, null, 0xdaa66d2b, v15
	s_clause 0x3
	s_load_b64 s[8:9], s[0:1], 0x0
	s_load_b64 s[2:3], s[0:1], 0xd0
	;; [unrolled: 1-line block ×4, first 2 shown]
	v_xor3_b32 v7, v9, v50, v3
	v_mad_u64_u32 v[2:3], null, 0xcd9e8d57, v0, 0
	s_clause 0x1
	s_load_b64 s[12:13], s[0:1], 0x340
	s_load_b32 s22, s[0:1], 0x4e8
	v_add_co_u32 v55, null, 0x78dde6e4, v15
	v_mad_u64_u32 v[4:5], null, 0xd2511f53, v7, 0
	v_add_co_u32 v56, null, 0xed9eba14, v10
	s_delay_alu instid0(VALU_DEP_4) | instskip(SKIP_3) | instid1(VALU_DEP_4)
	v_xor3_b32 v0, v51, v3, v8
	v_add_co_u32 v60, null, 0xa9066899, v10
	v_add_co_u32 v61, null, 0x1715609d, v15
	v_xor3_b32 v3, v5, v52, v6
	v_mad_u64_u32 v[5:6], null, 0xd2511f53, v0, 0
	v_add_co_u32 v62, null, 0xb54cda56, v15
	s_delay_alu instid0(VALU_DEP_3) | instskip(SKIP_1) | instid1(VALU_DEP_4)
	v_mad_u64_u32 v[7:8], null, 0xcd9e8d57, v3, 0
	v_add_co_u32 v65, null, 0x646e171e, v10
	v_xor3_b32 v0, v54, v6, v4
	s_waitcnt lgkmcnt(0)
	v_div_scale_f32 v11, null, s22, s22, 1.0
	v_add_co_u32 v64, null, 0x1fd5c5a3, v10
	v_xor3_b32 v4, v8, v53, v2
	v_mad_u64_u32 v[2:3], null, 0xcd9e8d57, v0, 0
	s_delay_alu instid0(VALU_DEP_4) | instskip(SKIP_1) | instid1(VALU_DEP_3)
	v_rcp_f32_e32 v12, v11
	v_div_scale_f32 v13, vcc_lo, 1.0, s22, 1.0
	v_mad_u64_u32 v[8:9], null, 0xd2511f53, v4, 0
	v_add_co_u32 v63, null, 0x5384540f, v15
	s_delay_alu instid0(VALU_DEP_4) | instskip(SKIP_3) | instid1(VALU_DEP_4)
	v_xor3_b32 v3, v55, v3, v7
	v_mad_u64_u32 v[19:20], null, s16, v17, 0
	v_add_co_u32 v67, null, 0xdb3d7428, v10
	v_xor3_b32 v5, v9, v56, v5
	v_mad_u64_u32 v[0:1], null, 0xd2511f53, v3, 0
	v_add_co_u32 v66, null, 0xf1bbcdc8, v15
	s_delay_alu instid0(VALU_DEP_3)
	v_mad_u64_u32 v[3:4], null, 0xcd9e8d57, v5, 0
	v_add_nc_u32_e32 v58, 0x8ff34781, v15
	v_mov_b32_e32 v44, v18
	v_xor3_b32 v5, v60, v1, v8
	v_mad_u64_u32 v[8:9], null, s2, v17, 0
	s_mul_i32 s25, s20, 3
	v_xor3_b32 v6, v4, v61, v2
	s_delay_alu instid0(VALU_DEP_3) | instskip(SKIP_2) | instid1(VALU_DEP_2)
	v_mad_u64_u32 v[1:2], null, 0xcd9e8d57, v5, 0
	s_lshl_b32 s24, s20, 1
	s_mul_hi_u32 s1, s16, s21
	v_mad_u64_u32 v[4:5], null, 0xd2511f53, v6, 0
	v_fma_f32 v6, -v11, v12, 1.0
	s_mul_i32 s14, s16, s21
	s_delay_alu instid0(VALU_DEP_3) | instskip(SKIP_1) | instid1(VALU_DEP_2)
	v_xor3_b32 v7, v62, v2, v3
	s_mov_b32 s23, 0
	v_dual_mov_b32 v43, v17 :: v_dual_fmac_f32 v12, v6, v12
	s_delay_alu instid0(VALU_DEP_4) | instskip(NEXT) | instid1(VALU_DEP_3)
	v_xor3_b32 v0, v5, v65, v0
	v_mad_u64_u32 v[2:3], null, 0xd2511f53, v7, 0
	s_delay_alu instid0(VALU_DEP_3) | instskip(NEXT) | instid1(VALU_DEP_3)
	v_mul_f32_e32 v14, v13, v12
	v_mad_u64_u32 v[5:6], null, 0xcd9e8d57, v0, 0
	s_delay_alu instid0(VALU_DEP_3) | instskip(NEXT) | instid1(VALU_DEP_3)
	v_xor3_b32 v3, v64, v3, v4
	v_fma_f32 v10, -v11, v14, v13
	s_delay_alu instid0(VALU_DEP_3) | instskip(NEXT) | instid1(VALU_DEP_3)
	v_xor3_b32 v4, v6, v63, v1
	v_mad_u64_u32 v[0:1], null, 0xcd9e8d57, v3, 0
	s_delay_alu instid0(VALU_DEP_3) | instskip(NEXT) | instid1(VALU_DEP_3)
	v_dual_mov_b32 v3, v20 :: v_dual_fmac_f32 v14, v10, v12
	v_mad_u64_u32 v[6:7], null, 0xd2511f53, v4, 0
	s_delay_alu instid0(VALU_DEP_3) | instskip(NEXT) | instid1(VALU_DEP_3)
	v_xor3_b32 v1, v66, v1, v5
	v_mad_u64_u32 v[4:5], null, s17, v17, v[3:4]
	s_delay_alu instid0(VALU_DEP_4) | instskip(NEXT) | instid1(VALU_DEP_4)
	v_fma_f32 v5, -v11, v14, v13
	v_xor3_b32 v3, v7, v67, v2
	s_delay_alu instid0(VALU_DEP_4) | instskip(NEXT) | instid1(VALU_DEP_4)
	v_mad_u64_u32 v[10:11], null, 0xd2511f53, v1, 0
	v_dual_mov_b32 v20, v4 :: v_dual_add_nc_u32 v59, 0x96a522ad, v16
	s_delay_alu instid0(VALU_DEP_3) | instskip(SKIP_2) | instid1(VALU_DEP_4)
	v_mad_u64_u32 v[1:2], null, 0xcd9e8d57, v3, 0
	v_div_fmas_f32 v3, v5, v12, v14
	v_mov_b32_e32 v5, v9
	v_lshlrev_b64 v[23:24], 2, v[19:20]
	s_delay_alu instid0(VALU_DEP_3) | instskip(SKIP_2) | instid1(VALU_DEP_1)
	v_div_fixup_f32 v68, v3, s22, 1.0
	v_mov_b32_e32 v3, v10
	v_add_co_u32 v10, s0, s25, v17
	v_add_co_ci_u32_e64 v4, null, 0, 0, s0
	v_xor3_b32 v0, v0, v2, v58
	v_xor3_b32 v2, v11, v6, v59
	v_mad_u64_u32 v[6:7], null, s3, v17, v[5:6]
	v_mul_lo_u32 v5, s17, v10
	v_mul_lo_u32 v7, s16, v4
	v_mad_u64_u32 v[21:22], null, s16, v10, 0
	v_add_co_u32 v11, s18, s24, v17
	v_mov_b32_e32 v9, v6
	v_add_co_ci_u32_e64 v6, null, 0, 0, s18
	v_add_co_u32 v29, s18, s20, v17
	v_add3_u32 v22, v22, v7, v5
	v_mul_lo_u32 v12, s3, v10
	v_mul_lo_u32 v13, s2, v4
	v_mad_u64_u32 v[4:5], null, s2, v10, 0
	v_add_co_ci_u32_e64 v10, null, 0, 0, s18
	v_mul_lo_u32 v14, s17, v11
	v_mul_lo_u32 v33, s16, v6
	v_mad_u64_u32 v[25:26], null, s16, v11, 0
	v_mul_lo_u32 v34, s3, v11
	v_mul_lo_u32 v35, s2, v6
	v_mad_u64_u32 v[6:7], null, s2, v11, 0
	;; [unrolled: 3-line block ×4, first 2 shown]
	v_add3_u32 v5, v5, v13, v12
	v_add3_u32 v26, v26, v33, v14
	;; [unrolled: 1-line block ×4, first 2 shown]
	s_mul_i32 s0, s17, s21
	v_lshlrev_b64 v[29:30], 2, v[8:9]
	v_add3_u32 v11, v11, v39, v38
	s_add_i32 s15, s1, s0
	s_mul_i32 s0, s3, s21
	s_mul_hi_u32 s1, s2, s21
	v_lshlrev_b64 v[31:32], 2, v[21:22]
	v_lshlrev_b64 v[33:34], 2, v[4:5]
	;; [unrolled: 1-line block ×6, first 2 shown]
	s_add_i32 s1, s1, s0
	s_mul_i32 s0, s2, s21
	s_lshl_b64 s[16:17], s[14:15], 2
	s_lshl_b64 s[18:19], s[0:1], 2
                                        ; implicit-def: $vgpr4_vgpr5_vgpr6_vgpr7
	s_branch .LBB39_8
.LBB39_7:                               ;   in Loop: Header=BB39_8 Depth=1
	s_or_b32 exec_lo, exec_lo, s1
	v_add_co_u32 v43, vcc_lo, v43, s21
	v_add_co_ci_u32_e32 v44, vcc_lo, 0, v44, vcc_lo
	v_mov_b32_e32 v11, v45
	s_add_u32 s10, s10, s16
	s_addc_u32 s11, s11, s17
	s_delay_alu instid0(VALU_DEP_2)
	v_cmp_le_u64_e32 vcc_lo, s[6:7], v[43:44]
	s_add_u32 s12, s12, s14
	v_dual_mov_b32 v0, v8 :: v_dual_mov_b32 v1, v9
	s_addc_u32 s13, s13, s15
	v_dual_mov_b32 v2, v10 :: v_dual_mov_b32 v3, v11
	s_add_u32 s8, s8, s18
	s_addc_u32 s9, s9, s19
	s_or_b32 s23, vcc_lo, s23
	s_waitcnt vmcnt(0)
	s_waitcnt_vscnt null, 0x0
	s_barrier
	buffer_gl0_inv
	s_and_not1_b32 exec_lo, exec_lo, s23
	s_cbranch_execz .LBB39_34
.LBB39_8:                               ; =>This Inner Loop Header: Depth=1
	v_add_co_u32 v47, vcc_lo, v47, 1
	s_delay_alu instid0(VALU_DEP_1) | instskip(SKIP_2) | instid1(VALU_DEP_1)
	v_cndmask_b32_e64 v8, 0, 1, vcc_lo
	v_add_co_ci_u32_e32 v48, vcc_lo, 0, v48, vcc_lo
	s_mov_b32 s0, exec_lo
	v_cmp_eq_u32_e32 vcc_lo, 0, v48
	s_delay_alu instid0(VALU_DEP_3) | instskip(NEXT) | instid1(VALU_DEP_1)
	v_cndmask_b32_e32 v8, 0, v8, vcc_lo
	v_add_nc_u32_e32 v17, v8, v17
	s_delay_alu instid0(VALU_DEP_1) | instskip(SKIP_2) | instid1(VALU_DEP_2)
	v_cmp_eq_u32_e32 vcc_lo, 0, v17
	v_cndmask_b32_e32 v8, 0, v8, vcc_lo
	v_mad_u64_u32 v[10:11], null, 0xcd9e8d57, v17, 0
	v_add_nc_u32_e32 v18, v8, v18
	v_mad_u64_u32 v[8:9], null, 0xd2511f53, v47, 0
	s_delay_alu instid0(VALU_DEP_3) | instskip(NEXT) | instid1(VALU_DEP_2)
	v_xor3_b32 v13, v11, v15, v48
	v_xor_b32_e32 v9, v9, v16
	s_delay_alu instid0(VALU_DEP_2) | instskip(NEXT) | instid1(VALU_DEP_2)
	v_mad_u64_u32 v[11:12], null, 0xd2511f53, v13, 0
	v_xor_b32_e32 v9, v18, v9
	s_delay_alu instid0(VALU_DEP_2) | instskip(NEXT) | instid1(VALU_DEP_2)
	v_xor3_b32 v12, v49, v12, v8
	v_mad_u64_u32 v[13:14], null, 0xcd9e8d57, v9, 0
	s_delay_alu instid0(VALU_DEP_2) | instskip(NEXT) | instid1(VALU_DEP_2)
	v_mad_u64_u32 v[8:9], null, 0xcd9e8d57, v12, 0
	v_xor3_b32 v10, v50, v14, v10
	s_delay_alu instid0(VALU_DEP_2) | instskip(NEXT) | instid1(VALU_DEP_2)
	v_xor3_b32 v12, v51, v9, v13
	v_mad_u64_u32 v[45:46], null, 0xd2511f53, v10, 0
	s_delay_alu instid0(VALU_DEP_2) | instskip(NEXT) | instid1(VALU_DEP_2)
	v_mad_u64_u32 v[9:10], null, 0xd2511f53, v12, 0
	v_xor3_b32 v13, v52, v46, v11
	s_delay_alu instid0(VALU_DEP_2) | instskip(NEXT) | instid1(VALU_DEP_2)
	v_xor3_b32 v10, v54, v10, v45
	v_mad_u64_u32 v[11:12], null, 0xcd9e8d57, v13, 0
	s_delay_alu instid0(VALU_DEP_1) | instskip(NEXT) | instid1(VALU_DEP_3)
	v_xor3_b32 v8, v53, v12, v8
	v_mad_u64_u32 v[12:13], null, 0xcd9e8d57, v10, 0
	s_delay_alu instid0(VALU_DEP_2) | instskip(NEXT) | instid1(VALU_DEP_2)
	v_mad_u64_u32 v[45:46], null, 0xd2511f53, v8, 0
	v_xor3_b32 v10, v55, v13, v11
	s_delay_alu instid0(VALU_DEP_2) | instskip(NEXT) | instid1(VALU_DEP_2)
	v_xor3_b32 v13, v56, v46, v9
	v_mad_u64_u32 v[8:9], null, 0xd2511f53, v10, 0
	s_delay_alu instid0(VALU_DEP_2) | instskip(NEXT) | instid1(VALU_DEP_2)
	v_mad_u64_u32 v[10:11], null, 0xcd9e8d57, v13, 0
	v_xor3_b32 v9, v60, v9, v45
	s_delay_alu instid0(VALU_DEP_2) | instskip(NEXT) | instid1(VALU_DEP_2)
	;; [unrolled: 6-line block ×6, first 2 shown]
	v_xor3_b32 v8, v10, v11, v58
	v_mov_b32_e32 v10, v14
	v_cmpx_lt_i32_e32 1, v57
	s_xor_b32 s0, exec_lo, s0
	s_cbranch_execnz .LBB39_21
; %bb.9:                                ;   in Loop: Header=BB39_8 Depth=1
	s_and_not1_saveexec_b32 s0, s0
	s_cbranch_execnz .LBB39_26
.LBB39_10:                              ;   in Loop: Header=BB39_8 Depth=1
	s_or_b32 exec_lo, exec_lo, s0
	v_cmp_gt_u64_e64 s2, s[4:5], v[43:44]
	s_delay_alu instid0(VALU_DEP_1)
	s_and_saveexec_b32 s0, s2
	s_cbranch_execz .LBB39_12
.LBB39_11:                              ;   in Loop: Header=BB39_8 Depth=1
	v_add_co_u32 v11, vcc_lo, s8, v29
	v_add_co_ci_u32_e32 v12, vcc_lo, s9, v30, vcc_lo
	global_load_b32 v4, v[11:12], off
.LBB39_12:                              ;   in Loop: Header=BB39_8 Depth=1
	s_or_b32 exec_lo, exec_lo, s0
	v_add_co_u32 v11, vcc_lo, s20, v43
	v_add_co_ci_u32_e32 v12, vcc_lo, 0, v44, vcc_lo
	s_delay_alu instid0(VALU_DEP_1) | instskip(NEXT) | instid1(VALU_DEP_1)
	v_cmp_gt_u64_e64 s1, s[4:5], v[11:12]
	s_and_saveexec_b32 s0, s1
	s_cbranch_execz .LBB39_14
; %bb.13:                               ;   in Loop: Header=BB39_8 Depth=1
	v_add_co_u32 v11, vcc_lo, s8, v41
	v_add_co_ci_u32_e32 v12, vcc_lo, s9, v42, vcc_lo
	global_load_b32 v5, v[11:12], off
.LBB39_14:                              ;   in Loop: Header=BB39_8 Depth=1
	s_or_b32 exec_lo, exec_lo, s0
	v_add_co_u32 v11, vcc_lo, s24, v43
	v_add_co_ci_u32_e32 v12, vcc_lo, 0, v44, vcc_lo
	s_delay_alu instid0(VALU_DEP_1) | instskip(NEXT) | instid1(VALU_DEP_1)
	v_cmp_gt_u64_e64 s0, s[4:5], v[11:12]
	s_and_saveexec_b32 s3, s0
	s_cbranch_execz .LBB39_16
; %bb.15:                               ;   in Loop: Header=BB39_8 Depth=1
	v_add_co_u32 v11, vcc_lo, s8, v37
	v_add_co_ci_u32_e32 v12, vcc_lo, s9, v38, vcc_lo
	global_load_b32 v6, v[11:12], off
.LBB39_16:                              ;   in Loop: Header=BB39_8 Depth=1
	s_or_b32 exec_lo, exec_lo, s3
	v_add_co_u32 v11, vcc_lo, s25, v43
	v_add_co_ci_u32_e32 v12, vcc_lo, 0, v44, vcc_lo
	s_delay_alu instid0(VALU_DEP_1)
	v_cmp_gt_u64_e32 vcc_lo, s[4:5], v[11:12]
	s_and_saveexec_b32 s26, vcc_lo
	s_cbranch_execnz .LBB39_29
; %bb.17:                               ;   in Loop: Header=BB39_8 Depth=1
	s_or_b32 exec_lo, exec_lo, s26
	s_and_saveexec_b32 s26, s2
	s_cbranch_execnz .LBB39_30
.LBB39_18:                              ;   in Loop: Header=BB39_8 Depth=1
	s_or_b32 exec_lo, exec_lo, s26
	s_and_saveexec_b32 s3, s1
	s_cbranch_execnz .LBB39_31
.LBB39_19:                              ;   in Loop: Header=BB39_8 Depth=1
	s_or_b32 exec_lo, exec_lo, s3
	s_and_saveexec_b32 s2, s0
	s_cbranch_execnz .LBB39_32
.LBB39_20:                              ;   in Loop: Header=BB39_8 Depth=1
	s_or_b32 exec_lo, exec_lo, s2
	s_and_saveexec_b32 s1, vcc_lo
	s_cbranch_execz .LBB39_7
	s_branch .LBB39_33
.LBB39_21:                              ;   in Loop: Header=BB39_8 Depth=1
	s_mov_b32 s1, exec_lo
	v_cmpx_lt_i32_e32 2, v57
	s_xor_b32 s1, exec_lo, s1
; %bb.22:                               ;   in Loop: Header=BB39_8 Depth=1
	v_dual_mov_b32 v11, v3 :: v_dual_mov_b32 v12, v8
	v_mov_b32_e32 v13, v9
	s_delay_alu instid0(VALU_DEP_2) | instskip(NEXT) | instid1(VALU_DEP_2)
	v_dual_mov_b32 v0, v11 :: v_dual_mov_b32 v1, v12
	v_dual_mov_b32 v2, v13 :: v_dual_mov_b32 v3, v14
; %bb.23:                               ;   in Loop: Header=BB39_8 Depth=1
	s_and_not1_saveexec_b32 s1, s1
; %bb.24:                               ;   in Loop: Header=BB39_8 Depth=1
	s_delay_alu instid0(VALU_DEP_1)
	v_dual_mov_b32 v0, v2 :: v_dual_mov_b32 v1, v3
	v_dual_mov_b32 v2, v8 :: v_dual_mov_b32 v3, v9
; %bb.25:                               ;   in Loop: Header=BB39_8 Depth=1
	s_or_b32 exec_lo, exec_lo, s1
	s_and_not1_saveexec_b32 s0, s0
	s_cbranch_execz .LBB39_10
.LBB39_26:                              ;   in Loop: Header=BB39_8 Depth=1
	s_mov_b32 s1, exec_lo
	v_cmpx_eq_u32_e32 1, v57
; %bb.27:                               ;   in Loop: Header=BB39_8 Depth=1
	v_dual_mov_b32 v0, v1 :: v_dual_mov_b32 v1, v2
	v_dual_mov_b32 v2, v3 :: v_dual_mov_b32 v3, v8
; %bb.28:                               ;   in Loop: Header=BB39_8 Depth=1
	s_or_b32 exec_lo, exec_lo, s1
	s_delay_alu instid0(SALU_CYCLE_1) | instskip(SKIP_1) | instid1(VALU_DEP_1)
	s_or_b32 exec_lo, exec_lo, s0
	v_cmp_gt_u64_e64 s2, s[4:5], v[43:44]
	s_and_saveexec_b32 s0, s2
	s_cbranch_execnz .LBB39_11
	s_branch .LBB39_12
.LBB39_29:                              ;   in Loop: Header=BB39_8 Depth=1
	v_add_co_u32 v11, s3, s8, v33
	s_delay_alu instid0(VALU_DEP_1)
	v_add_co_ci_u32_e64 v12, s3, s9, v34, s3
	global_load_b32 v7, v[11:12], off
	s_or_b32 exec_lo, exec_lo, s26
	s_and_saveexec_b32 s26, s2
	s_cbranch_execz .LBB39_18
.LBB39_30:                              ;   in Loop: Header=BB39_8 Depth=1
	v_cvt_f32_u32_e32 v0, v0
	v_add_co_u32 v11, s3, s10, v23
	s_delay_alu instid0(VALU_DEP_1) | instskip(NEXT) | instid1(VALU_DEP_3)
	v_add_co_ci_u32_e64 v12, s3, s11, v24, s3
	v_fmaak_f32 v0, 0x2f800000, v0, 0x2f800000
	v_add_co_u32 v13, s3, s12, v19
	s_delay_alu instid0(VALU_DEP_1) | instskip(NEXT) | instid1(VALU_DEP_3)
	v_add_co_ci_u32_e64 v14, s3, s13, v20, s3
	v_cmp_gt_f32_e64 s2, s22, v0
	s_delay_alu instid0(VALU_DEP_1) | instskip(SKIP_2) | instid1(VALU_DEP_2)
	v_cndmask_b32_e64 v0, 0, 1.0, s2
	v_cndmask_b32_e64 v46, 0, 1, s2
	s_waitcnt vmcnt(0)
	v_mul_f32_e32 v0, v4, v0
	s_delay_alu instid0(VALU_DEP_1)
	v_mul_f32_e32 v0, v68, v0
	global_store_b32 v[11:12], v0, off
	global_store_b8 v[13:14], v46, off
	s_or_b32 exec_lo, exec_lo, s26
	s_and_saveexec_b32 s3, s1
	s_cbranch_execz .LBB39_19
.LBB39_31:                              ;   in Loop: Header=BB39_8 Depth=1
	v_cvt_f32_u32_e32 v0, v1
	s_delay_alu instid0(VALU_DEP_1) | instskip(NEXT) | instid1(VALU_DEP_1)
	v_fmaak_f32 v0, 0x2f800000, v0, 0x2f800000
	v_cmp_gt_f32_e64 s1, s22, v0
	v_add_co_u32 v0, s2, s10, v39
	s_delay_alu instid0(VALU_DEP_1) | instskip(NEXT) | instid1(VALU_DEP_3)
	v_add_co_ci_u32_e64 v1, s2, s11, v40, s2
	v_cndmask_b32_e64 v11, 0, 1.0, s1
	v_cndmask_b32_e64 v14, 0, 1, s1
	s_waitcnt vmcnt(0)
	s_delay_alu instid0(VALU_DEP_2) | instskip(SKIP_1) | instid1(VALU_DEP_1)
	v_mul_f32_e32 v13, v5, v11
	v_add_co_u32 v11, s2, s12, v27
	v_add_co_ci_u32_e64 v12, s2, s13, v28, s2
	s_delay_alu instid0(VALU_DEP_3)
	v_mul_f32_e32 v13, v68, v13
	global_store_b32 v[0:1], v13, off
	global_store_b8 v[11:12], v14, off
	s_or_b32 exec_lo, exec_lo, s3
	s_and_saveexec_b32 s2, s0
	s_cbranch_execz .LBB39_20
.LBB39_32:                              ;   in Loop: Header=BB39_8 Depth=1
	v_cvt_f32_u32_e32 v0, v2
	s_delay_alu instid0(VALU_DEP_1) | instskip(NEXT) | instid1(VALU_DEP_1)
	v_fmaak_f32 v0, 0x2f800000, v0, 0x2f800000
	v_cmp_gt_f32_e64 s0, s22, v0
	v_add_co_u32 v0, s1, s10, v35
	s_delay_alu instid0(VALU_DEP_1) | instskip(NEXT) | instid1(VALU_DEP_3)
	v_add_co_ci_u32_e64 v1, s1, s11, v36, s1
	v_cndmask_b32_e64 v2, 0, 1.0, s0
	v_add_co_u32 v11, s1, s12, v25
	s_delay_alu instid0(VALU_DEP_1) | instskip(SKIP_1) | instid1(VALU_DEP_3)
	v_add_co_ci_u32_e64 v12, s1, s13, v26, s1
	s_waitcnt vmcnt(0)
	v_mul_f32_e32 v2, v6, v2
	v_cndmask_b32_e64 v13, 0, 1, s0
	s_delay_alu instid0(VALU_DEP_2)
	v_mul_f32_e32 v2, v68, v2
	global_store_b32 v[0:1], v2, off
	global_store_b8 v[11:12], v13, off
	s_or_b32 exec_lo, exec_lo, s2
	s_and_saveexec_b32 s1, vcc_lo
	s_cbranch_execz .LBB39_7
.LBB39_33:                              ;   in Loop: Header=BB39_8 Depth=1
	v_cvt_f32_u32_e32 v0, v3
	s_delay_alu instid0(VALU_DEP_1) | instskip(NEXT) | instid1(VALU_DEP_1)
	v_fmaak_f32 v0, 0x2f800000, v0, 0x2f800000
	v_cmp_gt_f32_e32 vcc_lo, s22, v0
	v_add_co_u32 v0, s0, s10, v31
	s_delay_alu instid0(VALU_DEP_1) | instskip(SKIP_3) | instid1(VALU_DEP_2)
	v_add_co_ci_u32_e64 v1, s0, s11, v32, s0
	v_cndmask_b32_e64 v2, 0, 1.0, vcc_lo
	v_cndmask_b32_e64 v12, 0, 1, vcc_lo
	s_waitcnt vmcnt(0)
	v_mul_f32_e32 v11, v7, v2
	v_add_co_u32 v2, s0, s12, v21
	s_delay_alu instid0(VALU_DEP_1) | instskip(NEXT) | instid1(VALU_DEP_3)
	v_add_co_ci_u32_e64 v3, s0, s13, v22, s0
	v_mul_f32_e32 v11, v68, v11
	global_store_b32 v[0:1], v11, off
	global_store_b8 v[2:3], v12, off
	s_branch .LBB39_7
.LBB39_34:
	s_endpgm
.LBB39_35:
                                        ; implicit-def: $sgpr2_sgpr3
	s_branch .LBB39_4
	.section	.rodata,"a",@progbits
	.p2align	6, 0x0
	.amdhsa_kernel _ZN2at6native12_GLOBAL__N_120fused_dropout_kernelIffmLi1ELi1EbEEvNS_4cuda6detail10TensorInfoIKT_T1_EENS5_IS6_S8_EENS5_IT4_S8_EES8_T0_NS_15PhiloxCudaStateE
		.amdhsa_group_segment_fixed_size 0
		.amdhsa_private_segment_fixed_size 0
		.amdhsa_kernarg_size 1552
		.amdhsa_user_sgpr_count 15
		.amdhsa_user_sgpr_dispatch_ptr 0
		.amdhsa_user_sgpr_queue_ptr 0
		.amdhsa_user_sgpr_kernarg_segment_ptr 1
		.amdhsa_user_sgpr_dispatch_id 0
		.amdhsa_user_sgpr_private_segment_size 0
		.amdhsa_wavefront_size32 1
		.amdhsa_uses_dynamic_stack 0
		.amdhsa_enable_private_segment 0
		.amdhsa_system_sgpr_workgroup_id_x 1
		.amdhsa_system_sgpr_workgroup_id_y 0
		.amdhsa_system_sgpr_workgroup_id_z 0
		.amdhsa_system_sgpr_workgroup_info 0
		.amdhsa_system_vgpr_workitem_id 0
		.amdhsa_next_free_vgpr 69
		.amdhsa_next_free_sgpr 27
		.amdhsa_reserve_vcc 1
		.amdhsa_float_round_mode_32 0
		.amdhsa_float_round_mode_16_64 0
		.amdhsa_float_denorm_mode_32 3
		.amdhsa_float_denorm_mode_16_64 3
		.amdhsa_dx10_clamp 1
		.amdhsa_ieee_mode 1
		.amdhsa_fp16_overflow 0
		.amdhsa_workgroup_processor_mode 1
		.amdhsa_memory_ordered 1
		.amdhsa_forward_progress 0
		.amdhsa_shared_vgpr_count 0
		.amdhsa_exception_fp_ieee_invalid_op 0
		.amdhsa_exception_fp_denorm_src 0
		.amdhsa_exception_fp_ieee_div_zero 0
		.amdhsa_exception_fp_ieee_overflow 0
		.amdhsa_exception_fp_ieee_underflow 0
		.amdhsa_exception_fp_ieee_inexact 0
		.amdhsa_exception_int_div_zero 0
	.end_amdhsa_kernel
	.section	.text._ZN2at6native12_GLOBAL__N_120fused_dropout_kernelIffmLi1ELi1EbEEvNS_4cuda6detail10TensorInfoIKT_T1_EENS5_IS6_S8_EENS5_IT4_S8_EES8_T0_NS_15PhiloxCudaStateE,"axG",@progbits,_ZN2at6native12_GLOBAL__N_120fused_dropout_kernelIffmLi1ELi1EbEEvNS_4cuda6detail10TensorInfoIKT_T1_EENS5_IS6_S8_EENS5_IT4_S8_EES8_T0_NS_15PhiloxCudaStateE,comdat
.Lfunc_end39:
	.size	_ZN2at6native12_GLOBAL__N_120fused_dropout_kernelIffmLi1ELi1EbEEvNS_4cuda6detail10TensorInfoIKT_T1_EENS5_IS6_S8_EENS5_IT4_S8_EES8_T0_NS_15PhiloxCudaStateE, .Lfunc_end39-_ZN2at6native12_GLOBAL__N_120fused_dropout_kernelIffmLi1ELi1EbEEvNS_4cuda6detail10TensorInfoIKT_T1_EENS5_IS6_S8_EENS5_IT4_S8_EES8_T0_NS_15PhiloxCudaStateE
                                        ; -- End function
	.section	.AMDGPU.csdata,"",@progbits
; Kernel info:
; codeLenInByte = 3688
; NumSgprs: 29
; NumVgprs: 69
; ScratchSize: 0
; MemoryBound: 0
; FloatMode: 240
; IeeeMode: 1
; LDSByteSize: 0 bytes/workgroup (compile time only)
; SGPRBlocks: 3
; VGPRBlocks: 8
; NumSGPRsForWavesPerEU: 29
; NumVGPRsForWavesPerEU: 69
; Occupancy: 16
; WaveLimiterHint : 1
; COMPUTE_PGM_RSRC2:SCRATCH_EN: 0
; COMPUTE_PGM_RSRC2:USER_SGPR: 15
; COMPUTE_PGM_RSRC2:TRAP_HANDLER: 0
; COMPUTE_PGM_RSRC2:TGID_X_EN: 1
; COMPUTE_PGM_RSRC2:TGID_Y_EN: 0
; COMPUTE_PGM_RSRC2:TGID_Z_EN: 0
; COMPUTE_PGM_RSRC2:TIDIG_COMP_CNT: 0
	.section	.text._ZN2at6native12_GLOBAL__N_120fused_dropout_kernelIffmLin1ELi1EbEEvNS_4cuda6detail10TensorInfoIKT_T1_EENS5_IS6_S8_EENS5_IT4_S8_EES8_T0_NS_15PhiloxCudaStateE,"axG",@progbits,_ZN2at6native12_GLOBAL__N_120fused_dropout_kernelIffmLin1ELi1EbEEvNS_4cuda6detail10TensorInfoIKT_T1_EENS5_IS6_S8_EENS5_IT4_S8_EES8_T0_NS_15PhiloxCudaStateE,comdat
	.globl	_ZN2at6native12_GLOBAL__N_120fused_dropout_kernelIffmLin1ELi1EbEEvNS_4cuda6detail10TensorInfoIKT_T1_EENS5_IS6_S8_EENS5_IT4_S8_EES8_T0_NS_15PhiloxCudaStateE ; -- Begin function _ZN2at6native12_GLOBAL__N_120fused_dropout_kernelIffmLin1ELi1EbEEvNS_4cuda6detail10TensorInfoIKT_T1_EENS5_IS6_S8_EENS5_IT4_S8_EES8_T0_NS_15PhiloxCudaStateE
	.p2align	8
	.type	_ZN2at6native12_GLOBAL__N_120fused_dropout_kernelIffmLin1ELi1EbEEvNS_4cuda6detail10TensorInfoIKT_T1_EENS5_IS6_S8_EENS5_IT4_S8_EES8_T0_NS_15PhiloxCudaStateE,@function
_ZN2at6native12_GLOBAL__N_120fused_dropout_kernelIffmLin1ELi1EbEEvNS_4cuda6detail10TensorInfoIKT_T1_EENS5_IS6_S8_EENS5_IT4_S8_EES8_T0_NS_15PhiloxCudaStateE: ; @_ZN2at6native12_GLOBAL__N_120fused_dropout_kernelIffmLin1ELi1EbEEvNS_4cuda6detail10TensorInfoIKT_T1_EENS5_IS6_S8_EENS5_IT4_S8_EES8_T0_NS_15PhiloxCudaStateE
; %bb.0:
	s_clause 0x1
	s_load_b128 s[4:7], s[0:1], 0x4f0
	s_load_b32 s2, s[0:1], 0x508
	s_waitcnt lgkmcnt(0)
	v_dual_mov_b32 v1, s6 :: v_dual_mov_b32 v2, s7
	v_dual_mov_b32 v16, s5 :: v_dual_mov_b32 v15, s4
	s_bitcmp0_b32 s2, 0
	s_mov_b32 s2, 0
	s_cbranch_scc1 .LBB40_2
; %bb.1:
	v_dual_mov_b32 v1, s6 :: v_dual_mov_b32 v2, s7
	v_dual_mov_b32 v3, s4 :: v_dual_mov_b32 v4, s5
	s_load_b64 s[4:5], s[0:1], 0x500
	flat_load_b64 v[1:2], v[1:2]
	flat_load_b64 v[15:16], v[3:4]
	s_waitcnt vmcnt(1) lgkmcnt(0)
	v_add_co_u32 v1, vcc_lo, v1, s4
	v_add_co_ci_u32_e32 v2, vcc_lo, s5, v2, vcc_lo
.LBB40_2:
	s_clause 0x2
	s_load_b32 s3, s[0:1], 0x51c
	s_load_b64 s[6:7], s[0:1], 0x4e0
	s_load_b32 s4, s[0:1], 0x510
	s_waitcnt lgkmcnt(0)
	s_and_b32 s5, s3, 0xffff
	s_add_u32 s8, s6, -1
	s_mul_i32 s26, s4, s5
	s_addc_u32 s3, s7, -1
	s_lshl_b32 s27, s26, 2
	s_cmp_lg_u64 s[2:3], 0
	s_cbranch_scc0 .LBB40_63
; %bb.3:
	v_cvt_f32_u32_e32 v3, s27
	s_sub_u32 s10, 0, s27
	s_subb_u32 s11, 0, 0
	s_delay_alu instid0(VALU_DEP_1) | instskip(NEXT) | instid1(VALU_DEP_1)
	v_fmamk_f32 v3, 0, 0x4f800000, v3
	v_rcp_f32_e32 v3, v3
	s_waitcnt_depctr 0xfff
	v_mul_f32_e32 v3, 0x5f7ffffc, v3
	s_delay_alu instid0(VALU_DEP_1) | instskip(NEXT) | instid1(VALU_DEP_1)
	v_mul_f32_e32 v4, 0x2f800000, v3
	v_trunc_f32_e32 v4, v4
	s_delay_alu instid0(VALU_DEP_1) | instskip(SKIP_1) | instid1(VALU_DEP_2)
	v_fmamk_f32 v3, v4, 0xcf800000, v3
	v_cvt_u32_f32_e32 v4, v4
	v_cvt_u32_f32_e32 v3, v3
	s_delay_alu instid0(VALU_DEP_2) | instskip(NEXT) | instid1(VALU_DEP_2)
	v_readfirstlane_b32 s2, v4
	v_readfirstlane_b32 s9, v3
	s_delay_alu instid0(VALU_DEP_2) | instskip(NEXT) | instid1(VALU_DEP_1)
	s_mul_i32 s12, s10, s2
	s_mul_hi_u32 s14, s10, s9
	s_mul_i32 s13, s11, s9
	s_add_i32 s12, s14, s12
	s_mul_i32 s16, s10, s9
	s_add_i32 s12, s12, s13
	s_mul_hi_u32 s14, s9, s16
	s_mul_hi_u32 s17, s2, s16
	s_mul_i32 s13, s2, s16
	s_mul_hi_u32 s16, s9, s12
	s_mul_i32 s9, s9, s12
	s_mul_hi_u32 s18, s2, s12
	s_add_u32 s9, s14, s9
	s_addc_u32 s14, 0, s16
	s_add_u32 s9, s9, s13
	s_mul_i32 s12, s2, s12
	s_addc_u32 s9, s14, s17
	s_addc_u32 s13, s18, 0
	s_add_u32 s9, s9, s12
	s_addc_u32 s12, 0, s13
	v_add_co_u32 v3, s9, v3, s9
	s_delay_alu instid0(VALU_DEP_1) | instskip(SKIP_1) | instid1(VALU_DEP_1)
	s_cmp_lg_u32 s9, 0
	s_addc_u32 s2, s2, s12
	v_readfirstlane_b32 s9, v3
	s_mul_i32 s12, s10, s2
	s_delay_alu instid0(VALU_DEP_1)
	s_mul_hi_u32 s13, s10, s9
	s_mul_i32 s11, s11, s9
	s_add_i32 s12, s13, s12
	s_mul_i32 s10, s10, s9
	s_add_i32 s12, s12, s11
	s_mul_hi_u32 s13, s2, s10
	s_mul_i32 s14, s2, s10
	s_mul_hi_u32 s10, s9, s10
	s_mul_hi_u32 s16, s9, s12
	s_mul_i32 s9, s9, s12
	s_mul_hi_u32 s11, s2, s12
	s_add_u32 s9, s10, s9
	s_addc_u32 s10, 0, s16
	s_add_u32 s9, s9, s14
	s_mul_i32 s12, s2, s12
	s_addc_u32 s9, s10, s13
	s_addc_u32 s10, s11, 0
	s_add_u32 s9, s9, s12
	s_addc_u32 s10, 0, s10
	v_add_co_u32 v3, s9, v3, s9
	s_delay_alu instid0(VALU_DEP_1) | instskip(SKIP_1) | instid1(VALU_DEP_1)
	s_cmp_lg_u32 s9, 0
	s_addc_u32 s2, s2, s10
	v_readfirstlane_b32 s9, v3
	s_mul_i32 s11, s8, s2
	s_mul_hi_u32 s10, s8, s2
	s_mul_hi_u32 s12, s3, s2
	s_mul_i32 s2, s3, s2
	s_mul_hi_u32 s13, s8, s9
	s_mul_hi_u32 s14, s3, s9
	s_mul_i32 s9, s3, s9
	s_add_u32 s11, s13, s11
	s_addc_u32 s10, 0, s10
	s_add_u32 s9, s11, s9
	s_addc_u32 s9, s10, s14
	s_addc_u32 s10, s12, 0
	s_add_u32 s2, s9, s2
	s_addc_u32 s10, 0, s10
	s_mul_i32 s11, s27, s2
	s_add_u32 s9, s2, 1
	v_sub_co_u32 v3, s11, s8, s11
	s_mul_hi_u32 s12, s27, s2
	s_addc_u32 s13, s10, 0
	s_mul_i32 s14, s27, s10
	s_delay_alu instid0(VALU_DEP_1)
	v_sub_co_u32 v4, s16, v3, s27
	s_add_u32 s17, s2, 2
	s_addc_u32 s18, s10, 0
	s_add_i32 s12, s12, s14
	s_cmp_lg_u32 s11, 0
	v_readfirstlane_b32 s11, v4
	s_subb_u32 s3, s3, s12
	s_cmp_lg_u32 s16, 0
	s_subb_u32 s12, s3, 0
	s_delay_alu instid0(VALU_DEP_1) | instskip(SKIP_4) | instid1(SALU_CYCLE_1)
	s_cmp_ge_u32 s11, s27
	s_cselect_b32 s11, -1, 0
	s_cmp_eq_u32 s12, 0
	v_readfirstlane_b32 s12, v3
	s_cselect_b32 s11, s11, -1
	s_cmp_lg_u32 s11, 0
	s_cselect_b32 s11, s17, s9
	s_cselect_b32 s13, s18, s13
	s_cmp_ge_u32 s12, s27
	s_cselect_b32 s9, -1, 0
	s_cmp_eq_u32 s3, 0
	s_cselect_b32 s3, s9, -1
	s_delay_alu instid0(SALU_CYCLE_1)
	s_cmp_lg_u32 s3, 0
	s_cselect_b32 s3, s13, s10
	s_cselect_b32 s2, s11, s2
	s_cbranch_execnz .LBB40_5
.LBB40_4:
	v_cvt_f32_u32_e32 v3, s27
	s_sub_i32 s3, 0, s27
	s_delay_alu instid0(VALU_DEP_1) | instskip(SKIP_2) | instid1(VALU_DEP_1)
	v_rcp_iflag_f32_e32 v3, v3
	s_waitcnt_depctr 0xfff
	v_mul_f32_e32 v3, 0x4f7ffffe, v3
	v_cvt_u32_f32_e32 v3, v3
	s_delay_alu instid0(VALU_DEP_1) | instskip(NEXT) | instid1(VALU_DEP_1)
	v_readfirstlane_b32 s2, v3
	s_mul_i32 s3, s3, s2
	s_delay_alu instid0(SALU_CYCLE_1) | instskip(NEXT) | instid1(SALU_CYCLE_1)
	s_mul_hi_u32 s3, s2, s3
	s_add_i32 s2, s2, s3
	s_delay_alu instid0(SALU_CYCLE_1) | instskip(NEXT) | instid1(SALU_CYCLE_1)
	s_mul_hi_u32 s2, s8, s2
	s_mul_i32 s3, s2, s27
	s_delay_alu instid0(SALU_CYCLE_1)
	s_sub_i32 s3, s8, s3
	s_add_i32 s8, s2, 1
	s_sub_i32 s9, s3, s27
	s_cmp_ge_u32 s3, s27
	s_cselect_b32 s2, s8, s2
	s_cselect_b32 s3, s9, s3
	s_add_i32 s8, s2, 1
	s_cmp_ge_u32 s3, s27
	s_mov_b32 s3, 0
	s_cselect_b32 s2, s8, s2
.LBB40_5:
	s_delay_alu instid0(SALU_CYCLE_1)
	s_add_u32 s2, s2, 1
	s_addc_u32 s3, s3, 0
	v_mov_b32_e32 v19, 0
	v_mad_u64_u32 v[17:18], null, s15, s5, v[0:1]
	s_mul_i32 s3, s26, s3
	s_mul_hi_u32 s8, s26, s2
	s_mul_hi_u32 s4, s4, s5
	s_add_i32 s3, s8, s3
	s_mul_i32 s4, s4, s2
	v_mov_b32_e32 v18, v19
	s_add_i32 s3, s3, s4
	s_mul_i32 s2, s26, s2
	s_delay_alu instid0(SALU_CYCLE_1)
	s_lshl_b64 s[8:9], s[2:3], 2
	s_mov_b32 s2, exec_lo
	v_cmpx_gt_u64_e64 s[8:9], v[17:18]
	s_cbranch_execz .LBB40_62
; %bb.6:
	v_alignbit_b32 v32, v2, v1, 2
	v_mad_u64_u32 v[3:4], null, 0xcd9e8d57, v17, 0
	v_lshrrev_b32_e32 v33, 2, v2
	s_waitcnt vmcnt(0)
	v_dual_mov_b32 v10, v16 :: v_dual_add_nc_u32 v41, 0x8ff34781, v15
	v_mad_u64_u32 v[5:6], null, 0xd2511f53, v32, 0
	v_add_co_u32 v35, null, 0x9e3779b9, v15
	v_xor3_b32 v0, v15, v4, v33
	s_delay_alu instid0(VALU_DEP_4) | instskip(SKIP_2) | instid1(VALU_DEP_4)
	v_add_co_u32 v34, null, 0xbb67ae85, v10
	v_add_co_u32 v36, null, 0x3c6ef372, v15
	v_xor_b32_e32 v2, v6, v16
	v_mad_u64_u32 v[6:7], null, 0xd2511f53, v0, 0
	v_add_co_u32 v37, null, 0x76cf5d0a, v10
	s_delay_alu instid0(VALU_DEP_3)
	v_mad_u64_u32 v[8:9], null, 0xcd9e8d57, v2, 0
	s_clause 0x2
	s_load_b64 s[10:11], s[0:1], 0x270
	s_load_b64 s[12:13], s[0:1], 0x340
	s_load_b32 s28, s[0:1], 0x4e8
	v_add_co_u32 v38, null, 0xdaa66d2b, v15
	v_xor3_b32 v0, v34, v7, v5
	v_add_co_u32 v39, null, 0x32370b8f, v10
	v_xor3_b32 v7, v9, v35, v3
	v_add_co_u32 v42, null, 0x78dde6e4, v15
	s_delay_alu instid0(VALU_DEP_4) | instskip(NEXT) | instid1(VALU_DEP_3)
	v_mad_u64_u32 v[2:3], null, 0xcd9e8d57, v0, 0
	v_mad_u64_u32 v[4:5], null, 0xd2511f53, v7, 0
	v_add_co_u32 v43, null, 0xed9eba14, v10
	v_add_co_u32 v46, null, 0xa9066899, v10
	s_delay_alu instid0(VALU_DEP_4)
	v_xor3_b32 v0, v36, v3, v8
	v_add_co_u32 v47, null, 0x1715609d, v15
	v_xor3_b32 v3, v5, v37, v6
	s_waitcnt lgkmcnt(0)
	v_div_scale_f32 v13, vcc_lo, 1.0, s28, 1.0
	v_mad_u64_u32 v[5:6], null, 0xd2511f53, v0, 0
	s_delay_alu instid0(VALU_DEP_3)
	v_mad_u64_u32 v[7:8], null, 0xcd9e8d57, v3, 0
	v_and_b32_e32 v40, 3, v1
	v_div_scale_f32 v11, null, s28, s28, 1.0
	v_add_co_u32 v45, null, 0xb54cda56, v15
	v_xor3_b32 v3, v39, v6, v4
	v_xor3_b32 v4, v8, v38, v2
	s_delay_alu instid0(VALU_DEP_4) | instskip(SKIP_1) | instid1(VALU_DEP_3)
	v_rcp_f32_e32 v12, v11
	v_add_co_u32 v50, null, 0x646e171e, v10
	v_mad_u64_u32 v[0:1], null, 0xcd9e8d57, v3, 0
	s_delay_alu instid0(VALU_DEP_3) | instskip(SKIP_2) | instid1(VALU_DEP_4)
	v_mad_u64_u32 v[2:3], null, 0xd2511f53, v4, 0
	v_add_co_u32 v48, null, 0x5384540f, v15
	v_add_co_u32 v51, null, 0x1fd5c5a3, v10
	v_xor3_b32 v1, v42, v1, v7
	s_clause 0x1
	s_load_b64 s[14:15], s[0:1], 0x1a0
	s_load_b32 s20, s[0:1], 0x198
	s_delay_alu instid0(VALU_DEP_4) | instskip(SKIP_2) | instid1(VALU_DEP_3)
	v_xor3_b32 v7, v3, v43, v5
	v_dual_mov_b32 v22, v18 :: v_dual_mov_b32 v53, 0
	v_mad_u64_u32 v[3:4], null, 0xd2511f53, v1, 0
	v_mad_u64_u32 v[5:6], null, 0xcd9e8d57, v7, 0
	v_dual_mov_b32 v21, v17 :: v_dual_add_nc_u32 v44, 0x96a522ad, v16
	v_add_co_u32 v49, null, 0xf1bbcdc8, v15
	s_delay_alu instid0(VALU_DEP_4)
	v_xor3_b32 v2, v46, v4, v2
	v_add_co_u32 v18, null, 0xdb3d7428, v10
	v_xor3_b32 v4, v6, v47, v0
	s_clause 0x1
	s_load_b64 s[16:17], s[0:1], 0xd0
	s_load_b64 s[18:19], s[0:1], 0x0
	v_mad_u64_u32 v[0:1], null, 0xcd9e8d57, v2, 0
	v_fma_f32 v2, -v11, v12, 1.0
	v_mad_u64_u32 v[6:7], null, 0xd2511f53, v4, 0
	s_waitcnt lgkmcnt(0)
	s_cmp_gt_i32 s20, 1
	s_mov_b32 s5, 0
	v_fmac_f32_e32 v12, v2, v12
	s_delay_alu instid0(VALU_DEP_4)
	v_xor3_b32 v4, v45, v1, v5
	s_cselect_b32 s30, -1, 0
	s_add_i32 s4, s20, -1
	v_xor3_b32 v5, v7, v50, v3
	v_mul_f32_e32 v7, v13, v12
	v_mad_u64_u32 v[1:2], null, 0xd2511f53, v4, 0
	s_lshl_b64 s[2:3], s[4:5], 3
	s_delay_alu instid0(VALU_DEP_3) | instskip(SKIP_3) | instid1(VALU_DEP_2)
	v_mad_u64_u32 v[3:4], null, 0xcd9e8d57, v5, 0
	s_lshl_b32 s31, s26, 1
	s_add_i32 s33, s20, 1
	s_add_u32 s0, s2, s0
	v_xor3_b32 v2, v51, v2, v6
	v_fma_f32 v6, -v11, v7, v13
	s_addc_u32 s1, s3, s1
	s_delay_alu instid0(VALU_DEP_3) | instskip(SKIP_3) | instid1(VALU_DEP_3)
	v_xor3_b32 v0, v4, v48, v0
	s_add_u32 s20, s0, 8
	v_mad_u64_u32 v[4:5], null, 0xcd9e8d57, v2, 0
	v_fmac_f32_e32 v7, v6, v12
	v_mad_u64_u32 v[8:9], null, 0xd2511f53, v0, 0
	s_mul_i32 s29, s26, 3
	s_addc_u32 s21, s1, 0
	s_delay_alu instid0(VALU_DEP_3) | instskip(NEXT) | instid1(VALU_DEP_2)
	v_xor3_b32 v2, v49, v5, v3
	v_xor3_b32 v3, v9, v18, v1
	v_fma_f32 v9, -v11, v7, v13
	s_delay_alu instid0(VALU_DEP_3) | instskip(NEXT) | instid1(VALU_DEP_3)
	v_mad_u64_u32 v[0:1], null, 0xd2511f53, v2, 0
	v_mad_u64_u32 v[5:6], null, 0xcd9e8d57, v3, 0
	s_delay_alu instid0(VALU_DEP_3) | instskip(NEXT) | instid1(VALU_DEP_3)
	v_div_fmas_f32 v2, v9, v12, v7
	v_mov_b32_e32 v7, v0
	s_delay_alu instid0(VALU_DEP_2) | instskip(NEXT) | instid1(VALU_DEP_4)
	v_div_fixup_f32 v52, v2, s28, 1.0
	v_xor3_b32 v4, v4, v6, v41
	v_xor3_b32 v6, v1, v8, v44
                                        ; implicit-def: $vgpr0_vgpr1_vgpr2_vgpr3
	s_branch .LBB40_8
.LBB40_7:                               ;   in Loop: Header=BB40_8 Depth=1
	s_or_b32 exec_lo, exec_lo, s1
	v_add_co_u32 v21, vcc_lo, v21, s27
	v_add_co_ci_u32_e32 v22, vcc_lo, 0, v22, vcc_lo
	v_mov_b32_e32 v11, v23
	v_dual_mov_b32 v4, v8 :: v_dual_mov_b32 v5, v9
	s_delay_alu instid0(VALU_DEP_3) | instskip(NEXT) | instid1(VALU_DEP_3)
	v_cmp_le_u64_e32 vcc_lo, s[8:9], v[21:22]
	v_dual_mov_b32 v6, v10 :: v_dual_mov_b32 v7, v11
	s_waitcnt vmcnt(0)
	s_waitcnt_vscnt null, 0x0
	s_barrier
	buffer_gl0_inv
	s_or_b32 s5, vcc_lo, s5
	s_delay_alu instid0(SALU_CYCLE_1)
	s_and_not1_b32 exec_lo, exec_lo, s5
	s_cbranch_execz .LBB40_62
.LBB40_8:                               ; =>This Loop Header: Depth=1
                                        ;     Child Loop BB40_20 Depth 2
                                        ;     Child Loop BB40_29 Depth 2
	;; [unrolled: 1-line block ×4, first 2 shown]
	v_add_co_u32 v32, vcc_lo, v32, 1
	s_delay_alu instid0(VALU_DEP_1) | instskip(SKIP_2) | instid1(VALU_DEP_1)
	v_cndmask_b32_e64 v8, 0, 1, vcc_lo
	v_add_co_ci_u32_e32 v33, vcc_lo, 0, v33, vcc_lo
	s_mov_b32 s0, exec_lo
	v_cmp_eq_u32_e32 vcc_lo, 0, v33
	s_delay_alu instid0(VALU_DEP_3) | instskip(NEXT) | instid1(VALU_DEP_1)
	v_cndmask_b32_e32 v8, 0, v8, vcc_lo
	v_add_nc_u32_e32 v17, v8, v17
	s_delay_alu instid0(VALU_DEP_1) | instskip(SKIP_2) | instid1(VALU_DEP_2)
	v_cmp_eq_u32_e32 vcc_lo, 0, v17
	v_cndmask_b32_e32 v8, 0, v8, vcc_lo
	v_mad_u64_u32 v[10:11], null, 0xcd9e8d57, v17, 0
	v_add_nc_u32_e32 v53, v8, v53
	v_mad_u64_u32 v[8:9], null, 0xd2511f53, v32, 0
	s_delay_alu instid0(VALU_DEP_3) | instskip(NEXT) | instid1(VALU_DEP_2)
	v_xor3_b32 v13, v11, v15, v33
	v_xor_b32_e32 v9, v9, v16
	s_delay_alu instid0(VALU_DEP_2) | instskip(NEXT) | instid1(VALU_DEP_2)
	v_mad_u64_u32 v[11:12], null, 0xd2511f53, v13, 0
	v_xor_b32_e32 v9, v53, v9
	s_delay_alu instid0(VALU_DEP_2) | instskip(NEXT) | instid1(VALU_DEP_2)
	v_xor3_b32 v12, v34, v12, v8
	v_mad_u64_u32 v[13:14], null, 0xcd9e8d57, v9, 0
	s_delay_alu instid0(VALU_DEP_2) | instskip(NEXT) | instid1(VALU_DEP_2)
	v_mad_u64_u32 v[8:9], null, 0xcd9e8d57, v12, 0
	v_xor3_b32 v10, v35, v14, v10
	s_delay_alu instid0(VALU_DEP_2) | instskip(NEXT) | instid1(VALU_DEP_2)
	v_xor3_b32 v12, v36, v9, v13
	v_mad_u64_u32 v[23:24], null, 0xd2511f53, v10, 0
	s_delay_alu instid0(VALU_DEP_2) | instskip(NEXT) | instid1(VALU_DEP_2)
	v_mad_u64_u32 v[9:10], null, 0xd2511f53, v12, 0
	v_xor3_b32 v13, v37, v24, v11
	s_delay_alu instid0(VALU_DEP_2) | instskip(NEXT) | instid1(VALU_DEP_2)
	v_xor3_b32 v10, v39, v10, v23
	v_mad_u64_u32 v[11:12], null, 0xcd9e8d57, v13, 0
	s_delay_alu instid0(VALU_DEP_1) | instskip(NEXT) | instid1(VALU_DEP_3)
	v_xor3_b32 v8, v38, v12, v8
	v_mad_u64_u32 v[12:13], null, 0xcd9e8d57, v10, 0
	s_delay_alu instid0(VALU_DEP_2) | instskip(NEXT) | instid1(VALU_DEP_2)
	v_mad_u64_u32 v[23:24], null, 0xd2511f53, v8, 0
	v_xor3_b32 v10, v42, v13, v11
	s_delay_alu instid0(VALU_DEP_2) | instskip(NEXT) | instid1(VALU_DEP_2)
	v_xor3_b32 v13, v43, v24, v9
	v_mad_u64_u32 v[8:9], null, 0xd2511f53, v10, 0
	s_delay_alu instid0(VALU_DEP_2) | instskip(NEXT) | instid1(VALU_DEP_2)
	v_mad_u64_u32 v[10:11], null, 0xcd9e8d57, v13, 0
	v_xor3_b32 v9, v46, v9, v23
	s_delay_alu instid0(VALU_DEP_2) | instskip(NEXT) | instid1(VALU_DEP_2)
	;; [unrolled: 6-line block ×6, first 2 shown]
	v_xor3_b32 v8, v10, v11, v41
	v_mov_b32_e32 v10, v14
	v_cmpx_lt_i32_e32 1, v40
	s_xor_b32 s0, exec_lo, s0
	s_cbranch_execnz .LBB40_11
; %bb.9:                                ;   in Loop: Header=BB40_8 Depth=1
	s_and_not1_saveexec_b32 s0, s0
	s_cbranch_execnz .LBB40_16
.LBB40_10:                              ;   in Loop: Header=BB40_8 Depth=1
	s_or_b32 exec_lo, exec_lo, s0
	v_cmp_gt_u64_e64 s0, s[6:7], v[21:22]
	s_delay_alu instid0(VALU_DEP_1)
	s_and_saveexec_b32 s4, s0
	s_cbranch_execnz .LBB40_19
	s_branch .LBB40_27
.LBB40_11:                              ;   in Loop: Header=BB40_8 Depth=1
	s_mov_b32 s1, exec_lo
	v_cmpx_lt_i32_e32 2, v40
	s_xor_b32 s1, exec_lo, s1
; %bb.12:                               ;   in Loop: Header=BB40_8 Depth=1
	v_dual_mov_b32 v11, v7 :: v_dual_mov_b32 v12, v8
	v_mov_b32_e32 v13, v9
	s_delay_alu instid0(VALU_DEP_2) | instskip(NEXT) | instid1(VALU_DEP_2)
	v_dual_mov_b32 v4, v11 :: v_dual_mov_b32 v5, v12
	v_dual_mov_b32 v6, v13 :: v_dual_mov_b32 v7, v14
; %bb.13:                               ;   in Loop: Header=BB40_8 Depth=1
	s_and_not1_saveexec_b32 s1, s1
; %bb.14:                               ;   in Loop: Header=BB40_8 Depth=1
	s_delay_alu instid0(VALU_DEP_1)
	v_dual_mov_b32 v4, v6 :: v_dual_mov_b32 v5, v7
	v_dual_mov_b32 v6, v8 :: v_dual_mov_b32 v7, v9
; %bb.15:                               ;   in Loop: Header=BB40_8 Depth=1
	s_or_b32 exec_lo, exec_lo, s1
	s_and_not1_saveexec_b32 s0, s0
	s_cbranch_execz .LBB40_10
.LBB40_16:                              ;   in Loop: Header=BB40_8 Depth=1
	s_mov_b32 s1, exec_lo
	v_cmpx_eq_u32_e32 1, v40
; %bb.17:                               ;   in Loop: Header=BB40_8 Depth=1
	v_dual_mov_b32 v4, v5 :: v_dual_mov_b32 v5, v6
	v_dual_mov_b32 v6, v7 :: v_dual_mov_b32 v7, v8
; %bb.18:                               ;   in Loop: Header=BB40_8 Depth=1
	s_or_b32 exec_lo, exec_lo, s1
	s_delay_alu instid0(SALU_CYCLE_1) | instskip(SKIP_1) | instid1(VALU_DEP_1)
	s_or_b32 exec_lo, exec_lo, s0
	v_cmp_gt_u64_e64 s0, s[6:7], v[21:22]
	s_and_saveexec_b32 s4, s0
	s_cbranch_execz .LBB40_27
.LBB40_19:                              ;   in Loop: Header=BB40_8 Depth=1
	v_mov_b32_e32 v11, 0
	v_dual_mov_b32 v12, 0 :: v_dual_mov_b32 v13, v21
	v_mov_b32_e32 v14, v22
	v_dual_mov_b32 v25, v22 :: v_dual_mov_b32 v24, v21
	s_and_not1_b32 vcc_lo, exec_lo, s30
	s_mov_b64 s[2:3], s[20:21]
	s_mov_b32 s24, s33
	s_cbranch_vccnz .LBB40_26
.LBB40_20:                              ;   Parent Loop BB40_8 Depth=1
                                        ; =>  This Inner Loop Header: Depth=2
	s_load_b64 s[22:23], s[2:3], 0x0
                                        ; implicit-def: $vgpr24_vgpr25
	s_mov_b32 s1, exec_lo
	s_waitcnt lgkmcnt(0)
	v_or_b32_e32 v20, s23, v14
	s_delay_alu instid0(VALU_DEP_1)
	v_cmpx_ne_u64_e32 0, v[19:20]
	s_xor_b32 s25, exec_lo, s1
	s_cbranch_execz .LBB40_22
; %bb.21:                               ;   in Loop: Header=BB40_20 Depth=2
	v_cvt_f32_u32_e32 v0, s22
	v_cvt_f32_u32_e32 v20, s23
	s_sub_u32 s1, 0, s22
	s_subb_u32 s34, 0, s23
	s_delay_alu instid0(VALU_DEP_1) | instskip(NEXT) | instid1(VALU_DEP_1)
	v_fmac_f32_e32 v0, 0x4f800000, v20
	v_rcp_f32_e32 v0, v0
	s_waitcnt_depctr 0xfff
	v_mul_f32_e32 v0, 0x5f7ffffc, v0
	s_delay_alu instid0(VALU_DEP_1) | instskip(NEXT) | instid1(VALU_DEP_1)
	v_mul_f32_e32 v20, 0x2f800000, v0
	v_trunc_f32_e32 v20, v20
	s_delay_alu instid0(VALU_DEP_1) | instskip(SKIP_1) | instid1(VALU_DEP_2)
	v_fmac_f32_e32 v0, 0xcf800000, v20
	v_cvt_u32_f32_e32 v20, v20
	v_cvt_u32_f32_e32 v0, v0
	s_delay_alu instid0(VALU_DEP_2) | instskip(NEXT) | instid1(VALU_DEP_2)
	v_mul_lo_u32 v24, s1, v20
	v_mul_hi_u32 v25, s1, v0
	v_mul_lo_u32 v26, s34, v0
	s_delay_alu instid0(VALU_DEP_2) | instskip(SKIP_1) | instid1(VALU_DEP_2)
	v_add_nc_u32_e32 v24, v25, v24
	v_mul_lo_u32 v25, s1, v0
	v_add_nc_u32_e32 v24, v24, v26
	s_delay_alu instid0(VALU_DEP_2) | instskip(NEXT) | instid1(VALU_DEP_2)
	v_mul_hi_u32 v26, v0, v25
	v_mul_lo_u32 v27, v0, v24
	v_mul_hi_u32 v28, v0, v24
	v_mul_hi_u32 v29, v20, v25
	v_mul_lo_u32 v25, v20, v25
	v_mul_hi_u32 v30, v20, v24
	v_mul_lo_u32 v24, v20, v24
	v_add_co_u32 v26, vcc_lo, v26, v27
	v_add_co_ci_u32_e32 v27, vcc_lo, 0, v28, vcc_lo
	s_delay_alu instid0(VALU_DEP_2) | instskip(NEXT) | instid1(VALU_DEP_2)
	v_add_co_u32 v25, vcc_lo, v26, v25
	v_add_co_ci_u32_e32 v25, vcc_lo, v27, v29, vcc_lo
	v_add_co_ci_u32_e32 v26, vcc_lo, 0, v30, vcc_lo
	s_delay_alu instid0(VALU_DEP_2) | instskip(NEXT) | instid1(VALU_DEP_2)
	v_add_co_u32 v24, vcc_lo, v25, v24
	v_add_co_ci_u32_e32 v25, vcc_lo, 0, v26, vcc_lo
	s_delay_alu instid0(VALU_DEP_2) | instskip(NEXT) | instid1(VALU_DEP_2)
	v_add_co_u32 v0, vcc_lo, v0, v24
	v_add_co_ci_u32_e32 v20, vcc_lo, v20, v25, vcc_lo
	s_delay_alu instid0(VALU_DEP_2) | instskip(SKIP_1) | instid1(VALU_DEP_3)
	v_mul_hi_u32 v24, s1, v0
	v_mul_lo_u32 v26, s34, v0
	v_mul_lo_u32 v25, s1, v20
	s_delay_alu instid0(VALU_DEP_1) | instskip(SKIP_1) | instid1(VALU_DEP_2)
	v_add_nc_u32_e32 v24, v24, v25
	v_mul_lo_u32 v25, s1, v0
	v_add_nc_u32_e32 v24, v24, v26
	s_delay_alu instid0(VALU_DEP_2) | instskip(NEXT) | instid1(VALU_DEP_2)
	v_mul_hi_u32 v26, v0, v25
	v_mul_lo_u32 v27, v0, v24
	v_mul_hi_u32 v28, v0, v24
	v_mul_hi_u32 v29, v20, v25
	v_mul_lo_u32 v25, v20, v25
	v_mul_hi_u32 v30, v20, v24
	v_mul_lo_u32 v24, v20, v24
	v_add_co_u32 v26, vcc_lo, v26, v27
	v_add_co_ci_u32_e32 v27, vcc_lo, 0, v28, vcc_lo
	s_delay_alu instid0(VALU_DEP_2) | instskip(NEXT) | instid1(VALU_DEP_2)
	v_add_co_u32 v25, vcc_lo, v26, v25
	v_add_co_ci_u32_e32 v25, vcc_lo, v27, v29, vcc_lo
	v_add_co_ci_u32_e32 v26, vcc_lo, 0, v30, vcc_lo
	s_delay_alu instid0(VALU_DEP_2) | instskip(NEXT) | instid1(VALU_DEP_2)
	v_add_co_u32 v24, vcc_lo, v25, v24
	v_add_co_ci_u32_e32 v25, vcc_lo, 0, v26, vcc_lo
	s_delay_alu instid0(VALU_DEP_2) | instskip(NEXT) | instid1(VALU_DEP_2)
	v_add_co_u32 v0, vcc_lo, v0, v24
	v_add_co_ci_u32_e32 v20, vcc_lo, v20, v25, vcc_lo
	s_delay_alu instid0(VALU_DEP_2) | instskip(SKIP_1) | instid1(VALU_DEP_3)
	v_mul_hi_u32 v30, v13, v0
	v_mad_u64_u32 v[26:27], null, v14, v0, 0
	v_mad_u64_u32 v[24:25], null, v13, v20, 0
	;; [unrolled: 1-line block ×3, first 2 shown]
	s_delay_alu instid0(VALU_DEP_2) | instskip(NEXT) | instid1(VALU_DEP_3)
	v_add_co_u32 v0, vcc_lo, v30, v24
	v_add_co_ci_u32_e32 v20, vcc_lo, 0, v25, vcc_lo
	s_delay_alu instid0(VALU_DEP_2) | instskip(NEXT) | instid1(VALU_DEP_2)
	v_add_co_u32 v0, vcc_lo, v0, v26
	v_add_co_ci_u32_e32 v0, vcc_lo, v20, v27, vcc_lo
	v_add_co_ci_u32_e32 v20, vcc_lo, 0, v29, vcc_lo
	s_delay_alu instid0(VALU_DEP_2) | instskip(NEXT) | instid1(VALU_DEP_2)
	v_add_co_u32 v0, vcc_lo, v0, v28
	v_add_co_ci_u32_e32 v20, vcc_lo, 0, v20, vcc_lo
	s_delay_alu instid0(VALU_DEP_2) | instskip(SKIP_1) | instid1(VALU_DEP_3)
	v_mul_lo_u32 v26, s23, v0
	v_mad_u64_u32 v[24:25], null, s22, v0, 0
	v_mul_lo_u32 v27, s22, v20
	s_delay_alu instid0(VALU_DEP_2) | instskip(NEXT) | instid1(VALU_DEP_2)
	v_sub_co_u32 v24, vcc_lo, v13, v24
	v_add3_u32 v25, v25, v27, v26
	s_delay_alu instid0(VALU_DEP_1) | instskip(NEXT) | instid1(VALU_DEP_1)
	v_sub_nc_u32_e32 v26, v14, v25
	v_subrev_co_ci_u32_e64 v26, s1, s23, v26, vcc_lo
	v_add_co_u32 v27, s1, v0, 2
	s_delay_alu instid0(VALU_DEP_1) | instskip(SKIP_3) | instid1(VALU_DEP_3)
	v_add_co_ci_u32_e64 v28, s1, 0, v20, s1
	v_sub_co_u32 v29, s1, v24, s22
	v_sub_co_ci_u32_e32 v25, vcc_lo, v14, v25, vcc_lo
	v_subrev_co_ci_u32_e64 v26, s1, 0, v26, s1
	v_cmp_le_u32_e32 vcc_lo, s22, v29
	s_delay_alu instid0(VALU_DEP_3) | instskip(SKIP_1) | instid1(VALU_DEP_4)
	v_cmp_eq_u32_e64 s1, s23, v25
	v_cndmask_b32_e64 v29, 0, -1, vcc_lo
	v_cmp_le_u32_e32 vcc_lo, s23, v26
	v_cndmask_b32_e64 v30, 0, -1, vcc_lo
	v_cmp_le_u32_e32 vcc_lo, s22, v24
	;; [unrolled: 2-line block ×3, first 2 shown]
	v_cndmask_b32_e64 v31, 0, -1, vcc_lo
	v_cmp_eq_u32_e32 vcc_lo, s23, v26
	s_delay_alu instid0(VALU_DEP_2) | instskip(SKIP_3) | instid1(VALU_DEP_3)
	v_cndmask_b32_e64 v24, v31, v24, s1
	v_cndmask_b32_e32 v26, v30, v29, vcc_lo
	v_add_co_u32 v29, vcc_lo, v0, 1
	v_add_co_ci_u32_e32 v30, vcc_lo, 0, v20, vcc_lo
	v_cmp_ne_u32_e32 vcc_lo, 0, v26
	s_delay_alu instid0(VALU_DEP_2) | instskip(SKIP_1) | instid1(VALU_DEP_2)
	v_dual_cndmask_b32 v25, v30, v28 :: v_dual_cndmask_b32 v26, v29, v27
	v_cmp_ne_u32_e32 vcc_lo, 0, v24
	v_cndmask_b32_e32 v25, v20, v25, vcc_lo
	s_delay_alu instid0(VALU_DEP_3)
	v_cndmask_b32_e32 v24, v0, v26, vcc_lo
.LBB40_22:                              ;   in Loop: Header=BB40_20 Depth=2
	s_and_not1_saveexec_b32 s1, s25
	s_cbranch_execz .LBB40_24
; %bb.23:                               ;   in Loop: Header=BB40_20 Depth=2
	v_cvt_f32_u32_e32 v0, s22
	s_sub_i32 s25, 0, s22
	s_delay_alu instid0(VALU_DEP_1) | instskip(SKIP_2) | instid1(VALU_DEP_1)
	v_rcp_iflag_f32_e32 v0, v0
	s_waitcnt_depctr 0xfff
	v_mul_f32_e32 v0, 0x4f7ffffe, v0
	v_cvt_u32_f32_e32 v0, v0
	s_delay_alu instid0(VALU_DEP_1) | instskip(NEXT) | instid1(VALU_DEP_1)
	v_mul_lo_u32 v20, s25, v0
	v_mul_hi_u32 v20, v0, v20
	s_delay_alu instid0(VALU_DEP_1) | instskip(NEXT) | instid1(VALU_DEP_1)
	v_add_nc_u32_e32 v0, v0, v20
	v_mul_hi_u32 v0, v13, v0
	s_delay_alu instid0(VALU_DEP_1) | instskip(SKIP_1) | instid1(VALU_DEP_2)
	v_mul_lo_u32 v20, v0, s22
	v_add_nc_u32_e32 v24, 1, v0
	v_sub_nc_u32_e32 v20, v13, v20
	s_delay_alu instid0(VALU_DEP_1) | instskip(SKIP_1) | instid1(VALU_DEP_2)
	v_subrev_nc_u32_e32 v25, s22, v20
	v_cmp_le_u32_e32 vcc_lo, s22, v20
	v_dual_cndmask_b32 v20, v20, v25 :: v_dual_mov_b32 v25, v19
	v_cndmask_b32_e32 v0, v0, v24, vcc_lo
	s_delay_alu instid0(VALU_DEP_2) | instskip(NEXT) | instid1(VALU_DEP_2)
	v_cmp_le_u32_e32 vcc_lo, s22, v20
	v_add_nc_u32_e32 v24, 1, v0
	s_delay_alu instid0(VALU_DEP_1)
	v_cndmask_b32_e32 v24, v0, v24, vcc_lo
.LBB40_24:                              ;   in Loop: Header=BB40_20 Depth=2
	s_or_b32 exec_lo, exec_lo, s1
	s_load_b64 s[34:35], s[2:3], 0xc8
	v_mul_lo_u32 v0, v25, s22
	s_delay_alu instid0(VALU_DEP_2)
	v_mul_lo_u32 v20, v24, s23
	v_mad_u64_u32 v[26:27], null, v24, s22, 0
	s_add_i32 s24, s24, -1
	s_add_u32 s2, s2, -8
	s_addc_u32 s3, s3, -1
	s_cmp_gt_u32 s24, 2
	s_delay_alu instid0(VALU_DEP_1) | instskip(NEXT) | instid1(VALU_DEP_2)
	v_add3_u32 v0, v27, v20, v0
	v_sub_co_u32 v20, vcc_lo, v13, v26
	s_delay_alu instid0(VALU_DEP_2) | instskip(SKIP_1) | instid1(VALU_DEP_2)
	v_sub_co_ci_u32_e32 v0, vcc_lo, v14, v0, vcc_lo
	s_waitcnt lgkmcnt(0)
	v_mul_lo_u32 v26, s35, v20
	s_delay_alu instid0(VALU_DEP_2) | instskip(SKIP_1) | instid1(VALU_DEP_1)
	v_mul_lo_u32 v0, s34, v0
	v_mad_u64_u32 v[13:14], null, s34, v20, v[11:12]
	v_add3_u32 v12, v26, v14, v0
	s_delay_alu instid0(VALU_DEP_2)
	v_mov_b32_e32 v11, v13
	s_cbranch_scc0 .LBB40_26
; %bb.25:                               ;   in Loop: Header=BB40_20 Depth=2
	v_dual_mov_b32 v13, v24 :: v_dual_mov_b32 v14, v25
	s_branch .LBB40_20
.LBB40_26:                              ;   in Loop: Header=BB40_8 Depth=1
	v_mul_lo_u32 v0, s17, v24
	v_mul_lo_u32 v20, s16, v25
	v_mad_u64_u32 v[13:14], null, s16, v24, 0
	v_lshlrev_b64 v[11:12], 2, v[11:12]
	s_delay_alu instid0(VALU_DEP_2) | instskip(NEXT) | instid1(VALU_DEP_1)
	v_add3_u32 v14, v14, v20, v0
	v_lshlrev_b64 v[13:14], 2, v[13:14]
	s_delay_alu instid0(VALU_DEP_1) | instskip(NEXT) | instid1(VALU_DEP_2)
	v_add_co_u32 v0, vcc_lo, s18, v13
	v_add_co_ci_u32_e32 v13, vcc_lo, s19, v14, vcc_lo
	s_delay_alu instid0(VALU_DEP_2) | instskip(NEXT) | instid1(VALU_DEP_2)
	v_add_co_u32 v11, vcc_lo, v0, v11
	v_add_co_ci_u32_e32 v12, vcc_lo, v13, v12, vcc_lo
	global_load_b32 v0, v[11:12], off
.LBB40_27:                              ;   in Loop: Header=BB40_8 Depth=1
	s_or_b32 exec_lo, exec_lo, s4
	v_add_co_u32 v11, vcc_lo, v21, s26
	v_add_co_ci_u32_e32 v12, vcc_lo, 0, v22, vcc_lo
	s_delay_alu instid0(VALU_DEP_1) | instskip(NEXT) | instid1(VALU_DEP_1)
	v_cmp_gt_u64_e64 s1, s[6:7], v[11:12]
	s_and_saveexec_b32 s3, s1
	s_cbranch_execz .LBB40_36
; %bb.28:                               ;   in Loop: Header=BB40_8 Depth=1
	v_mov_b32_e32 v13, 0
	v_dual_mov_b32 v14, 0 :: v_dual_mov_b32 v25, v12
	v_dual_mov_b32 v24, v11 :: v_dual_mov_b32 v27, v12
	v_mov_b32_e32 v26, v11
	s_and_not1_b32 vcc_lo, exec_lo, s30
	s_mov_b64 s[22:23], s[20:21]
	s_mov_b32 s4, s33
	s_cbranch_vccnz .LBB40_35
.LBB40_29:                              ;   Parent Loop BB40_8 Depth=1
                                        ; =>  This Inner Loop Header: Depth=2
	s_load_b64 s[24:25], s[22:23], 0x0
                                        ; implicit-def: $vgpr26_vgpr27
	s_mov_b32 s2, exec_lo
	s_waitcnt lgkmcnt(0)
	v_or_b32_e32 v20, s25, v25
	s_delay_alu instid0(VALU_DEP_1)
	v_cmpx_ne_u64_e32 0, v[19:20]
	s_xor_b32 s34, exec_lo, s2
	s_cbranch_execz .LBB40_31
; %bb.30:                               ;   in Loop: Header=BB40_29 Depth=2
	v_cvt_f32_u32_e32 v1, s24
	v_cvt_f32_u32_e32 v20, s25
	s_sub_u32 s2, 0, s24
	s_subb_u32 s35, 0, s25
	s_delay_alu instid0(VALU_DEP_1) | instskip(NEXT) | instid1(VALU_DEP_1)
	v_fmac_f32_e32 v1, 0x4f800000, v20
	v_rcp_f32_e32 v1, v1
	s_waitcnt_depctr 0xfff
	v_mul_f32_e32 v1, 0x5f7ffffc, v1
	s_delay_alu instid0(VALU_DEP_1) | instskip(NEXT) | instid1(VALU_DEP_1)
	v_mul_f32_e32 v20, 0x2f800000, v1
	v_trunc_f32_e32 v20, v20
	s_delay_alu instid0(VALU_DEP_1) | instskip(SKIP_1) | instid1(VALU_DEP_2)
	v_fmac_f32_e32 v1, 0xcf800000, v20
	v_cvt_u32_f32_e32 v20, v20
	v_cvt_u32_f32_e32 v1, v1
	s_delay_alu instid0(VALU_DEP_2) | instskip(NEXT) | instid1(VALU_DEP_2)
	v_mul_lo_u32 v26, s2, v20
	v_mul_hi_u32 v27, s2, v1
	v_mul_lo_u32 v28, s35, v1
	s_delay_alu instid0(VALU_DEP_2) | instskip(SKIP_1) | instid1(VALU_DEP_2)
	v_add_nc_u32_e32 v26, v27, v26
	v_mul_lo_u32 v27, s2, v1
	v_add_nc_u32_e32 v26, v26, v28
	s_delay_alu instid0(VALU_DEP_2) | instskip(NEXT) | instid1(VALU_DEP_2)
	v_mul_hi_u32 v28, v1, v27
	v_mul_lo_u32 v29, v1, v26
	v_mul_hi_u32 v30, v1, v26
	v_mul_hi_u32 v31, v20, v27
	v_mul_lo_u32 v27, v20, v27
	v_mul_hi_u32 v54, v20, v26
	v_mul_lo_u32 v26, v20, v26
	v_add_co_u32 v28, vcc_lo, v28, v29
	v_add_co_ci_u32_e32 v29, vcc_lo, 0, v30, vcc_lo
	s_delay_alu instid0(VALU_DEP_2) | instskip(NEXT) | instid1(VALU_DEP_2)
	v_add_co_u32 v27, vcc_lo, v28, v27
	v_add_co_ci_u32_e32 v27, vcc_lo, v29, v31, vcc_lo
	v_add_co_ci_u32_e32 v28, vcc_lo, 0, v54, vcc_lo
	s_delay_alu instid0(VALU_DEP_2) | instskip(NEXT) | instid1(VALU_DEP_2)
	v_add_co_u32 v26, vcc_lo, v27, v26
	v_add_co_ci_u32_e32 v27, vcc_lo, 0, v28, vcc_lo
	s_delay_alu instid0(VALU_DEP_2) | instskip(NEXT) | instid1(VALU_DEP_2)
	v_add_co_u32 v1, vcc_lo, v1, v26
	v_add_co_ci_u32_e32 v20, vcc_lo, v20, v27, vcc_lo
	s_delay_alu instid0(VALU_DEP_2) | instskip(SKIP_1) | instid1(VALU_DEP_3)
	v_mul_hi_u32 v26, s2, v1
	v_mul_lo_u32 v28, s35, v1
	v_mul_lo_u32 v27, s2, v20
	s_delay_alu instid0(VALU_DEP_1) | instskip(SKIP_1) | instid1(VALU_DEP_2)
	v_add_nc_u32_e32 v26, v26, v27
	v_mul_lo_u32 v27, s2, v1
	v_add_nc_u32_e32 v26, v26, v28
	s_delay_alu instid0(VALU_DEP_2) | instskip(NEXT) | instid1(VALU_DEP_2)
	v_mul_hi_u32 v28, v1, v27
	v_mul_lo_u32 v29, v1, v26
	v_mul_hi_u32 v30, v1, v26
	v_mul_hi_u32 v31, v20, v27
	v_mul_lo_u32 v27, v20, v27
	v_mul_hi_u32 v54, v20, v26
	v_mul_lo_u32 v26, v20, v26
	v_add_co_u32 v28, vcc_lo, v28, v29
	v_add_co_ci_u32_e32 v29, vcc_lo, 0, v30, vcc_lo
	s_delay_alu instid0(VALU_DEP_2) | instskip(NEXT) | instid1(VALU_DEP_2)
	v_add_co_u32 v27, vcc_lo, v28, v27
	v_add_co_ci_u32_e32 v27, vcc_lo, v29, v31, vcc_lo
	v_add_co_ci_u32_e32 v28, vcc_lo, 0, v54, vcc_lo
	s_delay_alu instid0(VALU_DEP_2) | instskip(NEXT) | instid1(VALU_DEP_2)
	v_add_co_u32 v26, vcc_lo, v27, v26
	v_add_co_ci_u32_e32 v27, vcc_lo, 0, v28, vcc_lo
	s_delay_alu instid0(VALU_DEP_2) | instskip(NEXT) | instid1(VALU_DEP_2)
	v_add_co_u32 v1, vcc_lo, v1, v26
	v_add_co_ci_u32_e32 v20, vcc_lo, v20, v27, vcc_lo
	s_delay_alu instid0(VALU_DEP_2) | instskip(SKIP_1) | instid1(VALU_DEP_3)
	v_mul_hi_u32 v54, v24, v1
	v_mad_u64_u32 v[28:29], null, v25, v1, 0
	v_mad_u64_u32 v[26:27], null, v24, v20, 0
	;; [unrolled: 1-line block ×3, first 2 shown]
	s_delay_alu instid0(VALU_DEP_2) | instskip(NEXT) | instid1(VALU_DEP_3)
	v_add_co_u32 v1, vcc_lo, v54, v26
	v_add_co_ci_u32_e32 v20, vcc_lo, 0, v27, vcc_lo
	s_delay_alu instid0(VALU_DEP_2) | instskip(NEXT) | instid1(VALU_DEP_2)
	v_add_co_u32 v1, vcc_lo, v1, v28
	v_add_co_ci_u32_e32 v1, vcc_lo, v20, v29, vcc_lo
	v_add_co_ci_u32_e32 v20, vcc_lo, 0, v31, vcc_lo
	s_delay_alu instid0(VALU_DEP_2) | instskip(NEXT) | instid1(VALU_DEP_2)
	v_add_co_u32 v1, vcc_lo, v1, v30
	v_add_co_ci_u32_e32 v20, vcc_lo, 0, v20, vcc_lo
	s_delay_alu instid0(VALU_DEP_2) | instskip(SKIP_1) | instid1(VALU_DEP_3)
	v_mul_lo_u32 v28, s25, v1
	v_mad_u64_u32 v[26:27], null, s24, v1, 0
	v_mul_lo_u32 v29, s24, v20
	s_delay_alu instid0(VALU_DEP_2) | instskip(NEXT) | instid1(VALU_DEP_2)
	v_sub_co_u32 v26, vcc_lo, v24, v26
	v_add3_u32 v27, v27, v29, v28
	s_delay_alu instid0(VALU_DEP_1) | instskip(NEXT) | instid1(VALU_DEP_1)
	v_sub_nc_u32_e32 v28, v25, v27
	v_subrev_co_ci_u32_e64 v28, s2, s25, v28, vcc_lo
	v_add_co_u32 v29, s2, v1, 2
	s_delay_alu instid0(VALU_DEP_1) | instskip(SKIP_3) | instid1(VALU_DEP_3)
	v_add_co_ci_u32_e64 v30, s2, 0, v20, s2
	v_sub_co_u32 v31, s2, v26, s24
	v_sub_co_ci_u32_e32 v27, vcc_lo, v25, v27, vcc_lo
	v_subrev_co_ci_u32_e64 v28, s2, 0, v28, s2
	v_cmp_le_u32_e32 vcc_lo, s24, v31
	s_delay_alu instid0(VALU_DEP_3) | instskip(SKIP_1) | instid1(VALU_DEP_4)
	v_cmp_eq_u32_e64 s2, s25, v27
	v_cndmask_b32_e64 v31, 0, -1, vcc_lo
	v_cmp_le_u32_e32 vcc_lo, s25, v28
	v_cndmask_b32_e64 v54, 0, -1, vcc_lo
	v_cmp_le_u32_e32 vcc_lo, s24, v26
	;; [unrolled: 2-line block ×3, first 2 shown]
	v_cndmask_b32_e64 v55, 0, -1, vcc_lo
	v_cmp_eq_u32_e32 vcc_lo, s25, v28
	s_delay_alu instid0(VALU_DEP_2) | instskip(SKIP_3) | instid1(VALU_DEP_3)
	v_cndmask_b32_e64 v26, v55, v26, s2
	v_cndmask_b32_e32 v28, v54, v31, vcc_lo
	v_add_co_u32 v31, vcc_lo, v1, 1
	v_add_co_ci_u32_e32 v54, vcc_lo, 0, v20, vcc_lo
	v_cmp_ne_u32_e32 vcc_lo, 0, v28
	s_delay_alu instid0(VALU_DEP_2) | instskip(SKIP_1) | instid1(VALU_DEP_2)
	v_dual_cndmask_b32 v27, v54, v30 :: v_dual_cndmask_b32 v28, v31, v29
	v_cmp_ne_u32_e32 vcc_lo, 0, v26
	v_dual_cndmask_b32 v27, v20, v27 :: v_dual_cndmask_b32 v26, v1, v28
.LBB40_31:                              ;   in Loop: Header=BB40_29 Depth=2
	s_and_not1_saveexec_b32 s2, s34
	s_cbranch_execz .LBB40_33
; %bb.32:                               ;   in Loop: Header=BB40_29 Depth=2
	v_cvt_f32_u32_e32 v1, s24
	s_sub_i32 s34, 0, s24
	s_delay_alu instid0(VALU_DEP_1) | instskip(SKIP_2) | instid1(VALU_DEP_1)
	v_rcp_iflag_f32_e32 v1, v1
	s_waitcnt_depctr 0xfff
	v_mul_f32_e32 v1, 0x4f7ffffe, v1
	v_cvt_u32_f32_e32 v1, v1
	s_delay_alu instid0(VALU_DEP_1) | instskip(NEXT) | instid1(VALU_DEP_1)
	v_mul_lo_u32 v20, s34, v1
	v_mul_hi_u32 v20, v1, v20
	s_delay_alu instid0(VALU_DEP_1) | instskip(NEXT) | instid1(VALU_DEP_1)
	v_add_nc_u32_e32 v1, v1, v20
	v_mul_hi_u32 v1, v24, v1
	s_delay_alu instid0(VALU_DEP_1) | instskip(SKIP_1) | instid1(VALU_DEP_2)
	v_mul_lo_u32 v20, v1, s24
	v_add_nc_u32_e32 v26, 1, v1
	v_sub_nc_u32_e32 v20, v24, v20
	s_delay_alu instid0(VALU_DEP_1) | instskip(SKIP_1) | instid1(VALU_DEP_2)
	v_subrev_nc_u32_e32 v27, s24, v20
	v_cmp_le_u32_e32 vcc_lo, s24, v20
	v_dual_cndmask_b32 v20, v20, v27 :: v_dual_mov_b32 v27, v19
	v_cndmask_b32_e32 v1, v1, v26, vcc_lo
	s_delay_alu instid0(VALU_DEP_2) | instskip(NEXT) | instid1(VALU_DEP_2)
	v_cmp_le_u32_e32 vcc_lo, s24, v20
	v_add_nc_u32_e32 v26, 1, v1
	s_delay_alu instid0(VALU_DEP_1)
	v_cndmask_b32_e32 v26, v1, v26, vcc_lo
.LBB40_33:                              ;   in Loop: Header=BB40_29 Depth=2
	s_or_b32 exec_lo, exec_lo, s2
	s_load_b64 s[34:35], s[22:23], 0xc8
	v_mul_lo_u32 v1, v27, s24
	s_delay_alu instid0(VALU_DEP_2)
	v_mul_lo_u32 v20, v26, s25
	v_mad_u64_u32 v[28:29], null, v26, s24, 0
	s_add_i32 s4, s4, -1
	s_add_u32 s22, s22, -8
	s_addc_u32 s23, s23, -1
	s_cmp_gt_u32 s4, 2
	s_delay_alu instid0(VALU_DEP_1) | instskip(NEXT) | instid1(VALU_DEP_2)
	v_add3_u32 v1, v29, v20, v1
	v_sub_co_u32 v20, vcc_lo, v24, v28
	s_delay_alu instid0(VALU_DEP_2) | instskip(SKIP_1) | instid1(VALU_DEP_2)
	v_sub_co_ci_u32_e32 v1, vcc_lo, v25, v1, vcc_lo
	s_waitcnt lgkmcnt(0)
	v_mul_lo_u32 v28, s35, v20
	s_delay_alu instid0(VALU_DEP_2) | instskip(SKIP_1) | instid1(VALU_DEP_1)
	v_mul_lo_u32 v1, s34, v1
	v_mad_u64_u32 v[24:25], null, s34, v20, v[13:14]
	v_add3_u32 v14, v28, v25, v1
	s_delay_alu instid0(VALU_DEP_2)
	v_mov_b32_e32 v13, v24
	s_cbranch_scc0 .LBB40_35
; %bb.34:                               ;   in Loop: Header=BB40_29 Depth=2
	v_dual_mov_b32 v24, v26 :: v_dual_mov_b32 v25, v27
	s_branch .LBB40_29
.LBB40_35:                              ;   in Loop: Header=BB40_8 Depth=1
	v_mul_lo_u32 v1, s17, v26
	v_mul_lo_u32 v20, s16, v27
	v_mad_u64_u32 v[24:25], null, s16, v26, 0
	v_lshlrev_b64 v[13:14], 2, v[13:14]
	s_delay_alu instid0(VALU_DEP_2) | instskip(NEXT) | instid1(VALU_DEP_1)
	v_add3_u32 v25, v25, v20, v1
	v_lshlrev_b64 v[24:25], 2, v[24:25]
	s_delay_alu instid0(VALU_DEP_1) | instskip(NEXT) | instid1(VALU_DEP_2)
	v_add_co_u32 v1, vcc_lo, s18, v24
	v_add_co_ci_u32_e32 v20, vcc_lo, s19, v25, vcc_lo
	s_delay_alu instid0(VALU_DEP_2) | instskip(NEXT) | instid1(VALU_DEP_2)
	v_add_co_u32 v13, vcc_lo, v1, v13
	v_add_co_ci_u32_e32 v14, vcc_lo, v20, v14, vcc_lo
	global_load_b32 v1, v[13:14], off
.LBB40_36:                              ;   in Loop: Header=BB40_8 Depth=1
	s_or_b32 exec_lo, exec_lo, s3
	v_add_co_u32 v13, vcc_lo, v21, s31
	v_add_co_ci_u32_e32 v14, vcc_lo, 0, v22, vcc_lo
	s_delay_alu instid0(VALU_DEP_1) | instskip(NEXT) | instid1(VALU_DEP_1)
	v_cmp_gt_u64_e64 s2, s[6:7], v[13:14]
	s_and_saveexec_b32 s4, s2
	s_cbranch_execz .LBB40_45
; %bb.37:                               ;   in Loop: Header=BB40_8 Depth=1
	v_dual_mov_b32 v24, 0 :: v_dual_mov_b32 v27, v14
	v_dual_mov_b32 v25, 0 :: v_dual_mov_b32 v26, v13
	v_dual_mov_b32 v29, v14 :: v_dual_mov_b32 v28, v13
	s_and_not1_b32 vcc_lo, exec_lo, s30
	s_mov_b64 s[22:23], s[20:21]
	s_mov_b32 s34, s33
	s_cbranch_vccnz .LBB40_44
.LBB40_38:                              ;   Parent Loop BB40_8 Depth=1
                                        ; =>  This Inner Loop Header: Depth=2
	s_load_b64 s[24:25], s[22:23], 0x0
                                        ; implicit-def: $vgpr28_vgpr29
	s_mov_b32 s3, exec_lo
	s_waitcnt lgkmcnt(0)
	v_or_b32_e32 v20, s25, v27
	s_delay_alu instid0(VALU_DEP_1)
	v_cmpx_ne_u64_e32 0, v[19:20]
	s_xor_b32 s35, exec_lo, s3
	s_cbranch_execz .LBB40_40
; %bb.39:                               ;   in Loop: Header=BB40_38 Depth=2
	v_cvt_f32_u32_e32 v2, s24
	v_cvt_f32_u32_e32 v20, s25
	s_sub_u32 s3, 0, s24
	s_subb_u32 s36, 0, s25
	s_delay_alu instid0(VALU_DEP_1) | instskip(NEXT) | instid1(VALU_DEP_1)
	v_fmac_f32_e32 v2, 0x4f800000, v20
	v_rcp_f32_e32 v2, v2
	s_waitcnt_depctr 0xfff
	v_mul_f32_e32 v2, 0x5f7ffffc, v2
	s_delay_alu instid0(VALU_DEP_1) | instskip(NEXT) | instid1(VALU_DEP_1)
	v_mul_f32_e32 v20, 0x2f800000, v2
	v_trunc_f32_e32 v20, v20
	s_delay_alu instid0(VALU_DEP_1) | instskip(SKIP_1) | instid1(VALU_DEP_2)
	v_fmac_f32_e32 v2, 0xcf800000, v20
	v_cvt_u32_f32_e32 v20, v20
	v_cvt_u32_f32_e32 v2, v2
	s_delay_alu instid0(VALU_DEP_2) | instskip(NEXT) | instid1(VALU_DEP_2)
	v_mul_lo_u32 v28, s3, v20
	v_mul_hi_u32 v29, s3, v2
	v_mul_lo_u32 v30, s36, v2
	s_delay_alu instid0(VALU_DEP_2) | instskip(SKIP_1) | instid1(VALU_DEP_2)
	v_add_nc_u32_e32 v28, v29, v28
	v_mul_lo_u32 v29, s3, v2
	v_add_nc_u32_e32 v28, v28, v30
	s_delay_alu instid0(VALU_DEP_2) | instskip(NEXT) | instid1(VALU_DEP_2)
	v_mul_hi_u32 v30, v2, v29
	v_mul_lo_u32 v31, v2, v28
	v_mul_hi_u32 v54, v2, v28
	v_mul_hi_u32 v55, v20, v29
	v_mul_lo_u32 v29, v20, v29
	v_mul_hi_u32 v56, v20, v28
	v_mul_lo_u32 v28, v20, v28
	v_add_co_u32 v30, vcc_lo, v30, v31
	v_add_co_ci_u32_e32 v31, vcc_lo, 0, v54, vcc_lo
	s_delay_alu instid0(VALU_DEP_2) | instskip(NEXT) | instid1(VALU_DEP_2)
	v_add_co_u32 v29, vcc_lo, v30, v29
	v_add_co_ci_u32_e32 v29, vcc_lo, v31, v55, vcc_lo
	v_add_co_ci_u32_e32 v30, vcc_lo, 0, v56, vcc_lo
	s_delay_alu instid0(VALU_DEP_2) | instskip(NEXT) | instid1(VALU_DEP_2)
	v_add_co_u32 v28, vcc_lo, v29, v28
	v_add_co_ci_u32_e32 v29, vcc_lo, 0, v30, vcc_lo
	s_delay_alu instid0(VALU_DEP_2) | instskip(NEXT) | instid1(VALU_DEP_2)
	v_add_co_u32 v2, vcc_lo, v2, v28
	v_add_co_ci_u32_e32 v20, vcc_lo, v20, v29, vcc_lo
	s_delay_alu instid0(VALU_DEP_2) | instskip(SKIP_1) | instid1(VALU_DEP_3)
	v_mul_hi_u32 v28, s3, v2
	v_mul_lo_u32 v30, s36, v2
	v_mul_lo_u32 v29, s3, v20
	s_delay_alu instid0(VALU_DEP_1) | instskip(SKIP_1) | instid1(VALU_DEP_2)
	v_add_nc_u32_e32 v28, v28, v29
	v_mul_lo_u32 v29, s3, v2
	v_add_nc_u32_e32 v28, v28, v30
	s_delay_alu instid0(VALU_DEP_2) | instskip(NEXT) | instid1(VALU_DEP_2)
	v_mul_hi_u32 v30, v2, v29
	v_mul_lo_u32 v31, v2, v28
	v_mul_hi_u32 v54, v2, v28
	v_mul_hi_u32 v55, v20, v29
	v_mul_lo_u32 v29, v20, v29
	v_mul_hi_u32 v56, v20, v28
	v_mul_lo_u32 v28, v20, v28
	v_add_co_u32 v30, vcc_lo, v30, v31
	v_add_co_ci_u32_e32 v31, vcc_lo, 0, v54, vcc_lo
	s_delay_alu instid0(VALU_DEP_2) | instskip(NEXT) | instid1(VALU_DEP_2)
	v_add_co_u32 v29, vcc_lo, v30, v29
	v_add_co_ci_u32_e32 v29, vcc_lo, v31, v55, vcc_lo
	v_add_co_ci_u32_e32 v30, vcc_lo, 0, v56, vcc_lo
	s_delay_alu instid0(VALU_DEP_2) | instskip(NEXT) | instid1(VALU_DEP_2)
	v_add_co_u32 v28, vcc_lo, v29, v28
	v_add_co_ci_u32_e32 v29, vcc_lo, 0, v30, vcc_lo
	s_delay_alu instid0(VALU_DEP_2) | instskip(NEXT) | instid1(VALU_DEP_2)
	v_add_co_u32 v2, vcc_lo, v2, v28
	v_add_co_ci_u32_e32 v20, vcc_lo, v20, v29, vcc_lo
	s_delay_alu instid0(VALU_DEP_2) | instskip(SKIP_1) | instid1(VALU_DEP_3)
	v_mul_hi_u32 v56, v26, v2
	v_mad_u64_u32 v[30:31], null, v27, v2, 0
	v_mad_u64_u32 v[28:29], null, v26, v20, 0
	;; [unrolled: 1-line block ×3, first 2 shown]
	s_delay_alu instid0(VALU_DEP_2) | instskip(NEXT) | instid1(VALU_DEP_3)
	v_add_co_u32 v2, vcc_lo, v56, v28
	v_add_co_ci_u32_e32 v20, vcc_lo, 0, v29, vcc_lo
	s_delay_alu instid0(VALU_DEP_2) | instskip(NEXT) | instid1(VALU_DEP_2)
	v_add_co_u32 v2, vcc_lo, v2, v30
	v_add_co_ci_u32_e32 v2, vcc_lo, v20, v31, vcc_lo
	v_add_co_ci_u32_e32 v20, vcc_lo, 0, v55, vcc_lo
	s_delay_alu instid0(VALU_DEP_2) | instskip(NEXT) | instid1(VALU_DEP_2)
	v_add_co_u32 v2, vcc_lo, v2, v54
	v_add_co_ci_u32_e32 v20, vcc_lo, 0, v20, vcc_lo
	s_delay_alu instid0(VALU_DEP_2) | instskip(SKIP_1) | instid1(VALU_DEP_3)
	v_mul_lo_u32 v30, s25, v2
	v_mad_u64_u32 v[28:29], null, s24, v2, 0
	v_mul_lo_u32 v31, s24, v20
	s_delay_alu instid0(VALU_DEP_2) | instskip(NEXT) | instid1(VALU_DEP_2)
	v_sub_co_u32 v28, vcc_lo, v26, v28
	v_add3_u32 v29, v29, v31, v30
	s_delay_alu instid0(VALU_DEP_1) | instskip(NEXT) | instid1(VALU_DEP_1)
	v_sub_nc_u32_e32 v30, v27, v29
	v_subrev_co_ci_u32_e64 v30, s3, s25, v30, vcc_lo
	v_add_co_u32 v31, s3, v2, 2
	s_delay_alu instid0(VALU_DEP_1) | instskip(SKIP_3) | instid1(VALU_DEP_3)
	v_add_co_ci_u32_e64 v54, s3, 0, v20, s3
	v_sub_co_u32 v55, s3, v28, s24
	v_sub_co_ci_u32_e32 v29, vcc_lo, v27, v29, vcc_lo
	v_subrev_co_ci_u32_e64 v30, s3, 0, v30, s3
	v_cmp_le_u32_e32 vcc_lo, s24, v55
	s_delay_alu instid0(VALU_DEP_3) | instskip(SKIP_1) | instid1(VALU_DEP_4)
	v_cmp_eq_u32_e64 s3, s25, v29
	v_cndmask_b32_e64 v55, 0, -1, vcc_lo
	v_cmp_le_u32_e32 vcc_lo, s25, v30
	v_cndmask_b32_e64 v56, 0, -1, vcc_lo
	v_cmp_le_u32_e32 vcc_lo, s24, v28
	;; [unrolled: 2-line block ×3, first 2 shown]
	v_cndmask_b32_e64 v57, 0, -1, vcc_lo
	v_cmp_eq_u32_e32 vcc_lo, s25, v30
	s_delay_alu instid0(VALU_DEP_2) | instskip(SKIP_3) | instid1(VALU_DEP_3)
	v_cndmask_b32_e64 v28, v57, v28, s3
	v_cndmask_b32_e32 v30, v56, v55, vcc_lo
	v_add_co_u32 v55, vcc_lo, v2, 1
	v_add_co_ci_u32_e32 v56, vcc_lo, 0, v20, vcc_lo
	v_cmp_ne_u32_e32 vcc_lo, 0, v30
	s_delay_alu instid0(VALU_DEP_2) | instskip(SKIP_1) | instid1(VALU_DEP_2)
	v_dual_cndmask_b32 v29, v56, v54 :: v_dual_cndmask_b32 v30, v55, v31
	v_cmp_ne_u32_e32 vcc_lo, 0, v28
	v_dual_cndmask_b32 v29, v20, v29 :: v_dual_cndmask_b32 v28, v2, v30
.LBB40_40:                              ;   in Loop: Header=BB40_38 Depth=2
	s_and_not1_saveexec_b32 s3, s35
	s_cbranch_execz .LBB40_42
; %bb.41:                               ;   in Loop: Header=BB40_38 Depth=2
	v_cvt_f32_u32_e32 v2, s24
	s_sub_i32 s35, 0, s24
	s_delay_alu instid0(VALU_DEP_1) | instskip(SKIP_2) | instid1(VALU_DEP_1)
	v_rcp_iflag_f32_e32 v2, v2
	s_waitcnt_depctr 0xfff
	v_mul_f32_e32 v2, 0x4f7ffffe, v2
	v_cvt_u32_f32_e32 v2, v2
	s_delay_alu instid0(VALU_DEP_1) | instskip(NEXT) | instid1(VALU_DEP_1)
	v_mul_lo_u32 v20, s35, v2
	v_mul_hi_u32 v20, v2, v20
	s_delay_alu instid0(VALU_DEP_1) | instskip(NEXT) | instid1(VALU_DEP_1)
	v_add_nc_u32_e32 v2, v2, v20
	v_mul_hi_u32 v2, v26, v2
	s_delay_alu instid0(VALU_DEP_1) | instskip(SKIP_1) | instid1(VALU_DEP_2)
	v_mul_lo_u32 v20, v2, s24
	v_add_nc_u32_e32 v28, 1, v2
	v_sub_nc_u32_e32 v20, v26, v20
	s_delay_alu instid0(VALU_DEP_1) | instskip(SKIP_1) | instid1(VALU_DEP_2)
	v_subrev_nc_u32_e32 v29, s24, v20
	v_cmp_le_u32_e32 vcc_lo, s24, v20
	v_dual_cndmask_b32 v20, v20, v29 :: v_dual_mov_b32 v29, v19
	v_cndmask_b32_e32 v2, v2, v28, vcc_lo
	s_delay_alu instid0(VALU_DEP_2) | instskip(NEXT) | instid1(VALU_DEP_2)
	v_cmp_le_u32_e32 vcc_lo, s24, v20
	v_add_nc_u32_e32 v28, 1, v2
	s_delay_alu instid0(VALU_DEP_1)
	v_cndmask_b32_e32 v28, v2, v28, vcc_lo
.LBB40_42:                              ;   in Loop: Header=BB40_38 Depth=2
	s_or_b32 exec_lo, exec_lo, s3
	s_load_b64 s[36:37], s[22:23], 0xc8
	v_mul_lo_u32 v2, v29, s24
	s_delay_alu instid0(VALU_DEP_2)
	v_mul_lo_u32 v20, v28, s25
	v_mad_u64_u32 v[30:31], null, v28, s24, 0
	s_add_i32 s34, s34, -1
	s_add_u32 s22, s22, -8
	s_addc_u32 s23, s23, -1
	s_cmp_gt_u32 s34, 2
	s_delay_alu instid0(VALU_DEP_1) | instskip(NEXT) | instid1(VALU_DEP_2)
	v_add3_u32 v2, v31, v20, v2
	v_sub_co_u32 v20, vcc_lo, v26, v30
	s_delay_alu instid0(VALU_DEP_2) | instskip(SKIP_1) | instid1(VALU_DEP_2)
	v_sub_co_ci_u32_e32 v2, vcc_lo, v27, v2, vcc_lo
	s_waitcnt lgkmcnt(0)
	v_mul_lo_u32 v30, s37, v20
	s_delay_alu instid0(VALU_DEP_2) | instskip(SKIP_1) | instid1(VALU_DEP_1)
	v_mul_lo_u32 v2, s36, v2
	v_mad_u64_u32 v[26:27], null, s36, v20, v[24:25]
	v_add3_u32 v25, v30, v27, v2
	s_delay_alu instid0(VALU_DEP_2)
	v_mov_b32_e32 v24, v26
	s_cbranch_scc0 .LBB40_44
; %bb.43:                               ;   in Loop: Header=BB40_38 Depth=2
	v_dual_mov_b32 v26, v28 :: v_dual_mov_b32 v27, v29
	s_branch .LBB40_38
.LBB40_44:                              ;   in Loop: Header=BB40_8 Depth=1
	v_mul_lo_u32 v2, s17, v28
	v_mul_lo_u32 v20, s16, v29
	v_mad_u64_u32 v[26:27], null, s16, v28, 0
	v_lshlrev_b64 v[24:25], 2, v[24:25]
	s_delay_alu instid0(VALU_DEP_2) | instskip(NEXT) | instid1(VALU_DEP_1)
	v_add3_u32 v27, v27, v20, v2
	v_lshlrev_b64 v[26:27], 2, v[26:27]
	s_delay_alu instid0(VALU_DEP_1) | instskip(NEXT) | instid1(VALU_DEP_2)
	v_add_co_u32 v2, vcc_lo, s18, v26
	v_add_co_ci_u32_e32 v20, vcc_lo, s19, v27, vcc_lo
	s_delay_alu instid0(VALU_DEP_2) | instskip(NEXT) | instid1(VALU_DEP_2)
	v_add_co_u32 v24, vcc_lo, v2, v24
	v_add_co_ci_u32_e32 v25, vcc_lo, v20, v25, vcc_lo
	global_load_b32 v2, v[24:25], off
.LBB40_45:                              ;   in Loop: Header=BB40_8 Depth=1
	s_or_b32 exec_lo, exec_lo, s4
	v_add_co_u32 v24, vcc_lo, v21, s29
	v_add_co_ci_u32_e32 v25, vcc_lo, 0, v22, vcc_lo
	s_delay_alu instid0(VALU_DEP_1) | instskip(NEXT) | instid1(VALU_DEP_1)
	v_cmp_gt_u64_e64 s3, s[6:7], v[24:25]
	s_and_saveexec_b32 s34, s3
	s_cbranch_execnz .LBB40_50
; %bb.46:                               ;   in Loop: Header=BB40_8 Depth=1
	s_or_b32 exec_lo, exec_lo, s34
	s_and_saveexec_b32 s4, s0
	s_cbranch_execnz .LBB40_58
.LBB40_47:                              ;   in Loop: Header=BB40_8 Depth=1
	s_or_b32 exec_lo, exec_lo, s4
	s_and_saveexec_b32 s4, s1
	s_cbranch_execnz .LBB40_59
.LBB40_48:                              ;   in Loop: Header=BB40_8 Depth=1
	s_or_b32 exec_lo, exec_lo, s4
	s_and_saveexec_b32 s1, s2
	s_cbranch_execnz .LBB40_60
.LBB40_49:                              ;   in Loop: Header=BB40_8 Depth=1
	s_or_b32 exec_lo, exec_lo, s1
	s_and_saveexec_b32 s1, s3
	s_cbranch_execz .LBB40_7
	s_branch .LBB40_61
.LBB40_50:                              ;   in Loop: Header=BB40_8 Depth=1
	v_dual_mov_b32 v26, 0 :: v_dual_mov_b32 v29, v25
	v_dual_mov_b32 v27, 0 :: v_dual_mov_b32 v28, v24
	;; [unrolled: 1-line block ×3, first 2 shown]
	s_and_not1_b32 vcc_lo, exec_lo, s30
	s_mov_b64 s[22:23], s[20:21]
	s_mov_b32 s35, s33
	s_cbranch_vccnz .LBB40_57
.LBB40_51:                              ;   Parent Loop BB40_8 Depth=1
                                        ; =>  This Inner Loop Header: Depth=2
	s_load_b64 s[24:25], s[22:23], 0x0
                                        ; implicit-def: $vgpr30_vgpr31
	s_mov_b32 s4, exec_lo
	s_waitcnt lgkmcnt(0)
	v_or_b32_e32 v20, s25, v29
	s_delay_alu instid0(VALU_DEP_1)
	v_cmpx_ne_u64_e32 0, v[19:20]
	s_xor_b32 s36, exec_lo, s4
	s_cbranch_execz .LBB40_53
; %bb.52:                               ;   in Loop: Header=BB40_51 Depth=2
	v_cvt_f32_u32_e32 v3, s24
	v_cvt_f32_u32_e32 v20, s25
	s_sub_u32 s4, 0, s24
	s_subb_u32 s37, 0, s25
	s_delay_alu instid0(VALU_DEP_1) | instskip(NEXT) | instid1(VALU_DEP_1)
	v_fmac_f32_e32 v3, 0x4f800000, v20
	v_rcp_f32_e32 v3, v3
	s_waitcnt_depctr 0xfff
	v_mul_f32_e32 v3, 0x5f7ffffc, v3
	s_delay_alu instid0(VALU_DEP_1) | instskip(NEXT) | instid1(VALU_DEP_1)
	v_mul_f32_e32 v20, 0x2f800000, v3
	v_trunc_f32_e32 v20, v20
	s_delay_alu instid0(VALU_DEP_1) | instskip(SKIP_1) | instid1(VALU_DEP_2)
	v_fmac_f32_e32 v3, 0xcf800000, v20
	v_cvt_u32_f32_e32 v20, v20
	v_cvt_u32_f32_e32 v3, v3
	s_delay_alu instid0(VALU_DEP_2) | instskip(NEXT) | instid1(VALU_DEP_2)
	v_mul_lo_u32 v30, s4, v20
	v_mul_hi_u32 v31, s4, v3
	v_mul_lo_u32 v54, s37, v3
	s_delay_alu instid0(VALU_DEP_2) | instskip(SKIP_1) | instid1(VALU_DEP_2)
	v_add_nc_u32_e32 v30, v31, v30
	v_mul_lo_u32 v31, s4, v3
	v_add_nc_u32_e32 v30, v30, v54
	s_delay_alu instid0(VALU_DEP_2) | instskip(NEXT) | instid1(VALU_DEP_2)
	v_mul_hi_u32 v54, v3, v31
	v_mul_lo_u32 v55, v3, v30
	v_mul_hi_u32 v56, v3, v30
	v_mul_hi_u32 v57, v20, v31
	v_mul_lo_u32 v31, v20, v31
	v_mul_hi_u32 v58, v20, v30
	v_mul_lo_u32 v30, v20, v30
	v_add_co_u32 v54, vcc_lo, v54, v55
	v_add_co_ci_u32_e32 v55, vcc_lo, 0, v56, vcc_lo
	s_delay_alu instid0(VALU_DEP_2) | instskip(NEXT) | instid1(VALU_DEP_2)
	v_add_co_u32 v31, vcc_lo, v54, v31
	v_add_co_ci_u32_e32 v31, vcc_lo, v55, v57, vcc_lo
	v_add_co_ci_u32_e32 v54, vcc_lo, 0, v58, vcc_lo
	s_delay_alu instid0(VALU_DEP_2) | instskip(NEXT) | instid1(VALU_DEP_2)
	v_add_co_u32 v30, vcc_lo, v31, v30
	v_add_co_ci_u32_e32 v31, vcc_lo, 0, v54, vcc_lo
	s_delay_alu instid0(VALU_DEP_2) | instskip(NEXT) | instid1(VALU_DEP_2)
	v_add_co_u32 v3, vcc_lo, v3, v30
	v_add_co_ci_u32_e32 v20, vcc_lo, v20, v31, vcc_lo
	s_delay_alu instid0(VALU_DEP_2) | instskip(SKIP_1) | instid1(VALU_DEP_3)
	v_mul_hi_u32 v30, s4, v3
	v_mul_lo_u32 v54, s37, v3
	v_mul_lo_u32 v31, s4, v20
	s_delay_alu instid0(VALU_DEP_1) | instskip(SKIP_1) | instid1(VALU_DEP_2)
	v_add_nc_u32_e32 v30, v30, v31
	v_mul_lo_u32 v31, s4, v3
	v_add_nc_u32_e32 v30, v30, v54
	s_delay_alu instid0(VALU_DEP_2) | instskip(NEXT) | instid1(VALU_DEP_2)
	v_mul_hi_u32 v54, v3, v31
	v_mul_lo_u32 v55, v3, v30
	v_mul_hi_u32 v56, v3, v30
	v_mul_hi_u32 v57, v20, v31
	v_mul_lo_u32 v31, v20, v31
	v_mul_hi_u32 v58, v20, v30
	v_mul_lo_u32 v30, v20, v30
	v_add_co_u32 v54, vcc_lo, v54, v55
	v_add_co_ci_u32_e32 v55, vcc_lo, 0, v56, vcc_lo
	s_delay_alu instid0(VALU_DEP_2) | instskip(NEXT) | instid1(VALU_DEP_2)
	v_add_co_u32 v31, vcc_lo, v54, v31
	v_add_co_ci_u32_e32 v31, vcc_lo, v55, v57, vcc_lo
	v_add_co_ci_u32_e32 v54, vcc_lo, 0, v58, vcc_lo
	s_delay_alu instid0(VALU_DEP_2) | instskip(NEXT) | instid1(VALU_DEP_2)
	v_add_co_u32 v30, vcc_lo, v31, v30
	v_add_co_ci_u32_e32 v31, vcc_lo, 0, v54, vcc_lo
	s_delay_alu instid0(VALU_DEP_2) | instskip(NEXT) | instid1(VALU_DEP_2)
	v_add_co_u32 v3, vcc_lo, v3, v30
	v_add_co_ci_u32_e32 v20, vcc_lo, v20, v31, vcc_lo
	s_delay_alu instid0(VALU_DEP_2) | instskip(SKIP_1) | instid1(VALU_DEP_3)
	v_mul_hi_u32 v58, v28, v3
	v_mad_u64_u32 v[54:55], null, v29, v3, 0
	v_mad_u64_u32 v[30:31], null, v28, v20, 0
	;; [unrolled: 1-line block ×3, first 2 shown]
	s_delay_alu instid0(VALU_DEP_2) | instskip(NEXT) | instid1(VALU_DEP_3)
	v_add_co_u32 v3, vcc_lo, v58, v30
	v_add_co_ci_u32_e32 v20, vcc_lo, 0, v31, vcc_lo
	s_delay_alu instid0(VALU_DEP_2) | instskip(NEXT) | instid1(VALU_DEP_2)
	v_add_co_u32 v3, vcc_lo, v3, v54
	v_add_co_ci_u32_e32 v3, vcc_lo, v20, v55, vcc_lo
	v_add_co_ci_u32_e32 v20, vcc_lo, 0, v57, vcc_lo
	s_delay_alu instid0(VALU_DEP_2) | instskip(NEXT) | instid1(VALU_DEP_2)
	v_add_co_u32 v3, vcc_lo, v3, v56
	v_add_co_ci_u32_e32 v20, vcc_lo, 0, v20, vcc_lo
	s_delay_alu instid0(VALU_DEP_2) | instskip(SKIP_1) | instid1(VALU_DEP_3)
	v_mul_lo_u32 v54, s25, v3
	v_mad_u64_u32 v[30:31], null, s24, v3, 0
	v_mul_lo_u32 v55, s24, v20
	s_delay_alu instid0(VALU_DEP_2) | instskip(NEXT) | instid1(VALU_DEP_2)
	v_sub_co_u32 v30, vcc_lo, v28, v30
	v_add3_u32 v31, v31, v55, v54
	s_delay_alu instid0(VALU_DEP_1) | instskip(NEXT) | instid1(VALU_DEP_1)
	v_sub_nc_u32_e32 v54, v29, v31
	v_subrev_co_ci_u32_e64 v54, s4, s25, v54, vcc_lo
	v_add_co_u32 v55, s4, v3, 2
	s_delay_alu instid0(VALU_DEP_1) | instskip(SKIP_3) | instid1(VALU_DEP_3)
	v_add_co_ci_u32_e64 v56, s4, 0, v20, s4
	v_sub_co_u32 v57, s4, v30, s24
	v_sub_co_ci_u32_e32 v31, vcc_lo, v29, v31, vcc_lo
	v_subrev_co_ci_u32_e64 v54, s4, 0, v54, s4
	v_cmp_le_u32_e32 vcc_lo, s24, v57
	s_delay_alu instid0(VALU_DEP_3) | instskip(SKIP_1) | instid1(VALU_DEP_4)
	v_cmp_eq_u32_e64 s4, s25, v31
	v_cndmask_b32_e64 v57, 0, -1, vcc_lo
	v_cmp_le_u32_e32 vcc_lo, s25, v54
	v_cndmask_b32_e64 v58, 0, -1, vcc_lo
	v_cmp_le_u32_e32 vcc_lo, s24, v30
	;; [unrolled: 2-line block ×3, first 2 shown]
	v_cndmask_b32_e64 v59, 0, -1, vcc_lo
	v_cmp_eq_u32_e32 vcc_lo, s25, v54
	s_delay_alu instid0(VALU_DEP_2) | instskip(SKIP_3) | instid1(VALU_DEP_3)
	v_cndmask_b32_e64 v30, v59, v30, s4
	v_cndmask_b32_e32 v54, v58, v57, vcc_lo
	v_add_co_u32 v57, vcc_lo, v3, 1
	v_add_co_ci_u32_e32 v58, vcc_lo, 0, v20, vcc_lo
	v_cmp_ne_u32_e32 vcc_lo, 0, v54
	s_delay_alu instid0(VALU_DEP_2) | instskip(SKIP_1) | instid1(VALU_DEP_2)
	v_dual_cndmask_b32 v31, v58, v56 :: v_dual_cndmask_b32 v54, v57, v55
	v_cmp_ne_u32_e32 vcc_lo, 0, v30
	v_dual_cndmask_b32 v31, v20, v31 :: v_dual_cndmask_b32 v30, v3, v54
.LBB40_53:                              ;   in Loop: Header=BB40_51 Depth=2
	s_and_not1_saveexec_b32 s4, s36
	s_cbranch_execz .LBB40_55
; %bb.54:                               ;   in Loop: Header=BB40_51 Depth=2
	v_cvt_f32_u32_e32 v3, s24
	s_sub_i32 s36, 0, s24
	s_delay_alu instid0(VALU_DEP_1) | instskip(SKIP_2) | instid1(VALU_DEP_1)
	v_rcp_iflag_f32_e32 v3, v3
	s_waitcnt_depctr 0xfff
	v_mul_f32_e32 v3, 0x4f7ffffe, v3
	v_cvt_u32_f32_e32 v3, v3
	s_delay_alu instid0(VALU_DEP_1) | instskip(NEXT) | instid1(VALU_DEP_1)
	v_mul_lo_u32 v20, s36, v3
	v_mul_hi_u32 v20, v3, v20
	s_delay_alu instid0(VALU_DEP_1) | instskip(NEXT) | instid1(VALU_DEP_1)
	v_add_nc_u32_e32 v3, v3, v20
	v_mul_hi_u32 v3, v28, v3
	s_delay_alu instid0(VALU_DEP_1) | instskip(SKIP_1) | instid1(VALU_DEP_2)
	v_mul_lo_u32 v20, v3, s24
	v_add_nc_u32_e32 v30, 1, v3
	v_sub_nc_u32_e32 v20, v28, v20
	s_delay_alu instid0(VALU_DEP_1) | instskip(SKIP_1) | instid1(VALU_DEP_2)
	v_subrev_nc_u32_e32 v31, s24, v20
	v_cmp_le_u32_e32 vcc_lo, s24, v20
	v_dual_cndmask_b32 v20, v20, v31 :: v_dual_mov_b32 v31, v19
	v_cndmask_b32_e32 v3, v3, v30, vcc_lo
	s_delay_alu instid0(VALU_DEP_2) | instskip(NEXT) | instid1(VALU_DEP_2)
	v_cmp_le_u32_e32 vcc_lo, s24, v20
	v_add_nc_u32_e32 v30, 1, v3
	s_delay_alu instid0(VALU_DEP_1)
	v_cndmask_b32_e32 v30, v3, v30, vcc_lo
.LBB40_55:                              ;   in Loop: Header=BB40_51 Depth=2
	s_or_b32 exec_lo, exec_lo, s4
	s_load_b64 s[36:37], s[22:23], 0xc8
	v_mul_lo_u32 v3, v31, s24
	s_delay_alu instid0(VALU_DEP_2)
	v_mul_lo_u32 v20, v30, s25
	v_mad_u64_u32 v[54:55], null, v30, s24, 0
	s_add_i32 s35, s35, -1
	s_add_u32 s22, s22, -8
	s_addc_u32 s23, s23, -1
	s_cmp_gt_u32 s35, 2
	s_delay_alu instid0(VALU_DEP_1) | instskip(NEXT) | instid1(VALU_DEP_2)
	v_add3_u32 v3, v55, v20, v3
	v_sub_co_u32 v20, vcc_lo, v28, v54
	s_delay_alu instid0(VALU_DEP_2) | instskip(SKIP_1) | instid1(VALU_DEP_2)
	v_sub_co_ci_u32_e32 v3, vcc_lo, v29, v3, vcc_lo
	s_waitcnt lgkmcnt(0)
	v_mul_lo_u32 v54, s37, v20
	s_delay_alu instid0(VALU_DEP_2) | instskip(SKIP_1) | instid1(VALU_DEP_1)
	v_mul_lo_u32 v3, s36, v3
	v_mad_u64_u32 v[28:29], null, s36, v20, v[26:27]
	v_add3_u32 v27, v54, v29, v3
	s_delay_alu instid0(VALU_DEP_2)
	v_mov_b32_e32 v26, v28
	s_cbranch_scc0 .LBB40_57
; %bb.56:                               ;   in Loop: Header=BB40_51 Depth=2
	v_dual_mov_b32 v28, v30 :: v_dual_mov_b32 v29, v31
	s_branch .LBB40_51
.LBB40_57:                              ;   in Loop: Header=BB40_8 Depth=1
	v_mul_lo_u32 v3, s17, v30
	v_mul_lo_u32 v20, s16, v31
	v_mad_u64_u32 v[28:29], null, s16, v30, 0
	v_lshlrev_b64 v[26:27], 2, v[26:27]
	s_delay_alu instid0(VALU_DEP_2) | instskip(NEXT) | instid1(VALU_DEP_1)
	v_add3_u32 v29, v29, v20, v3
	v_lshlrev_b64 v[28:29], 2, v[28:29]
	s_delay_alu instid0(VALU_DEP_1) | instskip(NEXT) | instid1(VALU_DEP_2)
	v_add_co_u32 v3, vcc_lo, s18, v28
	v_add_co_ci_u32_e32 v20, vcc_lo, s19, v29, vcc_lo
	s_delay_alu instid0(VALU_DEP_2) | instskip(NEXT) | instid1(VALU_DEP_2)
	v_add_co_u32 v26, vcc_lo, v3, v26
	v_add_co_ci_u32_e32 v27, vcc_lo, v20, v27, vcc_lo
	global_load_b32 v3, v[26:27], off
	s_or_b32 exec_lo, exec_lo, s34
	s_and_saveexec_b32 s4, s0
	s_cbranch_execz .LBB40_47
.LBB40_58:                              ;   in Loop: Header=BB40_8 Depth=1
	v_cvt_f32_u32_e32 v4, v4
	v_mul_lo_u32 v20, v22, s10
	v_mul_lo_u32 v28, v21, s11
	v_mad_u64_u32 v[26:27], null, v21, s10, 0
	s_delay_alu instid0(VALU_DEP_4) | instskip(NEXT) | instid1(VALU_DEP_1)
	v_fmaak_f32 v4, 0x2f800000, v4, 0x2f800000
	v_cmp_gt_f32_e32 vcc_lo, s28, v4
	s_delay_alu instid0(VALU_DEP_3) | instskip(SKIP_1) | instid1(VALU_DEP_2)
	v_add3_u32 v27, v27, v28, v20
	v_cndmask_b32_e64 v4, 0, 1.0, vcc_lo
	v_lshlrev_b64 v[28:29], 2, v[26:27]
	v_add_co_u32 v26, s0, s12, v26
	s_delay_alu instid0(VALU_DEP_1) | instskip(SKIP_2) | instid1(VALU_DEP_4)
	v_add_co_ci_u32_e64 v27, s0, s13, v27, s0
	s_waitcnt vmcnt(0)
	v_mul_f32_e32 v4, v0, v4
	v_add_co_u32 v28, s0, s14, v28
	s_delay_alu instid0(VALU_DEP_1) | instskip(NEXT) | instid1(VALU_DEP_3)
	v_add_co_ci_u32_e64 v29, s0, s15, v29, s0
	v_mul_f32_e32 v4, v52, v4
	v_cndmask_b32_e64 v20, 0, 1, vcc_lo
	global_store_b32 v[28:29], v4, off
	global_store_b8 v[26:27], v20, off
	s_or_b32 exec_lo, exec_lo, s4
	s_and_saveexec_b32 s4, s1
	s_cbranch_execz .LBB40_48
.LBB40_59:                              ;   in Loop: Header=BB40_8 Depth=1
	v_cvt_f32_u32_e32 v5, v5
	v_mul_lo_u32 v4, v12, s10
	v_mul_lo_u32 v12, v11, s11
	v_mad_u64_u32 v[26:27], null, v11, s10, 0
	s_delay_alu instid0(VALU_DEP_4) | instskip(NEXT) | instid1(VALU_DEP_1)
	v_fmaak_f32 v5, 0x2f800000, v5, 0x2f800000
	v_cmp_gt_f32_e32 vcc_lo, s28, v5
	s_delay_alu instid0(VALU_DEP_3) | instskip(NEXT) | instid1(VALU_DEP_4)
	v_add3_u32 v27, v27, v12, v4
	v_add_co_u32 v11, s0, s12, v26
	v_cndmask_b32_e64 v20, 0, 1.0, vcc_lo
	s_delay_alu instid0(VALU_DEP_3) | instskip(SKIP_4) | instid1(VALU_DEP_4)
	v_lshlrev_b64 v[4:5], 2, v[26:27]
	v_add_co_ci_u32_e64 v12, s0, s13, v27, s0
	v_cndmask_b32_e64 v26, 0, 1, vcc_lo
	s_waitcnt vmcnt(0)
	v_mul_f32_e32 v20, v1, v20
	v_add_co_u32 v4, s0, s14, v4
	s_delay_alu instid0(VALU_DEP_1) | instskip(NEXT) | instid1(VALU_DEP_3)
	v_add_co_ci_u32_e64 v5, s0, s15, v5, s0
	v_mul_f32_e32 v20, v52, v20
	global_store_b32 v[4:5], v20, off
	global_store_b8 v[11:12], v26, off
	s_or_b32 exec_lo, exec_lo, s4
	s_and_saveexec_b32 s1, s2
	s_cbranch_execz .LBB40_49
.LBB40_60:                              ;   in Loop: Header=BB40_8 Depth=1
	v_cvt_f32_u32_e32 v6, v6
	v_mul_lo_u32 v11, v14, s10
	v_mul_lo_u32 v12, v13, s11
	v_mad_u64_u32 v[4:5], null, v13, s10, 0
	s_delay_alu instid0(VALU_DEP_4) | instskip(NEXT) | instid1(VALU_DEP_1)
	v_fmaak_f32 v6, 0x2f800000, v6, 0x2f800000
	v_cmp_gt_f32_e32 vcc_lo, s28, v6
	s_delay_alu instid0(VALU_DEP_3) | instskip(SKIP_1) | instid1(VALU_DEP_2)
	v_add3_u32 v5, v5, v12, v11
	v_cndmask_b32_e64 v6, 0, 1.0, vcc_lo
	v_lshlrev_b64 v[11:12], 2, v[4:5]
	v_add_co_u32 v4, s0, s12, v4
	s_delay_alu instid0(VALU_DEP_1) | instskip(SKIP_2) | instid1(VALU_DEP_4)
	v_add_co_ci_u32_e64 v5, s0, s13, v5, s0
	s_waitcnt vmcnt(0)
	v_mul_f32_e32 v6, v2, v6
	v_add_co_u32 v11, s0, s14, v11
	s_delay_alu instid0(VALU_DEP_1) | instskip(NEXT) | instid1(VALU_DEP_3)
	v_add_co_ci_u32_e64 v12, s0, s15, v12, s0
	v_mul_f32_e32 v6, v52, v6
	v_cndmask_b32_e64 v13, 0, 1, vcc_lo
	global_store_b32 v[11:12], v6, off
	global_store_b8 v[4:5], v13, off
	s_or_b32 exec_lo, exec_lo, s1
	s_and_saveexec_b32 s1, s3
	s_cbranch_execz .LBB40_7
.LBB40_61:                              ;   in Loop: Header=BB40_8 Depth=1
	v_cvt_f32_u32_e32 v7, v7
	v_mul_lo_u32 v6, v25, s10
	v_mul_lo_u32 v11, v24, s11
	v_mad_u64_u32 v[4:5], null, v24, s10, 0
	s_delay_alu instid0(VALU_DEP_4) | instskip(NEXT) | instid1(VALU_DEP_1)
	v_fmaak_f32 v7, 0x2f800000, v7, 0x2f800000
	v_cmp_gt_f32_e32 vcc_lo, s28, v7
	s_delay_alu instid0(VALU_DEP_3) | instskip(SKIP_1) | instid1(VALU_DEP_2)
	v_add3_u32 v5, v5, v11, v6
	v_cndmask_b32_e64 v11, 0, 1.0, vcc_lo
	v_lshlrev_b64 v[6:7], 2, v[4:5]
	v_add_co_u32 v4, s0, s12, v4
	s_delay_alu instid0(VALU_DEP_1) | instskip(SKIP_2) | instid1(VALU_DEP_4)
	v_add_co_ci_u32_e64 v5, s0, s13, v5, s0
	s_waitcnt vmcnt(0)
	v_mul_f32_e32 v11, v3, v11
	v_add_co_u32 v6, s0, s14, v6
	s_delay_alu instid0(VALU_DEP_1) | instskip(NEXT) | instid1(VALU_DEP_3)
	v_add_co_ci_u32_e64 v7, s0, s15, v7, s0
	v_mul_f32_e32 v11, v52, v11
	v_cndmask_b32_e64 v12, 0, 1, vcc_lo
	global_store_b32 v[6:7], v11, off
	global_store_b8 v[4:5], v12, off
	s_branch .LBB40_7
.LBB40_62:
	s_endpgm
.LBB40_63:
                                        ; implicit-def: $sgpr2_sgpr3
	s_branch .LBB40_4
	.section	.rodata,"a",@progbits
	.p2align	6, 0x0
	.amdhsa_kernel _ZN2at6native12_GLOBAL__N_120fused_dropout_kernelIffmLin1ELi1EbEEvNS_4cuda6detail10TensorInfoIKT_T1_EENS5_IS6_S8_EENS5_IT4_S8_EES8_T0_NS_15PhiloxCudaStateE
		.amdhsa_group_segment_fixed_size 0
		.amdhsa_private_segment_fixed_size 0
		.amdhsa_kernarg_size 1552
		.amdhsa_user_sgpr_count 15
		.amdhsa_user_sgpr_dispatch_ptr 0
		.amdhsa_user_sgpr_queue_ptr 0
		.amdhsa_user_sgpr_kernarg_segment_ptr 1
		.amdhsa_user_sgpr_dispatch_id 0
		.amdhsa_user_sgpr_private_segment_size 0
		.amdhsa_wavefront_size32 1
		.amdhsa_uses_dynamic_stack 0
		.amdhsa_enable_private_segment 0
		.amdhsa_system_sgpr_workgroup_id_x 1
		.amdhsa_system_sgpr_workgroup_id_y 0
		.amdhsa_system_sgpr_workgroup_id_z 0
		.amdhsa_system_sgpr_workgroup_info 0
		.amdhsa_system_vgpr_workitem_id 0
		.amdhsa_next_free_vgpr 60
		.amdhsa_next_free_sgpr 38
		.amdhsa_reserve_vcc 1
		.amdhsa_float_round_mode_32 0
		.amdhsa_float_round_mode_16_64 0
		.amdhsa_float_denorm_mode_32 3
		.amdhsa_float_denorm_mode_16_64 3
		.amdhsa_dx10_clamp 1
		.amdhsa_ieee_mode 1
		.amdhsa_fp16_overflow 0
		.amdhsa_workgroup_processor_mode 1
		.amdhsa_memory_ordered 1
		.amdhsa_forward_progress 0
		.amdhsa_shared_vgpr_count 0
		.amdhsa_exception_fp_ieee_invalid_op 0
		.amdhsa_exception_fp_denorm_src 0
		.amdhsa_exception_fp_ieee_div_zero 0
		.amdhsa_exception_fp_ieee_overflow 0
		.amdhsa_exception_fp_ieee_underflow 0
		.amdhsa_exception_fp_ieee_inexact 0
		.amdhsa_exception_int_div_zero 0
	.end_amdhsa_kernel
	.section	.text._ZN2at6native12_GLOBAL__N_120fused_dropout_kernelIffmLin1ELi1EbEEvNS_4cuda6detail10TensorInfoIKT_T1_EENS5_IS6_S8_EENS5_IT4_S8_EES8_T0_NS_15PhiloxCudaStateE,"axG",@progbits,_ZN2at6native12_GLOBAL__N_120fused_dropout_kernelIffmLin1ELi1EbEEvNS_4cuda6detail10TensorInfoIKT_T1_EENS5_IS6_S8_EENS5_IT4_S8_EES8_T0_NS_15PhiloxCudaStateE,comdat
.Lfunc_end40:
	.size	_ZN2at6native12_GLOBAL__N_120fused_dropout_kernelIffmLin1ELi1EbEEvNS_4cuda6detail10TensorInfoIKT_T1_EENS5_IS6_S8_EENS5_IT4_S8_EES8_T0_NS_15PhiloxCudaStateE, .Lfunc_end40-_ZN2at6native12_GLOBAL__N_120fused_dropout_kernelIffmLin1ELi1EbEEvNS_4cuda6detail10TensorInfoIKT_T1_EENS5_IS6_S8_EENS5_IT4_S8_EES8_T0_NS_15PhiloxCudaStateE
                                        ; -- End function
	.section	.AMDGPU.csdata,"",@progbits
; Kernel info:
; codeLenInByte = 8164
; NumSgprs: 40
; NumVgprs: 60
; ScratchSize: 0
; MemoryBound: 0
; FloatMode: 240
; IeeeMode: 1
; LDSByteSize: 0 bytes/workgroup (compile time only)
; SGPRBlocks: 4
; VGPRBlocks: 7
; NumSGPRsForWavesPerEU: 40
; NumVGPRsForWavesPerEU: 60
; Occupancy: 16
; WaveLimiterHint : 1
; COMPUTE_PGM_RSRC2:SCRATCH_EN: 0
; COMPUTE_PGM_RSRC2:USER_SGPR: 15
; COMPUTE_PGM_RSRC2:TRAP_HANDLER: 0
; COMPUTE_PGM_RSRC2:TGID_X_EN: 1
; COMPUTE_PGM_RSRC2:TGID_Y_EN: 0
; COMPUTE_PGM_RSRC2:TGID_Z_EN: 0
; COMPUTE_PGM_RSRC2:TIDIG_COMP_CNT: 0
	.section	.text._ZN2at6native12_GLOBAL__N_120fused_dropout_kernelIffmLin1ELin1EbEEvNS_4cuda6detail10TensorInfoIKT_T1_EENS5_IS6_S8_EENS5_IT4_S8_EES8_T0_NS_15PhiloxCudaStateE,"axG",@progbits,_ZN2at6native12_GLOBAL__N_120fused_dropout_kernelIffmLin1ELin1EbEEvNS_4cuda6detail10TensorInfoIKT_T1_EENS5_IS6_S8_EENS5_IT4_S8_EES8_T0_NS_15PhiloxCudaStateE,comdat
	.globl	_ZN2at6native12_GLOBAL__N_120fused_dropout_kernelIffmLin1ELin1EbEEvNS_4cuda6detail10TensorInfoIKT_T1_EENS5_IS6_S8_EENS5_IT4_S8_EES8_T0_NS_15PhiloxCudaStateE ; -- Begin function _ZN2at6native12_GLOBAL__N_120fused_dropout_kernelIffmLin1ELin1EbEEvNS_4cuda6detail10TensorInfoIKT_T1_EENS5_IS6_S8_EENS5_IT4_S8_EES8_T0_NS_15PhiloxCudaStateE
	.p2align	8
	.type	_ZN2at6native12_GLOBAL__N_120fused_dropout_kernelIffmLin1ELin1EbEEvNS_4cuda6detail10TensorInfoIKT_T1_EENS5_IS6_S8_EENS5_IT4_S8_EES8_T0_NS_15PhiloxCudaStateE,@function
_ZN2at6native12_GLOBAL__N_120fused_dropout_kernelIffmLin1ELin1EbEEvNS_4cuda6detail10TensorInfoIKT_T1_EENS5_IS6_S8_EENS5_IT4_S8_EES8_T0_NS_15PhiloxCudaStateE: ; @_ZN2at6native12_GLOBAL__N_120fused_dropout_kernelIffmLin1ELin1EbEEvNS_4cuda6detail10TensorInfoIKT_T1_EENS5_IS6_S8_EENS5_IT4_S8_EES8_T0_NS_15PhiloxCudaStateE
; %bb.0:
	s_clause 0x1
	s_load_b128 s[4:7], s[0:1], 0x4f0
	s_load_b32 s2, s[0:1], 0x508
	s_waitcnt lgkmcnt(0)
	v_dual_mov_b32 v1, s6 :: v_dual_mov_b32 v2, s7
	v_dual_mov_b32 v16, s5 :: v_dual_mov_b32 v15, s4
	s_bitcmp0_b32 s2, 0
	s_mov_b32 s2, 0
	s_cbranch_scc1 .LBB41_2
; %bb.1:
	v_dual_mov_b32 v1, s6 :: v_dual_mov_b32 v2, s7
	v_dual_mov_b32 v3, s4 :: v_dual_mov_b32 v4, s5
	s_load_b64 s[4:5], s[0:1], 0x500
	flat_load_b64 v[1:2], v[1:2]
	flat_load_b64 v[15:16], v[3:4]
	s_waitcnt vmcnt(1) lgkmcnt(0)
	v_add_co_u32 v1, vcc_lo, v1, s4
	v_add_co_ci_u32_e32 v2, vcc_lo, s5, v2, vcc_lo
.LBB41_2:
	s_clause 0x2
	s_load_b32 s3, s[0:1], 0x51c
	s_load_b64 s[6:7], s[0:1], 0x4e0
	s_load_b32 s4, s[0:1], 0x510
	s_waitcnt lgkmcnt(0)
	s_and_b32 s5, s3, 0xffff
	s_add_u32 s8, s6, -1
	s_mul_i32 s28, s4, s5
	s_addc_u32 s3, s7, -1
	s_lshl_b32 s29, s28, 2
	s_cmp_lg_u64 s[2:3], 0
	s_cbranch_scc0 .LBB41_88
; %bb.3:
	v_cvt_f32_u32_e32 v3, s29
	s_sub_u32 s10, 0, s29
	s_subb_u32 s11, 0, 0
	s_delay_alu instid0(VALU_DEP_1) | instskip(NEXT) | instid1(VALU_DEP_1)
	v_fmamk_f32 v3, 0, 0x4f800000, v3
	v_rcp_f32_e32 v3, v3
	s_waitcnt_depctr 0xfff
	v_mul_f32_e32 v3, 0x5f7ffffc, v3
	s_delay_alu instid0(VALU_DEP_1) | instskip(NEXT) | instid1(VALU_DEP_1)
	v_mul_f32_e32 v4, 0x2f800000, v3
	v_trunc_f32_e32 v4, v4
	s_delay_alu instid0(VALU_DEP_1) | instskip(SKIP_1) | instid1(VALU_DEP_2)
	v_fmamk_f32 v3, v4, 0xcf800000, v3
	v_cvt_u32_f32_e32 v4, v4
	v_cvt_u32_f32_e32 v3, v3
	s_delay_alu instid0(VALU_DEP_2) | instskip(NEXT) | instid1(VALU_DEP_2)
	v_readfirstlane_b32 s2, v4
	v_readfirstlane_b32 s9, v3
	s_delay_alu instid0(VALU_DEP_2) | instskip(NEXT) | instid1(VALU_DEP_1)
	s_mul_i32 s12, s10, s2
	s_mul_hi_u32 s14, s10, s9
	s_mul_i32 s13, s11, s9
	s_add_i32 s12, s14, s12
	s_mul_i32 s16, s10, s9
	s_add_i32 s12, s12, s13
	s_mul_hi_u32 s14, s9, s16
	s_mul_hi_u32 s17, s2, s16
	s_mul_i32 s13, s2, s16
	s_mul_hi_u32 s16, s9, s12
	s_mul_i32 s9, s9, s12
	s_mul_hi_u32 s18, s2, s12
	s_add_u32 s9, s14, s9
	s_addc_u32 s14, 0, s16
	s_add_u32 s9, s9, s13
	s_mul_i32 s12, s2, s12
	s_addc_u32 s9, s14, s17
	s_addc_u32 s13, s18, 0
	s_add_u32 s9, s9, s12
	s_addc_u32 s12, 0, s13
	v_add_co_u32 v3, s9, v3, s9
	s_delay_alu instid0(VALU_DEP_1) | instskip(SKIP_1) | instid1(VALU_DEP_1)
	s_cmp_lg_u32 s9, 0
	s_addc_u32 s2, s2, s12
	v_readfirstlane_b32 s9, v3
	s_mul_i32 s12, s10, s2
	s_delay_alu instid0(VALU_DEP_1)
	s_mul_hi_u32 s13, s10, s9
	s_mul_i32 s11, s11, s9
	s_add_i32 s12, s13, s12
	s_mul_i32 s10, s10, s9
	s_add_i32 s12, s12, s11
	s_mul_hi_u32 s13, s2, s10
	s_mul_i32 s14, s2, s10
	s_mul_hi_u32 s10, s9, s10
	s_mul_hi_u32 s16, s9, s12
	s_mul_i32 s9, s9, s12
	s_mul_hi_u32 s11, s2, s12
	s_add_u32 s9, s10, s9
	s_addc_u32 s10, 0, s16
	s_add_u32 s9, s9, s14
	s_mul_i32 s12, s2, s12
	s_addc_u32 s9, s10, s13
	s_addc_u32 s10, s11, 0
	s_add_u32 s9, s9, s12
	s_addc_u32 s10, 0, s10
	v_add_co_u32 v3, s9, v3, s9
	s_delay_alu instid0(VALU_DEP_1) | instskip(SKIP_1) | instid1(VALU_DEP_1)
	s_cmp_lg_u32 s9, 0
	s_addc_u32 s2, s2, s10
	v_readfirstlane_b32 s9, v3
	s_mul_i32 s11, s8, s2
	s_mul_hi_u32 s10, s8, s2
	s_mul_hi_u32 s12, s3, s2
	s_mul_i32 s2, s3, s2
	s_mul_hi_u32 s13, s8, s9
	s_mul_hi_u32 s14, s3, s9
	s_mul_i32 s9, s3, s9
	s_add_u32 s11, s13, s11
	s_addc_u32 s10, 0, s10
	s_add_u32 s9, s11, s9
	s_addc_u32 s9, s10, s14
	s_addc_u32 s10, s12, 0
	s_add_u32 s2, s9, s2
	s_addc_u32 s10, 0, s10
	s_mul_i32 s11, s29, s2
	s_add_u32 s9, s2, 1
	v_sub_co_u32 v3, s11, s8, s11
	s_mul_hi_u32 s12, s29, s2
	s_addc_u32 s13, s10, 0
	s_mul_i32 s14, s29, s10
	s_delay_alu instid0(VALU_DEP_1)
	v_sub_co_u32 v4, s16, v3, s29
	s_add_u32 s17, s2, 2
	s_addc_u32 s18, s10, 0
	s_add_i32 s12, s12, s14
	s_cmp_lg_u32 s11, 0
	v_readfirstlane_b32 s11, v4
	s_subb_u32 s3, s3, s12
	s_cmp_lg_u32 s16, 0
	s_subb_u32 s12, s3, 0
	s_delay_alu instid0(VALU_DEP_1) | instskip(SKIP_4) | instid1(SALU_CYCLE_1)
	s_cmp_ge_u32 s11, s29
	s_cselect_b32 s11, -1, 0
	s_cmp_eq_u32 s12, 0
	v_readfirstlane_b32 s12, v3
	s_cselect_b32 s11, s11, -1
	s_cmp_lg_u32 s11, 0
	s_cselect_b32 s11, s17, s9
	s_cselect_b32 s13, s18, s13
	s_cmp_ge_u32 s12, s29
	s_cselect_b32 s9, -1, 0
	s_cmp_eq_u32 s3, 0
	s_cselect_b32 s3, s9, -1
	s_delay_alu instid0(SALU_CYCLE_1)
	s_cmp_lg_u32 s3, 0
	s_cselect_b32 s3, s13, s10
	s_cselect_b32 s2, s11, s2
	s_cbranch_execnz .LBB41_5
.LBB41_4:
	v_cvt_f32_u32_e32 v3, s29
	s_sub_i32 s3, 0, s29
	s_delay_alu instid0(VALU_DEP_1) | instskip(SKIP_2) | instid1(VALU_DEP_1)
	v_rcp_iflag_f32_e32 v3, v3
	s_waitcnt_depctr 0xfff
	v_mul_f32_e32 v3, 0x4f7ffffe, v3
	v_cvt_u32_f32_e32 v3, v3
	s_delay_alu instid0(VALU_DEP_1) | instskip(NEXT) | instid1(VALU_DEP_1)
	v_readfirstlane_b32 s2, v3
	s_mul_i32 s3, s3, s2
	s_delay_alu instid0(SALU_CYCLE_1) | instskip(NEXT) | instid1(SALU_CYCLE_1)
	s_mul_hi_u32 s3, s2, s3
	s_add_i32 s2, s2, s3
	s_delay_alu instid0(SALU_CYCLE_1) | instskip(NEXT) | instid1(SALU_CYCLE_1)
	s_mul_hi_u32 s2, s8, s2
	s_mul_i32 s3, s2, s29
	s_delay_alu instid0(SALU_CYCLE_1)
	s_sub_i32 s3, s8, s3
	s_add_i32 s8, s2, 1
	s_sub_i32 s9, s3, s29
	s_cmp_ge_u32 s3, s29
	s_cselect_b32 s2, s8, s2
	s_cselect_b32 s3, s9, s3
	s_add_i32 s8, s2, 1
	s_cmp_ge_u32 s3, s29
	s_mov_b32 s3, 0
	s_cselect_b32 s2, s8, s2
.LBB41_5:
	s_delay_alu instid0(SALU_CYCLE_1)
	s_add_u32 s2, s2, 1
	s_addc_u32 s3, s3, 0
	v_mov_b32_e32 v19, 0
	v_mad_u64_u32 v[17:18], null, s15, s5, v[0:1]
	s_mul_i32 s3, s28, s3
	s_mul_hi_u32 s8, s28, s2
	s_mul_hi_u32 s4, s4, s5
	s_add_i32 s3, s8, s3
	s_mul_i32 s4, s4, s2
	v_mov_b32_e32 v18, v19
	s_add_i32 s3, s3, s4
	s_mul_i32 s2, s28, s2
	s_delay_alu instid0(SALU_CYCLE_1)
	s_lshl_b64 s[8:9], s[2:3], 2
	s_mov_b32 s2, exec_lo
	v_cmpx_gt_u64_e64 s[8:9], v[17:18]
	s_cbranch_execz .LBB41_87
; %bb.6:
	v_alignbit_b32 v32, v2, v1, 2
	v_mad_u64_u32 v[3:4], null, 0xcd9e8d57, v17, 0
	v_lshrrev_b32_e32 v33, 2, v2
	s_waitcnt vmcnt(0)
	v_dual_mov_b32 v10, v16 :: v_dual_add_nc_u32 v39, 0x8ff34781, v15
	v_mad_u64_u32 v[5:6], null, 0xd2511f53, v32, 0
	v_add_co_u32 v35, null, 0x9e3779b9, v15
	v_xor3_b32 v0, v15, v4, v33
	s_delay_alu instid0(VALU_DEP_4) | instskip(SKIP_2) | instid1(VALU_DEP_4)
	v_add_co_u32 v34, null, 0xbb67ae85, v10
	v_add_co_u32 v36, null, 0x3c6ef372, v15
	v_xor_b32_e32 v2, v6, v16
	v_mad_u64_u32 v[6:7], null, 0xd2511f53, v0, 0
	v_add_co_u32 v37, null, 0x76cf5d0a, v10
	s_delay_alu instid0(VALU_DEP_3)
	v_mad_u64_u32 v[8:9], null, 0xcd9e8d57, v2, 0
	v_and_b32_e32 v38, 3, v1
	v_add_co_u32 v41, null, 0x32370b8f, v10
	v_xor3_b32 v0, v34, v7, v5
	v_add_co_u32 v42, null, 0xdaa66d2b, v15
	v_xor3_b32 v7, v9, v35, v3
	s_clause 0x1
	s_load_b32 s30, s[0:1], 0x4e8
	s_load_b64 s[18:19], s[0:1], 0x270
	v_mad_u64_u32 v[2:3], null, 0xcd9e8d57, v0, 0
	v_mad_u64_u32 v[4:5], null, 0xd2511f53, v7, 0
	v_add_co_u32 v44, null, 0x78dde6e4, v15
	v_add_co_u32 v45, null, 0xed9eba14, v10
	s_delay_alu instid0(VALU_DEP_4) | instskip(SKIP_3) | instid1(VALU_DEP_4)
	v_xor3_b32 v3, v36, v3, v8
	v_add_co_u32 v46, null, 0x1715609d, v15
	v_xor3_b32 v7, v5, v37, v6
	v_add_co_u32 v47, null, 0xa9066899, v10
	v_mad_u64_u32 v[0:1], null, 0xd2511f53, v3, 0
	s_delay_alu instid0(VALU_DEP_3) | instskip(SKIP_4) | instid1(VALU_DEP_4)
	v_mad_u64_u32 v[5:6], null, 0xcd9e8d57, v7, 0
	s_waitcnt lgkmcnt(0)
	v_div_scale_f32 v11, null, s30, s30, 1.0
	s_load_b64 s[12:13], s[0:1], 0x1a0
	v_add_co_u32 v43, null, 0xb54cda56, v15
	v_xor3_b32 v3, v41, v1, v4
	s_delay_alu instid0(VALU_DEP_4) | instskip(SKIP_2) | instid1(VALU_DEP_3)
	v_xor3_b32 v6, v6, v42, v2
	v_rcp_f32_e32 v12, v11
	v_add_co_u32 v50, null, 0x646e171e, v10
	v_mad_u64_u32 v[1:2], null, 0xcd9e8d57, v3, 0
	s_delay_alu instid0(VALU_DEP_3)
	v_mad_u64_u32 v[3:4], null, 0xd2511f53, v6, 0
	s_clause 0x2
	s_load_b32 s20, s[0:1], 0x198
	s_load_b64 s[10:11], s[0:1], 0x340
	s_load_b32 s23, s[0:1], 0x338
	v_add_co_u32 v48, null, 0x5384540f, v15
	s_delay_alu instid0(VALU_DEP_3) | instskip(SKIP_3) | instid1(VALU_DEP_4)
	v_xor3_b32 v2, v44, v2, v5
	v_add_co_u32 v51, null, 0x1fd5c5a3, v10
	v_xor3_b32 v0, v4, v45, v0
	v_add_co_u32 v49, null, 0xf1bbcdc8, v15
	v_mad_u64_u32 v[4:5], null, 0xd2511f53, v2, 0
	s_delay_alu instid0(VALU_DEP_3) | instskip(SKIP_3) | instid1(VALU_DEP_3)
	v_mad_u64_u32 v[6:7], null, 0xcd9e8d57, v0, 0
	v_add_co_u32 v52, null, 0xdb3d7428, v10
	s_add_u32 s22, s0, 0x1a0
	s_addc_u32 s24, s1, 0
	v_xor3_b32 v2, v47, v5, v3
	s_clause 0x1
	s_load_b64 s[14:15], s[0:1], 0xd0
	s_load_b64 s[16:17], s[0:1], 0x0
	v_xor3_b32 v5, v7, v46, v1
	v_div_scale_f32 v7, vcc_lo, 1.0, s30, 1.0
	v_mad_u64_u32 v[0:1], null, 0xcd9e8d57, v2, 0
	s_delay_alu instid0(VALU_DEP_3)
	v_mad_u64_u32 v[2:3], null, 0xd2511f53, v5, 0
	v_fma_f32 v5, -v11, v12, 1.0
	s_waitcnt lgkmcnt(0)
	s_cmp_gt_i32 s20, 1
	s_mov_b32 s5, 0
	s_cselect_b32 s31, -1, 0
	s_delay_alu instid0(VALU_DEP_3)
	v_xor3_b32 v1, v43, v1, v6
	v_fmac_f32_e32 v12, v5, v12
	v_xor3_b32 v8, v3, v50, v4
	s_cmp_gt_i32 s23, 1
	v_dual_mov_b32 v22, v18 :: v_dual_mov_b32 v21, v17
	v_mad_u64_u32 v[3:4], null, 0xd2511f53, v1, 0
	s_delay_alu instid0(VALU_DEP_3) | instskip(SKIP_4) | instid1(VALU_DEP_3)
	v_mad_u64_u32 v[5:6], null, 0xcd9e8d57, v8, 0
	v_mul_f32_e32 v13, v7, v12
	s_cselect_b32 s33, -1, 0
	s_add_i32 s4, s20, -1
	s_lshl_b32 s34, s28, 1
	v_xor3_b32 v2, v51, v4, v2
	v_mov_b32_e32 v18, 0
	s_delay_alu instid0(VALU_DEP_4) | instskip(SKIP_3) | instid1(VALU_DEP_3)
	v_xor3_b32 v4, v6, v48, v0
	v_fma_f32 v6, -v11, v13, v7
	s_lshl_b64 s[2:3], s[4:5], 3
	v_mad_u64_u32 v[0:1], null, 0xcd9e8d57, v2, 0
	v_mad_u64_u32 v[8:9], null, 0xd2511f53, v4, 0
	s_delay_alu instid0(VALU_DEP_3) | instskip(SKIP_3) | instid1(VALU_DEP_3)
	v_fmac_f32_e32 v13, v6, v12
	s_add_i32 s35, s20, 1
	s_add_u32 s0, s2, s0
	s_addc_u32 s1, s3, s1
	v_xor3_b32 v4, v49, v1, v5
	v_fma_f32 v7, -v11, v13, v7
	s_delay_alu instid0(VALU_DEP_4) | instskip(SKIP_3) | instid1(VALU_DEP_2)
	v_xor3_b32 v3, v9, v52, v3
	s_add_u32 s20, s0, 8
	s_addc_u32 s21, s1, 0
	v_mad_u64_u32 v[1:2], null, 0xd2511f53, v4, 0
	v_mad_u64_u32 v[5:6], null, 0xcd9e8d57, v3, 0
	v_add_nc_u32_e32 v40, 0x96a522ad, v16
	v_div_fmas_f32 v3, v7, v12, v13
	s_add_i32 s4, s23, -1
	s_add_i32 s37, s23, 1
	s_delay_alu instid0(VALU_DEP_4)
	v_mov_b32_e32 v7, v1
	s_lshl_b64 s[0:1], s[4:5], 3
	v_div_fixup_f32 v53, v3, s30, 1.0
	v_xor3_b32 v4, v0, v6, v39
	v_xor3_b32 v6, v2, v8, v40
	s_add_u32 s0, s0, s22
	s_addc_u32 s1, s1, s24
	s_add_u32 s22, s0, 8
	s_mul_i32 s36, s28, 3
	s_addc_u32 s23, s1, 0
                                        ; implicit-def: $vgpr0_vgpr1_vgpr2_vgpr3
	s_branch .LBB41_9
.LBB41_7:                               ;   in Loop: Header=BB41_9 Depth=1
	v_cvt_f32_u32_e32 v6, v7
	s_delay_alu instid0(VALU_DEP_3) | instskip(NEXT) | instid1(VALU_DEP_3)
	v_mad_u64_u32 v[13:14], null, s18, v11, v[4:5]
	v_mul_lo_u32 v4, s18, v12
	v_mul_lo_u32 v5, s19, v11
	s_delay_alu instid0(VALU_DEP_4) | instskip(NEXT) | instid1(VALU_DEP_1)
	v_fmaak_f32 v6, 0x2f800000, v6, 0x2f800000
	v_cmp_gt_f32_e32 vcc_lo, s30, v6
	v_add_co_u32 v6, s0, s10, v13
	s_delay_alu instid0(VALU_DEP_4) | instskip(SKIP_2) | instid1(VALU_DEP_3)
	v_add3_u32 v14, v5, v14, v4
	v_cndmask_b32_e64 v11, 0, 1.0, vcc_lo
	v_cndmask_b32_e64 v12, 0, 1, vcc_lo
	v_lshlrev_b64 v[4:5], 2, v[13:14]
	v_add_co_ci_u32_e64 v7, s0, s11, v14, s0
	s_waitcnt vmcnt(0)
	v_mul_f32_e32 v11, v3, v11
	s_delay_alu instid0(VALU_DEP_3) | instskip(NEXT) | instid1(VALU_DEP_1)
	v_add_co_u32 v4, s0, s12, v4
	v_add_co_ci_u32_e64 v5, s0, s13, v5, s0
	s_delay_alu instid0(VALU_DEP_3)
	v_mul_f32_e32 v11, v53, v11
	global_store_b32 v[4:5], v11, off
	global_store_b8 v[6:7], v12, off
.LBB41_8:                               ;   in Loop: Header=BB41_9 Depth=1
	s_or_b32 exec_lo, exec_lo, s1
	v_add_co_u32 v21, vcc_lo, v21, s29
	v_add_co_ci_u32_e32 v22, vcc_lo, 0, v22, vcc_lo
	v_mov_b32_e32 v11, v23
	v_dual_mov_b32 v4, v8 :: v_dual_mov_b32 v5, v9
	s_delay_alu instid0(VALU_DEP_3) | instskip(NEXT) | instid1(VALU_DEP_3)
	v_cmp_le_u64_e32 vcc_lo, s[8:9], v[21:22]
	v_dual_mov_b32 v6, v10 :: v_dual_mov_b32 v7, v11
	s_waitcnt vmcnt(0)
	s_waitcnt_vscnt null, 0x0
	s_barrier
	buffer_gl0_inv
	s_or_b32 s5, vcc_lo, s5
	s_delay_alu instid0(SALU_CYCLE_1)
	s_and_not1_b32 exec_lo, exec_lo, s5
	s_cbranch_execz .LBB41_87
.LBB41_9:                               ; =>This Loop Header: Depth=1
                                        ;     Child Loop BB41_21 Depth 2
                                        ;     Child Loop BB41_30 Depth 2
	;; [unrolled: 1-line block ×8, first 2 shown]
	v_add_co_u32 v32, vcc_lo, v32, 1
	s_delay_alu instid0(VALU_DEP_1) | instskip(SKIP_2) | instid1(VALU_DEP_1)
	v_cndmask_b32_e64 v8, 0, 1, vcc_lo
	v_add_co_ci_u32_e32 v33, vcc_lo, 0, v33, vcc_lo
	s_mov_b32 s0, exec_lo
	v_cmp_eq_u32_e32 vcc_lo, 0, v33
	s_delay_alu instid0(VALU_DEP_3) | instskip(NEXT) | instid1(VALU_DEP_1)
	v_cndmask_b32_e32 v8, 0, v8, vcc_lo
	v_add_nc_u32_e32 v17, v8, v17
	s_delay_alu instid0(VALU_DEP_1) | instskip(SKIP_2) | instid1(VALU_DEP_2)
	v_cmp_eq_u32_e32 vcc_lo, 0, v17
	v_cndmask_b32_e32 v8, 0, v8, vcc_lo
	v_mad_u64_u32 v[10:11], null, 0xcd9e8d57, v17, 0
	v_add_nc_u32_e32 v18, v8, v18
	v_mad_u64_u32 v[8:9], null, 0xd2511f53, v32, 0
	s_delay_alu instid0(VALU_DEP_3) | instskip(NEXT) | instid1(VALU_DEP_2)
	v_xor3_b32 v13, v11, v15, v33
	v_xor_b32_e32 v9, v9, v16
	s_delay_alu instid0(VALU_DEP_2) | instskip(NEXT) | instid1(VALU_DEP_2)
	v_mad_u64_u32 v[11:12], null, 0xd2511f53, v13, 0
	v_xor_b32_e32 v9, v18, v9
	s_delay_alu instid0(VALU_DEP_2) | instskip(NEXT) | instid1(VALU_DEP_2)
	v_xor3_b32 v12, v34, v12, v8
	v_mad_u64_u32 v[13:14], null, 0xcd9e8d57, v9, 0
	s_delay_alu instid0(VALU_DEP_2) | instskip(NEXT) | instid1(VALU_DEP_2)
	v_mad_u64_u32 v[8:9], null, 0xcd9e8d57, v12, 0
	v_xor3_b32 v10, v35, v14, v10
	s_delay_alu instid0(VALU_DEP_2) | instskip(NEXT) | instid1(VALU_DEP_2)
	v_xor3_b32 v12, v36, v9, v13
	v_mad_u64_u32 v[23:24], null, 0xd2511f53, v10, 0
	s_delay_alu instid0(VALU_DEP_2) | instskip(NEXT) | instid1(VALU_DEP_2)
	v_mad_u64_u32 v[9:10], null, 0xd2511f53, v12, 0
	v_xor3_b32 v13, v37, v24, v11
	s_delay_alu instid0(VALU_DEP_2) | instskip(NEXT) | instid1(VALU_DEP_2)
	v_xor3_b32 v10, v41, v10, v23
	v_mad_u64_u32 v[11:12], null, 0xcd9e8d57, v13, 0
	s_delay_alu instid0(VALU_DEP_1) | instskip(NEXT) | instid1(VALU_DEP_3)
	v_xor3_b32 v8, v42, v12, v8
	v_mad_u64_u32 v[12:13], null, 0xcd9e8d57, v10, 0
	s_delay_alu instid0(VALU_DEP_2) | instskip(NEXT) | instid1(VALU_DEP_2)
	v_mad_u64_u32 v[23:24], null, 0xd2511f53, v8, 0
	v_xor3_b32 v10, v44, v13, v11
	s_delay_alu instid0(VALU_DEP_2) | instskip(NEXT) | instid1(VALU_DEP_2)
	v_xor3_b32 v13, v45, v24, v9
	v_mad_u64_u32 v[8:9], null, 0xd2511f53, v10, 0
	s_delay_alu instid0(VALU_DEP_2) | instskip(NEXT) | instid1(VALU_DEP_2)
	v_mad_u64_u32 v[10:11], null, 0xcd9e8d57, v13, 0
	v_xor3_b32 v9, v47, v9, v23
	s_delay_alu instid0(VALU_DEP_2) | instskip(NEXT) | instid1(VALU_DEP_2)
	;; [unrolled: 6-line block ×6, first 2 shown]
	v_xor3_b32 v8, v10, v11, v39
	v_mov_b32_e32 v10, v14
	v_cmpx_lt_i32_e32 1, v38
	s_xor_b32 s0, exec_lo, s0
	s_cbranch_execnz .LBB41_12
; %bb.10:                               ;   in Loop: Header=BB41_9 Depth=1
	s_and_not1_saveexec_b32 s0, s0
	s_cbranch_execnz .LBB41_17
.LBB41_11:                              ;   in Loop: Header=BB41_9 Depth=1
	s_or_b32 exec_lo, exec_lo, s0
	v_cmp_gt_u64_e64 s3, s[6:7], v[21:22]
	s_delay_alu instid0(VALU_DEP_1)
	s_and_saveexec_b32 s1, s3
	s_cbranch_execnz .LBB41_20
	s_branch .LBB41_28
.LBB41_12:                              ;   in Loop: Header=BB41_9 Depth=1
	s_mov_b32 s1, exec_lo
	v_cmpx_lt_i32_e32 2, v38
	s_xor_b32 s1, exec_lo, s1
; %bb.13:                               ;   in Loop: Header=BB41_9 Depth=1
	v_dual_mov_b32 v11, v7 :: v_dual_mov_b32 v12, v8
	v_mov_b32_e32 v13, v9
	s_delay_alu instid0(VALU_DEP_2) | instskip(NEXT) | instid1(VALU_DEP_2)
	v_dual_mov_b32 v4, v11 :: v_dual_mov_b32 v5, v12
	v_dual_mov_b32 v6, v13 :: v_dual_mov_b32 v7, v14
; %bb.14:                               ;   in Loop: Header=BB41_9 Depth=1
	s_and_not1_saveexec_b32 s1, s1
; %bb.15:                               ;   in Loop: Header=BB41_9 Depth=1
	s_delay_alu instid0(VALU_DEP_1)
	v_dual_mov_b32 v4, v6 :: v_dual_mov_b32 v5, v7
	v_dual_mov_b32 v6, v8 :: v_dual_mov_b32 v7, v9
; %bb.16:                               ;   in Loop: Header=BB41_9 Depth=1
	s_or_b32 exec_lo, exec_lo, s1
	s_and_not1_saveexec_b32 s0, s0
	s_cbranch_execz .LBB41_11
.LBB41_17:                              ;   in Loop: Header=BB41_9 Depth=1
	s_mov_b32 s1, exec_lo
	v_cmpx_eq_u32_e32 1, v38
; %bb.18:                               ;   in Loop: Header=BB41_9 Depth=1
	v_dual_mov_b32 v4, v5 :: v_dual_mov_b32 v5, v6
	v_dual_mov_b32 v6, v7 :: v_dual_mov_b32 v7, v8
; %bb.19:                               ;   in Loop: Header=BB41_9 Depth=1
	s_or_b32 exec_lo, exec_lo, s1
	s_delay_alu instid0(SALU_CYCLE_1) | instskip(SKIP_1) | instid1(VALU_DEP_1)
	s_or_b32 exec_lo, exec_lo, s0
	v_cmp_gt_u64_e64 s3, s[6:7], v[21:22]
	s_and_saveexec_b32 s1, s3
	s_cbranch_execz .LBB41_28
.LBB41_20:                              ;   in Loop: Header=BB41_9 Depth=1
	v_mov_b32_e32 v11, 0
	v_dual_mov_b32 v12, 0 :: v_dual_mov_b32 v13, v21
	v_mov_b32_e32 v14, v22
	v_dual_mov_b32 v25, v22 :: v_dual_mov_b32 v24, v21
	s_and_not1_b32 vcc_lo, exec_lo, s31
	s_mov_b64 s[24:25], s[20:21]
	s_mov_b32 s2, s35
	s_cbranch_vccnz .LBB41_27
.LBB41_21:                              ;   Parent Loop BB41_9 Depth=1
                                        ; =>  This Inner Loop Header: Depth=2
	s_load_b64 s[26:27], s[24:25], 0x0
                                        ; implicit-def: $vgpr24_vgpr25
	s_mov_b32 s0, exec_lo
	s_waitcnt lgkmcnt(0)
	v_or_b32_e32 v20, s27, v14
	s_delay_alu instid0(VALU_DEP_1)
	v_cmpx_ne_u64_e32 0, v[19:20]
	s_xor_b32 s4, exec_lo, s0
	s_cbranch_execz .LBB41_23
; %bb.22:                               ;   in Loop: Header=BB41_21 Depth=2
	v_cvt_f32_u32_e32 v0, s26
	v_cvt_f32_u32_e32 v20, s27
	s_sub_u32 s0, 0, s26
	s_subb_u32 s38, 0, s27
	s_delay_alu instid0(VALU_DEP_1) | instskip(NEXT) | instid1(VALU_DEP_1)
	v_fmac_f32_e32 v0, 0x4f800000, v20
	v_rcp_f32_e32 v0, v0
	s_waitcnt_depctr 0xfff
	v_mul_f32_e32 v0, 0x5f7ffffc, v0
	s_delay_alu instid0(VALU_DEP_1) | instskip(NEXT) | instid1(VALU_DEP_1)
	v_mul_f32_e32 v20, 0x2f800000, v0
	v_trunc_f32_e32 v20, v20
	s_delay_alu instid0(VALU_DEP_1) | instskip(SKIP_1) | instid1(VALU_DEP_2)
	v_fmac_f32_e32 v0, 0xcf800000, v20
	v_cvt_u32_f32_e32 v20, v20
	v_cvt_u32_f32_e32 v0, v0
	s_delay_alu instid0(VALU_DEP_2) | instskip(NEXT) | instid1(VALU_DEP_2)
	v_mul_lo_u32 v24, s0, v20
	v_mul_hi_u32 v25, s0, v0
	v_mul_lo_u32 v26, s38, v0
	s_delay_alu instid0(VALU_DEP_2) | instskip(SKIP_1) | instid1(VALU_DEP_2)
	v_add_nc_u32_e32 v24, v25, v24
	v_mul_lo_u32 v25, s0, v0
	v_add_nc_u32_e32 v24, v24, v26
	s_delay_alu instid0(VALU_DEP_2) | instskip(NEXT) | instid1(VALU_DEP_2)
	v_mul_hi_u32 v26, v0, v25
	v_mul_lo_u32 v27, v0, v24
	v_mul_hi_u32 v28, v0, v24
	v_mul_hi_u32 v29, v20, v25
	v_mul_lo_u32 v25, v20, v25
	v_mul_hi_u32 v30, v20, v24
	v_mul_lo_u32 v24, v20, v24
	v_add_co_u32 v26, vcc_lo, v26, v27
	v_add_co_ci_u32_e32 v27, vcc_lo, 0, v28, vcc_lo
	s_delay_alu instid0(VALU_DEP_2) | instskip(NEXT) | instid1(VALU_DEP_2)
	v_add_co_u32 v25, vcc_lo, v26, v25
	v_add_co_ci_u32_e32 v25, vcc_lo, v27, v29, vcc_lo
	v_add_co_ci_u32_e32 v26, vcc_lo, 0, v30, vcc_lo
	s_delay_alu instid0(VALU_DEP_2) | instskip(NEXT) | instid1(VALU_DEP_2)
	v_add_co_u32 v24, vcc_lo, v25, v24
	v_add_co_ci_u32_e32 v25, vcc_lo, 0, v26, vcc_lo
	s_delay_alu instid0(VALU_DEP_2) | instskip(NEXT) | instid1(VALU_DEP_2)
	v_add_co_u32 v0, vcc_lo, v0, v24
	v_add_co_ci_u32_e32 v20, vcc_lo, v20, v25, vcc_lo
	s_delay_alu instid0(VALU_DEP_2) | instskip(SKIP_1) | instid1(VALU_DEP_3)
	v_mul_hi_u32 v24, s0, v0
	v_mul_lo_u32 v26, s38, v0
	v_mul_lo_u32 v25, s0, v20
	s_delay_alu instid0(VALU_DEP_1) | instskip(SKIP_1) | instid1(VALU_DEP_2)
	v_add_nc_u32_e32 v24, v24, v25
	v_mul_lo_u32 v25, s0, v0
	v_add_nc_u32_e32 v24, v24, v26
	s_delay_alu instid0(VALU_DEP_2) | instskip(NEXT) | instid1(VALU_DEP_2)
	v_mul_hi_u32 v26, v0, v25
	v_mul_lo_u32 v27, v0, v24
	v_mul_hi_u32 v28, v0, v24
	v_mul_hi_u32 v29, v20, v25
	v_mul_lo_u32 v25, v20, v25
	v_mul_hi_u32 v30, v20, v24
	v_mul_lo_u32 v24, v20, v24
	v_add_co_u32 v26, vcc_lo, v26, v27
	v_add_co_ci_u32_e32 v27, vcc_lo, 0, v28, vcc_lo
	s_delay_alu instid0(VALU_DEP_2) | instskip(NEXT) | instid1(VALU_DEP_2)
	v_add_co_u32 v25, vcc_lo, v26, v25
	v_add_co_ci_u32_e32 v25, vcc_lo, v27, v29, vcc_lo
	v_add_co_ci_u32_e32 v26, vcc_lo, 0, v30, vcc_lo
	s_delay_alu instid0(VALU_DEP_2) | instskip(NEXT) | instid1(VALU_DEP_2)
	v_add_co_u32 v24, vcc_lo, v25, v24
	v_add_co_ci_u32_e32 v25, vcc_lo, 0, v26, vcc_lo
	s_delay_alu instid0(VALU_DEP_2) | instskip(NEXT) | instid1(VALU_DEP_2)
	v_add_co_u32 v0, vcc_lo, v0, v24
	v_add_co_ci_u32_e32 v20, vcc_lo, v20, v25, vcc_lo
	s_delay_alu instid0(VALU_DEP_2) | instskip(SKIP_1) | instid1(VALU_DEP_3)
	v_mul_hi_u32 v30, v13, v0
	v_mad_u64_u32 v[26:27], null, v14, v0, 0
	v_mad_u64_u32 v[24:25], null, v13, v20, 0
	;; [unrolled: 1-line block ×3, first 2 shown]
	s_delay_alu instid0(VALU_DEP_2) | instskip(NEXT) | instid1(VALU_DEP_3)
	v_add_co_u32 v0, vcc_lo, v30, v24
	v_add_co_ci_u32_e32 v20, vcc_lo, 0, v25, vcc_lo
	s_delay_alu instid0(VALU_DEP_2) | instskip(NEXT) | instid1(VALU_DEP_2)
	v_add_co_u32 v0, vcc_lo, v0, v26
	v_add_co_ci_u32_e32 v0, vcc_lo, v20, v27, vcc_lo
	v_add_co_ci_u32_e32 v20, vcc_lo, 0, v29, vcc_lo
	s_delay_alu instid0(VALU_DEP_2) | instskip(NEXT) | instid1(VALU_DEP_2)
	v_add_co_u32 v0, vcc_lo, v0, v28
	v_add_co_ci_u32_e32 v20, vcc_lo, 0, v20, vcc_lo
	s_delay_alu instid0(VALU_DEP_2) | instskip(SKIP_1) | instid1(VALU_DEP_3)
	v_mul_lo_u32 v26, s27, v0
	v_mad_u64_u32 v[24:25], null, s26, v0, 0
	v_mul_lo_u32 v27, s26, v20
	s_delay_alu instid0(VALU_DEP_2) | instskip(NEXT) | instid1(VALU_DEP_2)
	v_sub_co_u32 v24, vcc_lo, v13, v24
	v_add3_u32 v25, v25, v27, v26
	s_delay_alu instid0(VALU_DEP_1) | instskip(NEXT) | instid1(VALU_DEP_1)
	v_sub_nc_u32_e32 v26, v14, v25
	v_subrev_co_ci_u32_e64 v26, s0, s27, v26, vcc_lo
	v_add_co_u32 v27, s0, v0, 2
	s_delay_alu instid0(VALU_DEP_1) | instskip(SKIP_3) | instid1(VALU_DEP_3)
	v_add_co_ci_u32_e64 v28, s0, 0, v20, s0
	v_sub_co_u32 v29, s0, v24, s26
	v_sub_co_ci_u32_e32 v25, vcc_lo, v14, v25, vcc_lo
	v_subrev_co_ci_u32_e64 v26, s0, 0, v26, s0
	v_cmp_le_u32_e32 vcc_lo, s26, v29
	s_delay_alu instid0(VALU_DEP_3) | instskip(SKIP_1) | instid1(VALU_DEP_4)
	v_cmp_eq_u32_e64 s0, s27, v25
	v_cndmask_b32_e64 v29, 0, -1, vcc_lo
	v_cmp_le_u32_e32 vcc_lo, s27, v26
	v_cndmask_b32_e64 v30, 0, -1, vcc_lo
	v_cmp_le_u32_e32 vcc_lo, s26, v24
	;; [unrolled: 2-line block ×3, first 2 shown]
	v_cndmask_b32_e64 v31, 0, -1, vcc_lo
	v_cmp_eq_u32_e32 vcc_lo, s27, v26
	s_delay_alu instid0(VALU_DEP_2) | instskip(SKIP_3) | instid1(VALU_DEP_3)
	v_cndmask_b32_e64 v24, v31, v24, s0
	v_cndmask_b32_e32 v26, v30, v29, vcc_lo
	v_add_co_u32 v29, vcc_lo, v0, 1
	v_add_co_ci_u32_e32 v30, vcc_lo, 0, v20, vcc_lo
	v_cmp_ne_u32_e32 vcc_lo, 0, v26
	s_delay_alu instid0(VALU_DEP_2) | instskip(SKIP_1) | instid1(VALU_DEP_2)
	v_dual_cndmask_b32 v25, v30, v28 :: v_dual_cndmask_b32 v26, v29, v27
	v_cmp_ne_u32_e32 vcc_lo, 0, v24
	v_cndmask_b32_e32 v25, v20, v25, vcc_lo
	s_delay_alu instid0(VALU_DEP_3)
	v_cndmask_b32_e32 v24, v0, v26, vcc_lo
.LBB41_23:                              ;   in Loop: Header=BB41_21 Depth=2
	s_and_not1_saveexec_b32 s0, s4
	s_cbranch_execz .LBB41_25
; %bb.24:                               ;   in Loop: Header=BB41_21 Depth=2
	v_cvt_f32_u32_e32 v0, s26
	s_sub_i32 s4, 0, s26
	s_delay_alu instid0(VALU_DEP_1) | instskip(SKIP_2) | instid1(VALU_DEP_1)
	v_rcp_iflag_f32_e32 v0, v0
	s_waitcnt_depctr 0xfff
	v_mul_f32_e32 v0, 0x4f7ffffe, v0
	v_cvt_u32_f32_e32 v0, v0
	s_delay_alu instid0(VALU_DEP_1) | instskip(NEXT) | instid1(VALU_DEP_1)
	v_mul_lo_u32 v20, s4, v0
	v_mul_hi_u32 v20, v0, v20
	s_delay_alu instid0(VALU_DEP_1) | instskip(NEXT) | instid1(VALU_DEP_1)
	v_add_nc_u32_e32 v0, v0, v20
	v_mul_hi_u32 v0, v13, v0
	s_delay_alu instid0(VALU_DEP_1) | instskip(SKIP_1) | instid1(VALU_DEP_2)
	v_mul_lo_u32 v20, v0, s26
	v_add_nc_u32_e32 v24, 1, v0
	v_sub_nc_u32_e32 v20, v13, v20
	s_delay_alu instid0(VALU_DEP_1) | instskip(SKIP_1) | instid1(VALU_DEP_2)
	v_subrev_nc_u32_e32 v25, s26, v20
	v_cmp_le_u32_e32 vcc_lo, s26, v20
	v_dual_cndmask_b32 v20, v20, v25 :: v_dual_mov_b32 v25, v19
	v_cndmask_b32_e32 v0, v0, v24, vcc_lo
	s_delay_alu instid0(VALU_DEP_2) | instskip(NEXT) | instid1(VALU_DEP_2)
	v_cmp_le_u32_e32 vcc_lo, s26, v20
	v_add_nc_u32_e32 v24, 1, v0
	s_delay_alu instid0(VALU_DEP_1)
	v_cndmask_b32_e32 v24, v0, v24, vcc_lo
.LBB41_25:                              ;   in Loop: Header=BB41_21 Depth=2
	s_or_b32 exec_lo, exec_lo, s0
	s_load_b64 s[38:39], s[24:25], 0xc8
	v_mul_lo_u32 v0, v25, s26
	s_delay_alu instid0(VALU_DEP_2)
	v_mul_lo_u32 v20, v24, s27
	v_mad_u64_u32 v[26:27], null, v24, s26, 0
	s_add_i32 s2, s2, -1
	s_add_u32 s24, s24, -8
	s_addc_u32 s25, s25, -1
	s_cmp_gt_u32 s2, 2
	s_delay_alu instid0(VALU_DEP_1) | instskip(NEXT) | instid1(VALU_DEP_2)
	v_add3_u32 v0, v27, v20, v0
	v_sub_co_u32 v20, vcc_lo, v13, v26
	s_delay_alu instid0(VALU_DEP_2) | instskip(SKIP_1) | instid1(VALU_DEP_2)
	v_sub_co_ci_u32_e32 v0, vcc_lo, v14, v0, vcc_lo
	s_waitcnt lgkmcnt(0)
	v_mul_lo_u32 v26, s39, v20
	s_delay_alu instid0(VALU_DEP_2) | instskip(SKIP_1) | instid1(VALU_DEP_1)
	v_mul_lo_u32 v0, s38, v0
	v_mad_u64_u32 v[13:14], null, s38, v20, v[11:12]
	v_add3_u32 v12, v26, v14, v0
	s_delay_alu instid0(VALU_DEP_2)
	v_mov_b32_e32 v11, v13
	s_cbranch_scc0 .LBB41_27
; %bb.26:                               ;   in Loop: Header=BB41_21 Depth=2
	v_dual_mov_b32 v13, v24 :: v_dual_mov_b32 v14, v25
	s_branch .LBB41_21
.LBB41_27:                              ;   in Loop: Header=BB41_9 Depth=1
	v_mul_lo_u32 v0, s15, v24
	v_mul_lo_u32 v20, s14, v25
	v_mad_u64_u32 v[13:14], null, s14, v24, 0
	v_lshlrev_b64 v[11:12], 2, v[11:12]
	s_delay_alu instid0(VALU_DEP_2) | instskip(NEXT) | instid1(VALU_DEP_1)
	v_add3_u32 v14, v14, v20, v0
	v_lshlrev_b64 v[13:14], 2, v[13:14]
	s_delay_alu instid0(VALU_DEP_1) | instskip(NEXT) | instid1(VALU_DEP_2)
	v_add_co_u32 v0, vcc_lo, s16, v13
	v_add_co_ci_u32_e32 v13, vcc_lo, s17, v14, vcc_lo
	s_delay_alu instid0(VALU_DEP_2) | instskip(NEXT) | instid1(VALU_DEP_2)
	v_add_co_u32 v11, vcc_lo, v0, v11
	v_add_co_ci_u32_e32 v12, vcc_lo, v13, v12, vcc_lo
	global_load_b32 v0, v[11:12], off
.LBB41_28:                              ;   in Loop: Header=BB41_9 Depth=1
	s_or_b32 exec_lo, exec_lo, s1
	v_add_co_u32 v24, vcc_lo, v21, s28
	v_add_co_ci_u32_e32 v25, vcc_lo, 0, v22, vcc_lo
	s_delay_alu instid0(VALU_DEP_1) | instskip(NEXT) | instid1(VALU_DEP_1)
	v_cmp_gt_u64_e64 s2, s[6:7], v[24:25]
	s_and_saveexec_b32 s1, s2
	s_cbranch_execz .LBB41_37
; %bb.29:                               ;   in Loop: Header=BB41_9 Depth=1
	v_mov_b32_e32 v11, 0
	v_dual_mov_b32 v12, 0 :: v_dual_mov_b32 v13, v24
	v_mov_b32_e32 v14, v25
	v_dual_mov_b32 v27, v25 :: v_dual_mov_b32 v26, v24
	s_and_not1_b32 vcc_lo, exec_lo, s31
	s_mov_b64 s[24:25], s[20:21]
	s_mov_b32 s4, s35
	s_cbranch_vccnz .LBB41_36
.LBB41_30:                              ;   Parent Loop BB41_9 Depth=1
                                        ; =>  This Inner Loop Header: Depth=2
	s_load_b64 s[26:27], s[24:25], 0x0
                                        ; implicit-def: $vgpr26_vgpr27
	s_mov_b32 s0, exec_lo
	s_waitcnt lgkmcnt(0)
	v_or_b32_e32 v20, s27, v14
	s_delay_alu instid0(VALU_DEP_1)
	v_cmpx_ne_u64_e32 0, v[19:20]
	s_xor_b32 s38, exec_lo, s0
	s_cbranch_execz .LBB41_32
; %bb.31:                               ;   in Loop: Header=BB41_30 Depth=2
	v_cvt_f32_u32_e32 v1, s26
	v_cvt_f32_u32_e32 v20, s27
	s_sub_u32 s0, 0, s26
	s_subb_u32 s39, 0, s27
	s_delay_alu instid0(VALU_DEP_1) | instskip(NEXT) | instid1(VALU_DEP_1)
	v_fmac_f32_e32 v1, 0x4f800000, v20
	v_rcp_f32_e32 v1, v1
	s_waitcnt_depctr 0xfff
	v_mul_f32_e32 v1, 0x5f7ffffc, v1
	s_delay_alu instid0(VALU_DEP_1) | instskip(NEXT) | instid1(VALU_DEP_1)
	v_mul_f32_e32 v20, 0x2f800000, v1
	v_trunc_f32_e32 v20, v20
	s_delay_alu instid0(VALU_DEP_1) | instskip(SKIP_1) | instid1(VALU_DEP_2)
	v_fmac_f32_e32 v1, 0xcf800000, v20
	v_cvt_u32_f32_e32 v20, v20
	v_cvt_u32_f32_e32 v1, v1
	s_delay_alu instid0(VALU_DEP_2) | instskip(NEXT) | instid1(VALU_DEP_2)
	v_mul_lo_u32 v26, s0, v20
	v_mul_hi_u32 v27, s0, v1
	v_mul_lo_u32 v28, s39, v1
	s_delay_alu instid0(VALU_DEP_2) | instskip(SKIP_1) | instid1(VALU_DEP_2)
	v_add_nc_u32_e32 v26, v27, v26
	v_mul_lo_u32 v27, s0, v1
	v_add_nc_u32_e32 v26, v26, v28
	s_delay_alu instid0(VALU_DEP_2) | instskip(NEXT) | instid1(VALU_DEP_2)
	v_mul_hi_u32 v28, v1, v27
	v_mul_lo_u32 v29, v1, v26
	v_mul_hi_u32 v30, v1, v26
	v_mul_hi_u32 v31, v20, v27
	v_mul_lo_u32 v27, v20, v27
	v_mul_hi_u32 v54, v20, v26
	v_mul_lo_u32 v26, v20, v26
	v_add_co_u32 v28, vcc_lo, v28, v29
	v_add_co_ci_u32_e32 v29, vcc_lo, 0, v30, vcc_lo
	s_delay_alu instid0(VALU_DEP_2) | instskip(NEXT) | instid1(VALU_DEP_2)
	v_add_co_u32 v27, vcc_lo, v28, v27
	v_add_co_ci_u32_e32 v27, vcc_lo, v29, v31, vcc_lo
	v_add_co_ci_u32_e32 v28, vcc_lo, 0, v54, vcc_lo
	s_delay_alu instid0(VALU_DEP_2) | instskip(NEXT) | instid1(VALU_DEP_2)
	v_add_co_u32 v26, vcc_lo, v27, v26
	v_add_co_ci_u32_e32 v27, vcc_lo, 0, v28, vcc_lo
	s_delay_alu instid0(VALU_DEP_2) | instskip(NEXT) | instid1(VALU_DEP_2)
	v_add_co_u32 v1, vcc_lo, v1, v26
	v_add_co_ci_u32_e32 v20, vcc_lo, v20, v27, vcc_lo
	s_delay_alu instid0(VALU_DEP_2) | instskip(SKIP_1) | instid1(VALU_DEP_3)
	v_mul_hi_u32 v26, s0, v1
	v_mul_lo_u32 v28, s39, v1
	v_mul_lo_u32 v27, s0, v20
	s_delay_alu instid0(VALU_DEP_1) | instskip(SKIP_1) | instid1(VALU_DEP_2)
	v_add_nc_u32_e32 v26, v26, v27
	v_mul_lo_u32 v27, s0, v1
	v_add_nc_u32_e32 v26, v26, v28
	s_delay_alu instid0(VALU_DEP_2) | instskip(NEXT) | instid1(VALU_DEP_2)
	v_mul_hi_u32 v28, v1, v27
	v_mul_lo_u32 v29, v1, v26
	v_mul_hi_u32 v30, v1, v26
	v_mul_hi_u32 v31, v20, v27
	v_mul_lo_u32 v27, v20, v27
	v_mul_hi_u32 v54, v20, v26
	v_mul_lo_u32 v26, v20, v26
	v_add_co_u32 v28, vcc_lo, v28, v29
	v_add_co_ci_u32_e32 v29, vcc_lo, 0, v30, vcc_lo
	s_delay_alu instid0(VALU_DEP_2) | instskip(NEXT) | instid1(VALU_DEP_2)
	v_add_co_u32 v27, vcc_lo, v28, v27
	v_add_co_ci_u32_e32 v27, vcc_lo, v29, v31, vcc_lo
	v_add_co_ci_u32_e32 v28, vcc_lo, 0, v54, vcc_lo
	s_delay_alu instid0(VALU_DEP_2) | instskip(NEXT) | instid1(VALU_DEP_2)
	v_add_co_u32 v26, vcc_lo, v27, v26
	v_add_co_ci_u32_e32 v27, vcc_lo, 0, v28, vcc_lo
	s_delay_alu instid0(VALU_DEP_2) | instskip(NEXT) | instid1(VALU_DEP_2)
	v_add_co_u32 v1, vcc_lo, v1, v26
	v_add_co_ci_u32_e32 v20, vcc_lo, v20, v27, vcc_lo
	s_delay_alu instid0(VALU_DEP_2) | instskip(SKIP_1) | instid1(VALU_DEP_3)
	v_mul_hi_u32 v54, v13, v1
	v_mad_u64_u32 v[28:29], null, v14, v1, 0
	v_mad_u64_u32 v[26:27], null, v13, v20, 0
	v_mad_u64_u32 v[30:31], null, v14, v20, 0
	s_delay_alu instid0(VALU_DEP_2) | instskip(NEXT) | instid1(VALU_DEP_3)
	v_add_co_u32 v1, vcc_lo, v54, v26
	v_add_co_ci_u32_e32 v20, vcc_lo, 0, v27, vcc_lo
	s_delay_alu instid0(VALU_DEP_2) | instskip(NEXT) | instid1(VALU_DEP_2)
	v_add_co_u32 v1, vcc_lo, v1, v28
	v_add_co_ci_u32_e32 v1, vcc_lo, v20, v29, vcc_lo
	v_add_co_ci_u32_e32 v20, vcc_lo, 0, v31, vcc_lo
	s_delay_alu instid0(VALU_DEP_2) | instskip(NEXT) | instid1(VALU_DEP_2)
	v_add_co_u32 v1, vcc_lo, v1, v30
	v_add_co_ci_u32_e32 v20, vcc_lo, 0, v20, vcc_lo
	s_delay_alu instid0(VALU_DEP_2) | instskip(SKIP_1) | instid1(VALU_DEP_3)
	v_mul_lo_u32 v28, s27, v1
	v_mad_u64_u32 v[26:27], null, s26, v1, 0
	v_mul_lo_u32 v29, s26, v20
	s_delay_alu instid0(VALU_DEP_2) | instskip(NEXT) | instid1(VALU_DEP_2)
	v_sub_co_u32 v26, vcc_lo, v13, v26
	v_add3_u32 v27, v27, v29, v28
	s_delay_alu instid0(VALU_DEP_1) | instskip(NEXT) | instid1(VALU_DEP_1)
	v_sub_nc_u32_e32 v28, v14, v27
	v_subrev_co_ci_u32_e64 v28, s0, s27, v28, vcc_lo
	v_add_co_u32 v29, s0, v1, 2
	s_delay_alu instid0(VALU_DEP_1) | instskip(SKIP_3) | instid1(VALU_DEP_3)
	v_add_co_ci_u32_e64 v30, s0, 0, v20, s0
	v_sub_co_u32 v31, s0, v26, s26
	v_sub_co_ci_u32_e32 v27, vcc_lo, v14, v27, vcc_lo
	v_subrev_co_ci_u32_e64 v28, s0, 0, v28, s0
	v_cmp_le_u32_e32 vcc_lo, s26, v31
	s_delay_alu instid0(VALU_DEP_3) | instskip(SKIP_1) | instid1(VALU_DEP_4)
	v_cmp_eq_u32_e64 s0, s27, v27
	v_cndmask_b32_e64 v31, 0, -1, vcc_lo
	v_cmp_le_u32_e32 vcc_lo, s27, v28
	v_cndmask_b32_e64 v54, 0, -1, vcc_lo
	v_cmp_le_u32_e32 vcc_lo, s26, v26
	;; [unrolled: 2-line block ×3, first 2 shown]
	v_cndmask_b32_e64 v55, 0, -1, vcc_lo
	v_cmp_eq_u32_e32 vcc_lo, s27, v28
	s_delay_alu instid0(VALU_DEP_2) | instskip(SKIP_3) | instid1(VALU_DEP_3)
	v_cndmask_b32_e64 v26, v55, v26, s0
	v_cndmask_b32_e32 v28, v54, v31, vcc_lo
	v_add_co_u32 v31, vcc_lo, v1, 1
	v_add_co_ci_u32_e32 v54, vcc_lo, 0, v20, vcc_lo
	v_cmp_ne_u32_e32 vcc_lo, 0, v28
	s_delay_alu instid0(VALU_DEP_2) | instskip(SKIP_1) | instid1(VALU_DEP_2)
	v_dual_cndmask_b32 v27, v54, v30 :: v_dual_cndmask_b32 v28, v31, v29
	v_cmp_ne_u32_e32 vcc_lo, 0, v26
	v_dual_cndmask_b32 v27, v20, v27 :: v_dual_cndmask_b32 v26, v1, v28
.LBB41_32:                              ;   in Loop: Header=BB41_30 Depth=2
	s_and_not1_saveexec_b32 s0, s38
	s_cbranch_execz .LBB41_34
; %bb.33:                               ;   in Loop: Header=BB41_30 Depth=2
	v_cvt_f32_u32_e32 v1, s26
	s_sub_i32 s38, 0, s26
	s_delay_alu instid0(VALU_DEP_1) | instskip(SKIP_2) | instid1(VALU_DEP_1)
	v_rcp_iflag_f32_e32 v1, v1
	s_waitcnt_depctr 0xfff
	v_mul_f32_e32 v1, 0x4f7ffffe, v1
	v_cvt_u32_f32_e32 v1, v1
	s_delay_alu instid0(VALU_DEP_1) | instskip(NEXT) | instid1(VALU_DEP_1)
	v_mul_lo_u32 v20, s38, v1
	v_mul_hi_u32 v20, v1, v20
	s_delay_alu instid0(VALU_DEP_1) | instskip(NEXT) | instid1(VALU_DEP_1)
	v_add_nc_u32_e32 v1, v1, v20
	v_mul_hi_u32 v1, v13, v1
	s_delay_alu instid0(VALU_DEP_1) | instskip(SKIP_1) | instid1(VALU_DEP_2)
	v_mul_lo_u32 v20, v1, s26
	v_add_nc_u32_e32 v26, 1, v1
	v_sub_nc_u32_e32 v20, v13, v20
	s_delay_alu instid0(VALU_DEP_1) | instskip(SKIP_1) | instid1(VALU_DEP_2)
	v_subrev_nc_u32_e32 v27, s26, v20
	v_cmp_le_u32_e32 vcc_lo, s26, v20
	v_dual_cndmask_b32 v20, v20, v27 :: v_dual_mov_b32 v27, v19
	v_cndmask_b32_e32 v1, v1, v26, vcc_lo
	s_delay_alu instid0(VALU_DEP_2) | instskip(NEXT) | instid1(VALU_DEP_2)
	v_cmp_le_u32_e32 vcc_lo, s26, v20
	v_add_nc_u32_e32 v26, 1, v1
	s_delay_alu instid0(VALU_DEP_1)
	v_cndmask_b32_e32 v26, v1, v26, vcc_lo
.LBB41_34:                              ;   in Loop: Header=BB41_30 Depth=2
	s_or_b32 exec_lo, exec_lo, s0
	s_load_b64 s[38:39], s[24:25], 0xc8
	v_mul_lo_u32 v1, v27, s26
	s_delay_alu instid0(VALU_DEP_2)
	v_mul_lo_u32 v20, v26, s27
	v_mad_u64_u32 v[28:29], null, v26, s26, 0
	s_add_i32 s4, s4, -1
	s_add_u32 s24, s24, -8
	s_addc_u32 s25, s25, -1
	s_cmp_gt_u32 s4, 2
	s_delay_alu instid0(VALU_DEP_1) | instskip(NEXT) | instid1(VALU_DEP_2)
	v_add3_u32 v1, v29, v20, v1
	v_sub_co_u32 v20, vcc_lo, v13, v28
	s_delay_alu instid0(VALU_DEP_2) | instskip(SKIP_1) | instid1(VALU_DEP_2)
	v_sub_co_ci_u32_e32 v1, vcc_lo, v14, v1, vcc_lo
	s_waitcnt lgkmcnt(0)
	v_mul_lo_u32 v28, s39, v20
	s_delay_alu instid0(VALU_DEP_2) | instskip(SKIP_1) | instid1(VALU_DEP_1)
	v_mul_lo_u32 v1, s38, v1
	v_mad_u64_u32 v[13:14], null, s38, v20, v[11:12]
	v_add3_u32 v12, v28, v14, v1
	s_delay_alu instid0(VALU_DEP_2)
	v_mov_b32_e32 v11, v13
	s_cbranch_scc0 .LBB41_36
; %bb.35:                               ;   in Loop: Header=BB41_30 Depth=2
	v_dual_mov_b32 v13, v26 :: v_dual_mov_b32 v14, v27
	s_branch .LBB41_30
.LBB41_36:                              ;   in Loop: Header=BB41_9 Depth=1
	v_mul_lo_u32 v1, s15, v26
	v_mul_lo_u32 v20, s14, v27
	v_mad_u64_u32 v[13:14], null, s14, v26, 0
	v_lshlrev_b64 v[11:12], 2, v[11:12]
	s_delay_alu instid0(VALU_DEP_2) | instskip(NEXT) | instid1(VALU_DEP_1)
	v_add3_u32 v14, v14, v20, v1
	v_lshlrev_b64 v[13:14], 2, v[13:14]
	s_delay_alu instid0(VALU_DEP_1) | instskip(NEXT) | instid1(VALU_DEP_2)
	v_add_co_u32 v1, vcc_lo, s16, v13
	v_add_co_ci_u32_e32 v13, vcc_lo, s17, v14, vcc_lo
	s_delay_alu instid0(VALU_DEP_2) | instskip(NEXT) | instid1(VALU_DEP_2)
	v_add_co_u32 v11, vcc_lo, v1, v11
	v_add_co_ci_u32_e32 v12, vcc_lo, v13, v12, vcc_lo
	global_load_b32 v1, v[11:12], off
.LBB41_37:                              ;   in Loop: Header=BB41_9 Depth=1
	s_or_b32 exec_lo, exec_lo, s1
	v_add_co_u32 v13, vcc_lo, v21, s34
	v_add_co_ci_u32_e32 v14, vcc_lo, 0, v22, vcc_lo
	s_delay_alu instid0(VALU_DEP_1) | instskip(NEXT) | instid1(VALU_DEP_1)
	v_cmp_gt_u64_e64 s1, s[6:7], v[13:14]
	s_and_saveexec_b32 s4, s1
	s_cbranch_execz .LBB41_46
; %bb.38:                               ;   in Loop: Header=BB41_9 Depth=1
	v_mov_b32_e32 v11, 0
	v_dual_mov_b32 v12, 0 :: v_dual_mov_b32 v27, v14
	v_dual_mov_b32 v26, v13 :: v_dual_mov_b32 v29, v14
	v_mov_b32_e32 v28, v13
	s_and_not1_b32 vcc_lo, exec_lo, s31
	s_mov_b64 s[24:25], s[20:21]
	s_mov_b32 s38, s35
	s_cbranch_vccnz .LBB41_45
.LBB41_39:                              ;   Parent Loop BB41_9 Depth=1
                                        ; =>  This Inner Loop Header: Depth=2
	s_load_b64 s[26:27], s[24:25], 0x0
                                        ; implicit-def: $vgpr28_vgpr29
	s_mov_b32 s0, exec_lo
	s_waitcnt lgkmcnt(0)
	v_or_b32_e32 v20, s27, v27
	s_delay_alu instid0(VALU_DEP_1)
	v_cmpx_ne_u64_e32 0, v[19:20]
	s_xor_b32 s39, exec_lo, s0
	s_cbranch_execz .LBB41_41
; %bb.40:                               ;   in Loop: Header=BB41_39 Depth=2
	v_cvt_f32_u32_e32 v2, s26
	v_cvt_f32_u32_e32 v20, s27
	s_sub_u32 s0, 0, s26
	s_subb_u32 s40, 0, s27
	s_delay_alu instid0(VALU_DEP_1) | instskip(NEXT) | instid1(VALU_DEP_1)
	v_fmac_f32_e32 v2, 0x4f800000, v20
	v_rcp_f32_e32 v2, v2
	s_waitcnt_depctr 0xfff
	v_mul_f32_e32 v2, 0x5f7ffffc, v2
	s_delay_alu instid0(VALU_DEP_1) | instskip(NEXT) | instid1(VALU_DEP_1)
	v_mul_f32_e32 v20, 0x2f800000, v2
	v_trunc_f32_e32 v20, v20
	s_delay_alu instid0(VALU_DEP_1) | instskip(SKIP_1) | instid1(VALU_DEP_2)
	v_fmac_f32_e32 v2, 0xcf800000, v20
	v_cvt_u32_f32_e32 v20, v20
	v_cvt_u32_f32_e32 v2, v2
	s_delay_alu instid0(VALU_DEP_2) | instskip(NEXT) | instid1(VALU_DEP_2)
	v_mul_lo_u32 v28, s0, v20
	v_mul_hi_u32 v29, s0, v2
	v_mul_lo_u32 v30, s40, v2
	s_delay_alu instid0(VALU_DEP_2) | instskip(SKIP_1) | instid1(VALU_DEP_2)
	v_add_nc_u32_e32 v28, v29, v28
	v_mul_lo_u32 v29, s0, v2
	v_add_nc_u32_e32 v28, v28, v30
	s_delay_alu instid0(VALU_DEP_2) | instskip(NEXT) | instid1(VALU_DEP_2)
	v_mul_hi_u32 v30, v2, v29
	v_mul_lo_u32 v31, v2, v28
	v_mul_hi_u32 v54, v2, v28
	v_mul_hi_u32 v55, v20, v29
	v_mul_lo_u32 v29, v20, v29
	v_mul_hi_u32 v56, v20, v28
	v_mul_lo_u32 v28, v20, v28
	v_add_co_u32 v30, vcc_lo, v30, v31
	v_add_co_ci_u32_e32 v31, vcc_lo, 0, v54, vcc_lo
	s_delay_alu instid0(VALU_DEP_2) | instskip(NEXT) | instid1(VALU_DEP_2)
	v_add_co_u32 v29, vcc_lo, v30, v29
	v_add_co_ci_u32_e32 v29, vcc_lo, v31, v55, vcc_lo
	v_add_co_ci_u32_e32 v30, vcc_lo, 0, v56, vcc_lo
	s_delay_alu instid0(VALU_DEP_2) | instskip(NEXT) | instid1(VALU_DEP_2)
	v_add_co_u32 v28, vcc_lo, v29, v28
	v_add_co_ci_u32_e32 v29, vcc_lo, 0, v30, vcc_lo
	s_delay_alu instid0(VALU_DEP_2) | instskip(NEXT) | instid1(VALU_DEP_2)
	v_add_co_u32 v2, vcc_lo, v2, v28
	v_add_co_ci_u32_e32 v20, vcc_lo, v20, v29, vcc_lo
	s_delay_alu instid0(VALU_DEP_2) | instskip(SKIP_1) | instid1(VALU_DEP_3)
	v_mul_hi_u32 v28, s0, v2
	v_mul_lo_u32 v30, s40, v2
	v_mul_lo_u32 v29, s0, v20
	s_delay_alu instid0(VALU_DEP_1) | instskip(SKIP_1) | instid1(VALU_DEP_2)
	v_add_nc_u32_e32 v28, v28, v29
	v_mul_lo_u32 v29, s0, v2
	v_add_nc_u32_e32 v28, v28, v30
	s_delay_alu instid0(VALU_DEP_2) | instskip(NEXT) | instid1(VALU_DEP_2)
	v_mul_hi_u32 v30, v2, v29
	v_mul_lo_u32 v31, v2, v28
	v_mul_hi_u32 v54, v2, v28
	v_mul_hi_u32 v55, v20, v29
	v_mul_lo_u32 v29, v20, v29
	v_mul_hi_u32 v56, v20, v28
	v_mul_lo_u32 v28, v20, v28
	v_add_co_u32 v30, vcc_lo, v30, v31
	v_add_co_ci_u32_e32 v31, vcc_lo, 0, v54, vcc_lo
	s_delay_alu instid0(VALU_DEP_2) | instskip(NEXT) | instid1(VALU_DEP_2)
	v_add_co_u32 v29, vcc_lo, v30, v29
	v_add_co_ci_u32_e32 v29, vcc_lo, v31, v55, vcc_lo
	v_add_co_ci_u32_e32 v30, vcc_lo, 0, v56, vcc_lo
	s_delay_alu instid0(VALU_DEP_2) | instskip(NEXT) | instid1(VALU_DEP_2)
	v_add_co_u32 v28, vcc_lo, v29, v28
	v_add_co_ci_u32_e32 v29, vcc_lo, 0, v30, vcc_lo
	s_delay_alu instid0(VALU_DEP_2) | instskip(NEXT) | instid1(VALU_DEP_2)
	v_add_co_u32 v2, vcc_lo, v2, v28
	v_add_co_ci_u32_e32 v20, vcc_lo, v20, v29, vcc_lo
	s_delay_alu instid0(VALU_DEP_2) | instskip(SKIP_1) | instid1(VALU_DEP_3)
	v_mul_hi_u32 v56, v26, v2
	v_mad_u64_u32 v[30:31], null, v27, v2, 0
	v_mad_u64_u32 v[28:29], null, v26, v20, 0
	;; [unrolled: 1-line block ×3, first 2 shown]
	s_delay_alu instid0(VALU_DEP_2) | instskip(NEXT) | instid1(VALU_DEP_3)
	v_add_co_u32 v2, vcc_lo, v56, v28
	v_add_co_ci_u32_e32 v20, vcc_lo, 0, v29, vcc_lo
	s_delay_alu instid0(VALU_DEP_2) | instskip(NEXT) | instid1(VALU_DEP_2)
	v_add_co_u32 v2, vcc_lo, v2, v30
	v_add_co_ci_u32_e32 v2, vcc_lo, v20, v31, vcc_lo
	v_add_co_ci_u32_e32 v20, vcc_lo, 0, v55, vcc_lo
	s_delay_alu instid0(VALU_DEP_2) | instskip(NEXT) | instid1(VALU_DEP_2)
	v_add_co_u32 v2, vcc_lo, v2, v54
	v_add_co_ci_u32_e32 v20, vcc_lo, 0, v20, vcc_lo
	s_delay_alu instid0(VALU_DEP_2) | instskip(SKIP_1) | instid1(VALU_DEP_3)
	v_mul_lo_u32 v30, s27, v2
	v_mad_u64_u32 v[28:29], null, s26, v2, 0
	v_mul_lo_u32 v31, s26, v20
	s_delay_alu instid0(VALU_DEP_2) | instskip(NEXT) | instid1(VALU_DEP_2)
	v_sub_co_u32 v28, vcc_lo, v26, v28
	v_add3_u32 v29, v29, v31, v30
	s_delay_alu instid0(VALU_DEP_1) | instskip(NEXT) | instid1(VALU_DEP_1)
	v_sub_nc_u32_e32 v30, v27, v29
	v_subrev_co_ci_u32_e64 v30, s0, s27, v30, vcc_lo
	v_add_co_u32 v31, s0, v2, 2
	s_delay_alu instid0(VALU_DEP_1) | instskip(SKIP_3) | instid1(VALU_DEP_3)
	v_add_co_ci_u32_e64 v54, s0, 0, v20, s0
	v_sub_co_u32 v55, s0, v28, s26
	v_sub_co_ci_u32_e32 v29, vcc_lo, v27, v29, vcc_lo
	v_subrev_co_ci_u32_e64 v30, s0, 0, v30, s0
	v_cmp_le_u32_e32 vcc_lo, s26, v55
	s_delay_alu instid0(VALU_DEP_3) | instskip(SKIP_1) | instid1(VALU_DEP_4)
	v_cmp_eq_u32_e64 s0, s27, v29
	v_cndmask_b32_e64 v55, 0, -1, vcc_lo
	v_cmp_le_u32_e32 vcc_lo, s27, v30
	v_cndmask_b32_e64 v56, 0, -1, vcc_lo
	v_cmp_le_u32_e32 vcc_lo, s26, v28
	;; [unrolled: 2-line block ×3, first 2 shown]
	v_cndmask_b32_e64 v57, 0, -1, vcc_lo
	v_cmp_eq_u32_e32 vcc_lo, s27, v30
	s_delay_alu instid0(VALU_DEP_2) | instskip(SKIP_3) | instid1(VALU_DEP_3)
	v_cndmask_b32_e64 v28, v57, v28, s0
	v_cndmask_b32_e32 v30, v56, v55, vcc_lo
	v_add_co_u32 v55, vcc_lo, v2, 1
	v_add_co_ci_u32_e32 v56, vcc_lo, 0, v20, vcc_lo
	v_cmp_ne_u32_e32 vcc_lo, 0, v30
	s_delay_alu instid0(VALU_DEP_2) | instskip(SKIP_1) | instid1(VALU_DEP_2)
	v_dual_cndmask_b32 v29, v56, v54 :: v_dual_cndmask_b32 v30, v55, v31
	v_cmp_ne_u32_e32 vcc_lo, 0, v28
	v_dual_cndmask_b32 v29, v20, v29 :: v_dual_cndmask_b32 v28, v2, v30
.LBB41_41:                              ;   in Loop: Header=BB41_39 Depth=2
	s_and_not1_saveexec_b32 s0, s39
	s_cbranch_execz .LBB41_43
; %bb.42:                               ;   in Loop: Header=BB41_39 Depth=2
	v_cvt_f32_u32_e32 v2, s26
	s_sub_i32 s39, 0, s26
	s_delay_alu instid0(VALU_DEP_1) | instskip(SKIP_2) | instid1(VALU_DEP_1)
	v_rcp_iflag_f32_e32 v2, v2
	s_waitcnt_depctr 0xfff
	v_mul_f32_e32 v2, 0x4f7ffffe, v2
	v_cvt_u32_f32_e32 v2, v2
	s_delay_alu instid0(VALU_DEP_1) | instskip(NEXT) | instid1(VALU_DEP_1)
	v_mul_lo_u32 v20, s39, v2
	v_mul_hi_u32 v20, v2, v20
	s_delay_alu instid0(VALU_DEP_1) | instskip(NEXT) | instid1(VALU_DEP_1)
	v_add_nc_u32_e32 v2, v2, v20
	v_mul_hi_u32 v2, v26, v2
	s_delay_alu instid0(VALU_DEP_1) | instskip(SKIP_1) | instid1(VALU_DEP_2)
	v_mul_lo_u32 v20, v2, s26
	v_add_nc_u32_e32 v28, 1, v2
	v_sub_nc_u32_e32 v20, v26, v20
	s_delay_alu instid0(VALU_DEP_1) | instskip(SKIP_1) | instid1(VALU_DEP_2)
	v_subrev_nc_u32_e32 v29, s26, v20
	v_cmp_le_u32_e32 vcc_lo, s26, v20
	v_dual_cndmask_b32 v20, v20, v29 :: v_dual_mov_b32 v29, v19
	v_cndmask_b32_e32 v2, v2, v28, vcc_lo
	s_delay_alu instid0(VALU_DEP_2) | instskip(NEXT) | instid1(VALU_DEP_2)
	v_cmp_le_u32_e32 vcc_lo, s26, v20
	v_add_nc_u32_e32 v28, 1, v2
	s_delay_alu instid0(VALU_DEP_1)
	v_cndmask_b32_e32 v28, v2, v28, vcc_lo
.LBB41_43:                              ;   in Loop: Header=BB41_39 Depth=2
	s_or_b32 exec_lo, exec_lo, s0
	s_load_b64 s[40:41], s[24:25], 0xc8
	v_mul_lo_u32 v2, v29, s26
	s_delay_alu instid0(VALU_DEP_2)
	v_mul_lo_u32 v20, v28, s27
	v_mad_u64_u32 v[30:31], null, v28, s26, 0
	s_add_i32 s38, s38, -1
	s_add_u32 s24, s24, -8
	s_addc_u32 s25, s25, -1
	s_cmp_gt_u32 s38, 2
	s_delay_alu instid0(VALU_DEP_1) | instskip(NEXT) | instid1(VALU_DEP_2)
	v_add3_u32 v2, v31, v20, v2
	v_sub_co_u32 v20, vcc_lo, v26, v30
	s_delay_alu instid0(VALU_DEP_2) | instskip(SKIP_1) | instid1(VALU_DEP_2)
	v_sub_co_ci_u32_e32 v2, vcc_lo, v27, v2, vcc_lo
	s_waitcnt lgkmcnt(0)
	v_mul_lo_u32 v30, s41, v20
	s_delay_alu instid0(VALU_DEP_2) | instskip(SKIP_1) | instid1(VALU_DEP_1)
	v_mul_lo_u32 v2, s40, v2
	v_mad_u64_u32 v[26:27], null, s40, v20, v[11:12]
	v_add3_u32 v12, v30, v27, v2
	s_delay_alu instid0(VALU_DEP_2)
	v_mov_b32_e32 v11, v26
	s_cbranch_scc0 .LBB41_45
; %bb.44:                               ;   in Loop: Header=BB41_39 Depth=2
	v_dual_mov_b32 v26, v28 :: v_dual_mov_b32 v27, v29
	s_branch .LBB41_39
.LBB41_45:                              ;   in Loop: Header=BB41_9 Depth=1
	v_mul_lo_u32 v2, s15, v28
	v_mul_lo_u32 v20, s14, v29
	v_mad_u64_u32 v[26:27], null, s14, v28, 0
	v_lshlrev_b64 v[11:12], 2, v[11:12]
	s_delay_alu instid0(VALU_DEP_2) | instskip(NEXT) | instid1(VALU_DEP_1)
	v_add3_u32 v27, v27, v20, v2
	v_lshlrev_b64 v[26:27], 2, v[26:27]
	s_delay_alu instid0(VALU_DEP_1) | instskip(NEXT) | instid1(VALU_DEP_2)
	v_add_co_u32 v2, vcc_lo, s16, v26
	v_add_co_ci_u32_e32 v20, vcc_lo, s17, v27, vcc_lo
	s_delay_alu instid0(VALU_DEP_2) | instskip(NEXT) | instid1(VALU_DEP_2)
	v_add_co_u32 v11, vcc_lo, v2, v11
	v_add_co_ci_u32_e32 v12, vcc_lo, v20, v12, vcc_lo
	global_load_b32 v2, v[11:12], off
.LBB41_46:                              ;   in Loop: Header=BB41_9 Depth=1
	s_or_b32 exec_lo, exec_lo, s4
	v_add_co_u32 v11, vcc_lo, v21, s36
	v_add_co_ci_u32_e32 v12, vcc_lo, 0, v22, vcc_lo
	s_delay_alu instid0(VALU_DEP_1) | instskip(NEXT) | instid1(VALU_DEP_1)
	v_cmp_gt_u64_e64 s0, s[6:7], v[11:12]
	s_and_saveexec_b32 s38, s0
	s_cbranch_execnz .LBB41_51
; %bb.47:                               ;   in Loop: Header=BB41_9 Depth=1
	s_or_b32 exec_lo, exec_lo, s38
	s_and_saveexec_b32 s4, s3
	s_cbranch_execnz .LBB41_59
.LBB41_48:                              ;   in Loop: Header=BB41_9 Depth=1
	s_or_b32 exec_lo, exec_lo, s4
	s_and_saveexec_b32 s3, s2
	s_cbranch_execnz .LBB41_67
.LBB41_49:                              ;   in Loop: Header=BB41_9 Depth=1
	s_or_b32 exec_lo, exec_lo, s3
	s_and_saveexec_b32 s4, s1
	s_cbranch_execnz .LBB41_69
.LBB41_50:                              ;   in Loop: Header=BB41_9 Depth=1
	s_or_b32 exec_lo, exec_lo, s4
	s_and_saveexec_b32 s1, s0
	s_cbranch_execz .LBB41_8
	s_branch .LBB41_71
.LBB41_51:                              ;   in Loop: Header=BB41_9 Depth=1
	v_dual_mov_b32 v26, 0 :: v_dual_mov_b32 v29, v12
	v_dual_mov_b32 v27, 0 :: v_dual_mov_b32 v28, v11
	;; [unrolled: 1-line block ×3, first 2 shown]
	s_and_not1_b32 vcc_lo, exec_lo, s31
	s_mov_b64 s[24:25], s[20:21]
	s_mov_b32 s39, s35
	s_cbranch_vccnz .LBB41_58
.LBB41_52:                              ;   Parent Loop BB41_9 Depth=1
                                        ; =>  This Inner Loop Header: Depth=2
	s_load_b64 s[26:27], s[24:25], 0x0
                                        ; implicit-def: $vgpr30_vgpr31
	s_mov_b32 s4, exec_lo
	s_waitcnt lgkmcnt(0)
	v_or_b32_e32 v20, s27, v29
	s_delay_alu instid0(VALU_DEP_1)
	v_cmpx_ne_u64_e32 0, v[19:20]
	s_xor_b32 s40, exec_lo, s4
	s_cbranch_execz .LBB41_54
; %bb.53:                               ;   in Loop: Header=BB41_52 Depth=2
	v_cvt_f32_u32_e32 v3, s26
	v_cvt_f32_u32_e32 v20, s27
	s_sub_u32 s4, 0, s26
	s_subb_u32 s41, 0, s27
	s_delay_alu instid0(VALU_DEP_1) | instskip(NEXT) | instid1(VALU_DEP_1)
	v_fmac_f32_e32 v3, 0x4f800000, v20
	v_rcp_f32_e32 v3, v3
	s_waitcnt_depctr 0xfff
	v_mul_f32_e32 v3, 0x5f7ffffc, v3
	s_delay_alu instid0(VALU_DEP_1) | instskip(NEXT) | instid1(VALU_DEP_1)
	v_mul_f32_e32 v20, 0x2f800000, v3
	v_trunc_f32_e32 v20, v20
	s_delay_alu instid0(VALU_DEP_1) | instskip(SKIP_1) | instid1(VALU_DEP_2)
	v_fmac_f32_e32 v3, 0xcf800000, v20
	v_cvt_u32_f32_e32 v20, v20
	v_cvt_u32_f32_e32 v3, v3
	s_delay_alu instid0(VALU_DEP_2) | instskip(NEXT) | instid1(VALU_DEP_2)
	v_mul_lo_u32 v30, s4, v20
	v_mul_hi_u32 v31, s4, v3
	v_mul_lo_u32 v54, s41, v3
	s_delay_alu instid0(VALU_DEP_2) | instskip(SKIP_1) | instid1(VALU_DEP_2)
	v_add_nc_u32_e32 v30, v31, v30
	v_mul_lo_u32 v31, s4, v3
	v_add_nc_u32_e32 v30, v30, v54
	s_delay_alu instid0(VALU_DEP_2) | instskip(NEXT) | instid1(VALU_DEP_2)
	v_mul_hi_u32 v54, v3, v31
	v_mul_lo_u32 v55, v3, v30
	v_mul_hi_u32 v56, v3, v30
	v_mul_hi_u32 v57, v20, v31
	v_mul_lo_u32 v31, v20, v31
	v_mul_hi_u32 v58, v20, v30
	v_mul_lo_u32 v30, v20, v30
	v_add_co_u32 v54, vcc_lo, v54, v55
	v_add_co_ci_u32_e32 v55, vcc_lo, 0, v56, vcc_lo
	s_delay_alu instid0(VALU_DEP_2) | instskip(NEXT) | instid1(VALU_DEP_2)
	v_add_co_u32 v31, vcc_lo, v54, v31
	v_add_co_ci_u32_e32 v31, vcc_lo, v55, v57, vcc_lo
	v_add_co_ci_u32_e32 v54, vcc_lo, 0, v58, vcc_lo
	s_delay_alu instid0(VALU_DEP_2) | instskip(NEXT) | instid1(VALU_DEP_2)
	v_add_co_u32 v30, vcc_lo, v31, v30
	v_add_co_ci_u32_e32 v31, vcc_lo, 0, v54, vcc_lo
	s_delay_alu instid0(VALU_DEP_2) | instskip(NEXT) | instid1(VALU_DEP_2)
	v_add_co_u32 v3, vcc_lo, v3, v30
	v_add_co_ci_u32_e32 v20, vcc_lo, v20, v31, vcc_lo
	s_delay_alu instid0(VALU_DEP_2) | instskip(SKIP_1) | instid1(VALU_DEP_3)
	v_mul_hi_u32 v30, s4, v3
	v_mul_lo_u32 v54, s41, v3
	v_mul_lo_u32 v31, s4, v20
	s_delay_alu instid0(VALU_DEP_1) | instskip(SKIP_1) | instid1(VALU_DEP_2)
	v_add_nc_u32_e32 v30, v30, v31
	v_mul_lo_u32 v31, s4, v3
	v_add_nc_u32_e32 v30, v30, v54
	s_delay_alu instid0(VALU_DEP_2) | instskip(NEXT) | instid1(VALU_DEP_2)
	v_mul_hi_u32 v54, v3, v31
	v_mul_lo_u32 v55, v3, v30
	v_mul_hi_u32 v56, v3, v30
	v_mul_hi_u32 v57, v20, v31
	v_mul_lo_u32 v31, v20, v31
	v_mul_hi_u32 v58, v20, v30
	v_mul_lo_u32 v30, v20, v30
	v_add_co_u32 v54, vcc_lo, v54, v55
	v_add_co_ci_u32_e32 v55, vcc_lo, 0, v56, vcc_lo
	s_delay_alu instid0(VALU_DEP_2) | instskip(NEXT) | instid1(VALU_DEP_2)
	v_add_co_u32 v31, vcc_lo, v54, v31
	v_add_co_ci_u32_e32 v31, vcc_lo, v55, v57, vcc_lo
	v_add_co_ci_u32_e32 v54, vcc_lo, 0, v58, vcc_lo
	s_delay_alu instid0(VALU_DEP_2) | instskip(NEXT) | instid1(VALU_DEP_2)
	v_add_co_u32 v30, vcc_lo, v31, v30
	v_add_co_ci_u32_e32 v31, vcc_lo, 0, v54, vcc_lo
	s_delay_alu instid0(VALU_DEP_2) | instskip(NEXT) | instid1(VALU_DEP_2)
	v_add_co_u32 v3, vcc_lo, v3, v30
	v_add_co_ci_u32_e32 v20, vcc_lo, v20, v31, vcc_lo
	s_delay_alu instid0(VALU_DEP_2) | instskip(SKIP_1) | instid1(VALU_DEP_3)
	v_mul_hi_u32 v58, v28, v3
	v_mad_u64_u32 v[54:55], null, v29, v3, 0
	v_mad_u64_u32 v[30:31], null, v28, v20, 0
	;; [unrolled: 1-line block ×3, first 2 shown]
	s_delay_alu instid0(VALU_DEP_2) | instskip(NEXT) | instid1(VALU_DEP_3)
	v_add_co_u32 v3, vcc_lo, v58, v30
	v_add_co_ci_u32_e32 v20, vcc_lo, 0, v31, vcc_lo
	s_delay_alu instid0(VALU_DEP_2) | instskip(NEXT) | instid1(VALU_DEP_2)
	v_add_co_u32 v3, vcc_lo, v3, v54
	v_add_co_ci_u32_e32 v3, vcc_lo, v20, v55, vcc_lo
	v_add_co_ci_u32_e32 v20, vcc_lo, 0, v57, vcc_lo
	s_delay_alu instid0(VALU_DEP_2) | instskip(NEXT) | instid1(VALU_DEP_2)
	v_add_co_u32 v3, vcc_lo, v3, v56
	v_add_co_ci_u32_e32 v20, vcc_lo, 0, v20, vcc_lo
	s_delay_alu instid0(VALU_DEP_2) | instskip(SKIP_1) | instid1(VALU_DEP_3)
	v_mul_lo_u32 v54, s27, v3
	v_mad_u64_u32 v[30:31], null, s26, v3, 0
	v_mul_lo_u32 v55, s26, v20
	s_delay_alu instid0(VALU_DEP_2) | instskip(NEXT) | instid1(VALU_DEP_2)
	v_sub_co_u32 v30, vcc_lo, v28, v30
	v_add3_u32 v31, v31, v55, v54
	s_delay_alu instid0(VALU_DEP_1) | instskip(NEXT) | instid1(VALU_DEP_1)
	v_sub_nc_u32_e32 v54, v29, v31
	v_subrev_co_ci_u32_e64 v54, s4, s27, v54, vcc_lo
	v_add_co_u32 v55, s4, v3, 2
	s_delay_alu instid0(VALU_DEP_1) | instskip(SKIP_3) | instid1(VALU_DEP_3)
	v_add_co_ci_u32_e64 v56, s4, 0, v20, s4
	v_sub_co_u32 v57, s4, v30, s26
	v_sub_co_ci_u32_e32 v31, vcc_lo, v29, v31, vcc_lo
	v_subrev_co_ci_u32_e64 v54, s4, 0, v54, s4
	v_cmp_le_u32_e32 vcc_lo, s26, v57
	s_delay_alu instid0(VALU_DEP_3) | instskip(SKIP_1) | instid1(VALU_DEP_4)
	v_cmp_eq_u32_e64 s4, s27, v31
	v_cndmask_b32_e64 v57, 0, -1, vcc_lo
	v_cmp_le_u32_e32 vcc_lo, s27, v54
	v_cndmask_b32_e64 v58, 0, -1, vcc_lo
	v_cmp_le_u32_e32 vcc_lo, s26, v30
	;; [unrolled: 2-line block ×3, first 2 shown]
	v_cndmask_b32_e64 v59, 0, -1, vcc_lo
	v_cmp_eq_u32_e32 vcc_lo, s27, v54
	s_delay_alu instid0(VALU_DEP_2) | instskip(SKIP_3) | instid1(VALU_DEP_3)
	v_cndmask_b32_e64 v30, v59, v30, s4
	v_cndmask_b32_e32 v54, v58, v57, vcc_lo
	v_add_co_u32 v57, vcc_lo, v3, 1
	v_add_co_ci_u32_e32 v58, vcc_lo, 0, v20, vcc_lo
	v_cmp_ne_u32_e32 vcc_lo, 0, v54
	s_delay_alu instid0(VALU_DEP_2) | instskip(SKIP_1) | instid1(VALU_DEP_2)
	v_dual_cndmask_b32 v31, v58, v56 :: v_dual_cndmask_b32 v54, v57, v55
	v_cmp_ne_u32_e32 vcc_lo, 0, v30
	v_dual_cndmask_b32 v31, v20, v31 :: v_dual_cndmask_b32 v30, v3, v54
.LBB41_54:                              ;   in Loop: Header=BB41_52 Depth=2
	s_and_not1_saveexec_b32 s4, s40
	s_cbranch_execz .LBB41_56
; %bb.55:                               ;   in Loop: Header=BB41_52 Depth=2
	v_cvt_f32_u32_e32 v3, s26
	s_sub_i32 s40, 0, s26
	s_delay_alu instid0(VALU_DEP_1) | instskip(SKIP_2) | instid1(VALU_DEP_1)
	v_rcp_iflag_f32_e32 v3, v3
	s_waitcnt_depctr 0xfff
	v_mul_f32_e32 v3, 0x4f7ffffe, v3
	v_cvt_u32_f32_e32 v3, v3
	s_delay_alu instid0(VALU_DEP_1) | instskip(NEXT) | instid1(VALU_DEP_1)
	v_mul_lo_u32 v20, s40, v3
	v_mul_hi_u32 v20, v3, v20
	s_delay_alu instid0(VALU_DEP_1) | instskip(NEXT) | instid1(VALU_DEP_1)
	v_add_nc_u32_e32 v3, v3, v20
	v_mul_hi_u32 v3, v28, v3
	s_delay_alu instid0(VALU_DEP_1) | instskip(SKIP_1) | instid1(VALU_DEP_2)
	v_mul_lo_u32 v20, v3, s26
	v_add_nc_u32_e32 v30, 1, v3
	v_sub_nc_u32_e32 v20, v28, v20
	s_delay_alu instid0(VALU_DEP_1) | instskip(SKIP_1) | instid1(VALU_DEP_2)
	v_subrev_nc_u32_e32 v31, s26, v20
	v_cmp_le_u32_e32 vcc_lo, s26, v20
	v_dual_cndmask_b32 v20, v20, v31 :: v_dual_mov_b32 v31, v19
	v_cndmask_b32_e32 v3, v3, v30, vcc_lo
	s_delay_alu instid0(VALU_DEP_2) | instskip(NEXT) | instid1(VALU_DEP_2)
	v_cmp_le_u32_e32 vcc_lo, s26, v20
	v_add_nc_u32_e32 v30, 1, v3
	s_delay_alu instid0(VALU_DEP_1)
	v_cndmask_b32_e32 v30, v3, v30, vcc_lo
.LBB41_56:                              ;   in Loop: Header=BB41_52 Depth=2
	s_or_b32 exec_lo, exec_lo, s4
	s_load_b64 s[40:41], s[24:25], 0xc8
	v_mul_lo_u32 v3, v31, s26
	s_delay_alu instid0(VALU_DEP_2)
	v_mul_lo_u32 v20, v30, s27
	v_mad_u64_u32 v[54:55], null, v30, s26, 0
	s_add_i32 s39, s39, -1
	s_add_u32 s24, s24, -8
	s_addc_u32 s25, s25, -1
	s_cmp_gt_u32 s39, 2
	s_delay_alu instid0(VALU_DEP_1) | instskip(NEXT) | instid1(VALU_DEP_2)
	v_add3_u32 v3, v55, v20, v3
	v_sub_co_u32 v20, vcc_lo, v28, v54
	s_delay_alu instid0(VALU_DEP_2) | instskip(SKIP_1) | instid1(VALU_DEP_2)
	v_sub_co_ci_u32_e32 v3, vcc_lo, v29, v3, vcc_lo
	s_waitcnt lgkmcnt(0)
	v_mul_lo_u32 v54, s41, v20
	s_delay_alu instid0(VALU_DEP_2) | instskip(SKIP_1) | instid1(VALU_DEP_1)
	v_mul_lo_u32 v3, s40, v3
	v_mad_u64_u32 v[28:29], null, s40, v20, v[26:27]
	v_add3_u32 v27, v54, v29, v3
	s_delay_alu instid0(VALU_DEP_2)
	v_mov_b32_e32 v26, v28
	s_cbranch_scc0 .LBB41_58
; %bb.57:                               ;   in Loop: Header=BB41_52 Depth=2
	v_dual_mov_b32 v28, v30 :: v_dual_mov_b32 v29, v31
	s_branch .LBB41_52
.LBB41_58:                              ;   in Loop: Header=BB41_9 Depth=1
	v_mul_lo_u32 v3, s15, v30
	v_mul_lo_u32 v20, s14, v31
	v_mad_u64_u32 v[28:29], null, s14, v30, 0
	v_lshlrev_b64 v[26:27], 2, v[26:27]
	s_delay_alu instid0(VALU_DEP_2) | instskip(NEXT) | instid1(VALU_DEP_1)
	v_add3_u32 v29, v29, v20, v3
	v_lshlrev_b64 v[28:29], 2, v[28:29]
	s_delay_alu instid0(VALU_DEP_1) | instskip(NEXT) | instid1(VALU_DEP_2)
	v_add_co_u32 v3, vcc_lo, s16, v28
	v_add_co_ci_u32_e32 v20, vcc_lo, s17, v29, vcc_lo
	s_delay_alu instid0(VALU_DEP_2) | instskip(NEXT) | instid1(VALU_DEP_2)
	v_add_co_u32 v26, vcc_lo, v3, v26
	v_add_co_ci_u32_e32 v27, vcc_lo, v20, v27, vcc_lo
	global_load_b32 v3, v[26:27], off
	s_or_b32 exec_lo, exec_lo, s38
	s_and_saveexec_b32 s4, s3
	s_cbranch_execz .LBB41_48
.LBB41_59:                              ;   in Loop: Header=BB41_9 Depth=1
	v_dual_mov_b32 v26, 0 :: v_dual_mov_b32 v29, v22
	v_dual_mov_b32 v27, 0 :: v_dual_mov_b32 v28, v21
	;; [unrolled: 1-line block ×3, first 2 shown]
	s_and_not1_b32 vcc_lo, exec_lo, s33
	s_mov_b64 s[24:25], s[22:23]
	s_mov_b32 s38, s37
	s_cbranch_vccnz .LBB41_66
.LBB41_60:                              ;   Parent Loop BB41_9 Depth=1
                                        ; =>  This Inner Loop Header: Depth=2
	s_load_b64 s[26:27], s[24:25], 0x0
                                        ; implicit-def: $vgpr30_vgpr31
	s_mov_b32 s3, exec_lo
	s_waitcnt lgkmcnt(0)
	v_or_b32_e32 v20, s27, v29
	s_delay_alu instid0(VALU_DEP_1)
	v_cmpx_ne_u64_e32 0, v[19:20]
	s_xor_b32 s39, exec_lo, s3
	s_cbranch_execz .LBB41_62
; %bb.61:                               ;   in Loop: Header=BB41_60 Depth=2
	v_cvt_f32_u32_e32 v20, s26
	v_cvt_f32_u32_e32 v30, s27
	s_sub_u32 s3, 0, s26
	s_subb_u32 s40, 0, s27
	s_delay_alu instid0(VALU_DEP_1) | instskip(NEXT) | instid1(VALU_DEP_1)
	v_fmac_f32_e32 v20, 0x4f800000, v30
	v_rcp_f32_e32 v20, v20
	s_waitcnt_depctr 0xfff
	v_mul_f32_e32 v20, 0x5f7ffffc, v20
	s_delay_alu instid0(VALU_DEP_1) | instskip(NEXT) | instid1(VALU_DEP_1)
	v_mul_f32_e32 v30, 0x2f800000, v20
	v_trunc_f32_e32 v30, v30
	s_delay_alu instid0(VALU_DEP_1) | instskip(SKIP_1) | instid1(VALU_DEP_2)
	v_fmac_f32_e32 v20, 0xcf800000, v30
	v_cvt_u32_f32_e32 v30, v30
	v_cvt_u32_f32_e32 v20, v20
	s_delay_alu instid0(VALU_DEP_2) | instskip(NEXT) | instid1(VALU_DEP_2)
	v_mul_lo_u32 v31, s3, v30
	v_mul_hi_u32 v54, s3, v20
	v_mul_lo_u32 v55, s40, v20
	s_delay_alu instid0(VALU_DEP_2) | instskip(SKIP_1) | instid1(VALU_DEP_2)
	v_add_nc_u32_e32 v31, v54, v31
	v_mul_lo_u32 v54, s3, v20
	v_add_nc_u32_e32 v31, v31, v55
	s_delay_alu instid0(VALU_DEP_2) | instskip(NEXT) | instid1(VALU_DEP_2)
	v_mul_hi_u32 v55, v20, v54
	v_mul_lo_u32 v56, v20, v31
	v_mul_hi_u32 v57, v20, v31
	v_mul_hi_u32 v58, v30, v54
	v_mul_lo_u32 v54, v30, v54
	v_mul_hi_u32 v59, v30, v31
	v_mul_lo_u32 v31, v30, v31
	v_add_co_u32 v55, vcc_lo, v55, v56
	v_add_co_ci_u32_e32 v56, vcc_lo, 0, v57, vcc_lo
	s_delay_alu instid0(VALU_DEP_2) | instskip(NEXT) | instid1(VALU_DEP_2)
	v_add_co_u32 v54, vcc_lo, v55, v54
	v_add_co_ci_u32_e32 v54, vcc_lo, v56, v58, vcc_lo
	v_add_co_ci_u32_e32 v55, vcc_lo, 0, v59, vcc_lo
	s_delay_alu instid0(VALU_DEP_2) | instskip(NEXT) | instid1(VALU_DEP_2)
	v_add_co_u32 v31, vcc_lo, v54, v31
	v_add_co_ci_u32_e32 v54, vcc_lo, 0, v55, vcc_lo
	s_delay_alu instid0(VALU_DEP_2) | instskip(NEXT) | instid1(VALU_DEP_2)
	v_add_co_u32 v20, vcc_lo, v20, v31
	v_add_co_ci_u32_e32 v30, vcc_lo, v30, v54, vcc_lo
	s_delay_alu instid0(VALU_DEP_2) | instskip(SKIP_1) | instid1(VALU_DEP_3)
	v_mul_hi_u32 v31, s3, v20
	v_mul_lo_u32 v55, s40, v20
	v_mul_lo_u32 v54, s3, v30
	s_delay_alu instid0(VALU_DEP_1) | instskip(SKIP_1) | instid1(VALU_DEP_2)
	v_add_nc_u32_e32 v31, v31, v54
	v_mul_lo_u32 v54, s3, v20
	v_add_nc_u32_e32 v31, v31, v55
	s_delay_alu instid0(VALU_DEP_2) | instskip(NEXT) | instid1(VALU_DEP_2)
	v_mul_hi_u32 v55, v20, v54
	v_mul_lo_u32 v56, v20, v31
	v_mul_hi_u32 v57, v20, v31
	v_mul_hi_u32 v58, v30, v54
	v_mul_lo_u32 v54, v30, v54
	v_mul_hi_u32 v59, v30, v31
	v_mul_lo_u32 v31, v30, v31
	v_add_co_u32 v55, vcc_lo, v55, v56
	v_add_co_ci_u32_e32 v56, vcc_lo, 0, v57, vcc_lo
	s_delay_alu instid0(VALU_DEP_2) | instskip(NEXT) | instid1(VALU_DEP_2)
	v_add_co_u32 v54, vcc_lo, v55, v54
	v_add_co_ci_u32_e32 v54, vcc_lo, v56, v58, vcc_lo
	v_add_co_ci_u32_e32 v55, vcc_lo, 0, v59, vcc_lo
	s_delay_alu instid0(VALU_DEP_2) | instskip(NEXT) | instid1(VALU_DEP_2)
	v_add_co_u32 v31, vcc_lo, v54, v31
	v_add_co_ci_u32_e32 v54, vcc_lo, 0, v55, vcc_lo
	s_delay_alu instid0(VALU_DEP_2) | instskip(NEXT) | instid1(VALU_DEP_2)
	v_add_co_u32 v20, vcc_lo, v20, v31
	v_add_co_ci_u32_e32 v58, vcc_lo, v30, v54, vcc_lo
	s_delay_alu instid0(VALU_DEP_2) | instskip(SKIP_1) | instid1(VALU_DEP_3)
	v_mul_hi_u32 v59, v28, v20
	v_mad_u64_u32 v[54:55], null, v29, v20, 0
	v_mad_u64_u32 v[30:31], null, v28, v58, 0
	;; [unrolled: 1-line block ×3, first 2 shown]
	s_delay_alu instid0(VALU_DEP_2) | instskip(NEXT) | instid1(VALU_DEP_3)
	v_add_co_u32 v20, vcc_lo, v59, v30
	v_add_co_ci_u32_e32 v30, vcc_lo, 0, v31, vcc_lo
	s_delay_alu instid0(VALU_DEP_2) | instskip(NEXT) | instid1(VALU_DEP_2)
	v_add_co_u32 v20, vcc_lo, v20, v54
	v_add_co_ci_u32_e32 v20, vcc_lo, v30, v55, vcc_lo
	v_add_co_ci_u32_e32 v30, vcc_lo, 0, v57, vcc_lo
	s_delay_alu instid0(VALU_DEP_2) | instskip(NEXT) | instid1(VALU_DEP_2)
	v_add_co_u32 v20, vcc_lo, v20, v56
	v_add_co_ci_u32_e32 v54, vcc_lo, 0, v30, vcc_lo
	s_delay_alu instid0(VALU_DEP_2) | instskip(SKIP_1) | instid1(VALU_DEP_3)
	v_mul_lo_u32 v55, s27, v20
	v_mad_u64_u32 v[30:31], null, s26, v20, 0
	v_mul_lo_u32 v56, s26, v54
	s_delay_alu instid0(VALU_DEP_2) | instskip(NEXT) | instid1(VALU_DEP_2)
	v_sub_co_u32 v30, vcc_lo, v28, v30
	v_add3_u32 v31, v31, v56, v55
	s_delay_alu instid0(VALU_DEP_1) | instskip(NEXT) | instid1(VALU_DEP_1)
	v_sub_nc_u32_e32 v55, v29, v31
	v_subrev_co_ci_u32_e64 v55, s3, s27, v55, vcc_lo
	v_add_co_u32 v56, s3, v20, 2
	s_delay_alu instid0(VALU_DEP_1) | instskip(SKIP_3) | instid1(VALU_DEP_3)
	v_add_co_ci_u32_e64 v57, s3, 0, v54, s3
	v_sub_co_u32 v58, s3, v30, s26
	v_sub_co_ci_u32_e32 v31, vcc_lo, v29, v31, vcc_lo
	v_subrev_co_ci_u32_e64 v55, s3, 0, v55, s3
	v_cmp_le_u32_e32 vcc_lo, s26, v58
	s_delay_alu instid0(VALU_DEP_3) | instskip(SKIP_1) | instid1(VALU_DEP_4)
	v_cmp_eq_u32_e64 s3, s27, v31
	v_cndmask_b32_e64 v58, 0, -1, vcc_lo
	v_cmp_le_u32_e32 vcc_lo, s27, v55
	v_cndmask_b32_e64 v59, 0, -1, vcc_lo
	v_cmp_le_u32_e32 vcc_lo, s26, v30
	;; [unrolled: 2-line block ×3, first 2 shown]
	v_cndmask_b32_e64 v60, 0, -1, vcc_lo
	v_cmp_eq_u32_e32 vcc_lo, s27, v55
	s_delay_alu instid0(VALU_DEP_2) | instskip(SKIP_3) | instid1(VALU_DEP_3)
	v_cndmask_b32_e64 v30, v60, v30, s3
	v_cndmask_b32_e32 v55, v59, v58, vcc_lo
	v_add_co_u32 v58, vcc_lo, v20, 1
	v_add_co_ci_u32_e32 v59, vcc_lo, 0, v54, vcc_lo
	v_cmp_ne_u32_e32 vcc_lo, 0, v55
	s_delay_alu instid0(VALU_DEP_3) | instskip(NEXT) | instid1(VALU_DEP_3)
	v_cndmask_b32_e32 v55, v58, v56, vcc_lo
	v_cndmask_b32_e32 v31, v59, v57, vcc_lo
	v_cmp_ne_u32_e32 vcc_lo, 0, v30
	s_delay_alu instid0(VALU_DEP_3) | instskip(NEXT) | instid1(VALU_DEP_3)
	v_cndmask_b32_e32 v30, v20, v55, vcc_lo
	v_cndmask_b32_e32 v31, v54, v31, vcc_lo
.LBB41_62:                              ;   in Loop: Header=BB41_60 Depth=2
	s_and_not1_saveexec_b32 s3, s39
	s_cbranch_execz .LBB41_64
; %bb.63:                               ;   in Loop: Header=BB41_60 Depth=2
	v_cvt_f32_u32_e32 v20, s26
	s_sub_i32 s39, 0, s26
	s_delay_alu instid0(VALU_DEP_1) | instskip(SKIP_2) | instid1(VALU_DEP_1)
	v_rcp_iflag_f32_e32 v20, v20
	s_waitcnt_depctr 0xfff
	v_mul_f32_e32 v20, 0x4f7ffffe, v20
	v_cvt_u32_f32_e32 v20, v20
	s_delay_alu instid0(VALU_DEP_1) | instskip(NEXT) | instid1(VALU_DEP_1)
	v_mul_lo_u32 v30, s39, v20
	v_mul_hi_u32 v30, v20, v30
	s_delay_alu instid0(VALU_DEP_1) | instskip(NEXT) | instid1(VALU_DEP_1)
	v_add_nc_u32_e32 v20, v20, v30
	v_mul_hi_u32 v20, v28, v20
	s_delay_alu instid0(VALU_DEP_1) | instskip(NEXT) | instid1(VALU_DEP_1)
	v_mul_lo_u32 v30, v20, s26
	v_sub_nc_u32_e32 v30, v28, v30
	s_delay_alu instid0(VALU_DEP_1) | instskip(SKIP_1) | instid1(VALU_DEP_2)
	v_subrev_nc_u32_e32 v54, s26, v30
	v_cmp_le_u32_e32 vcc_lo, s26, v30
	v_dual_cndmask_b32 v30, v30, v54 :: v_dual_add_nc_u32 v31, 1, v20
	s_delay_alu instid0(VALU_DEP_1) | instskip(NEXT) | instid1(VALU_DEP_2)
	v_cndmask_b32_e32 v20, v20, v31, vcc_lo
	v_cmp_le_u32_e32 vcc_lo, s26, v30
	s_delay_alu instid0(VALU_DEP_2) | instskip(NEXT) | instid1(VALU_DEP_1)
	v_add_nc_u32_e32 v31, 1, v20
	v_dual_cndmask_b32 v30, v20, v31 :: v_dual_mov_b32 v31, v19
.LBB41_64:                              ;   in Loop: Header=BB41_60 Depth=2
	s_or_b32 exec_lo, exec_lo, s3
	s_load_b64 s[40:41], s[24:25], 0xc8
	s_delay_alu instid0(VALU_DEP_1) | instskip(NEXT) | instid1(VALU_DEP_2)
	v_mul_lo_u32 v20, v31, s26
	v_mul_lo_u32 v56, v30, s27
	v_mad_u64_u32 v[54:55], null, v30, s26, 0
	s_add_i32 s38, s38, -1
	s_add_u32 s24, s24, -8
	s_addc_u32 s25, s25, -1
	s_cmp_gt_u32 s38, 2
	s_delay_alu instid0(VALU_DEP_1) | instskip(NEXT) | instid1(VALU_DEP_2)
	v_add3_u32 v20, v55, v56, v20
	v_sub_co_u32 v54, vcc_lo, v28, v54
	s_delay_alu instid0(VALU_DEP_2) | instskip(SKIP_1) | instid1(VALU_DEP_2)
	v_sub_co_ci_u32_e32 v20, vcc_lo, v29, v20, vcc_lo
	s_waitcnt lgkmcnt(0)
	v_mul_lo_u32 v55, s41, v54
	s_delay_alu instid0(VALU_DEP_2) | instskip(SKIP_1) | instid1(VALU_DEP_1)
	v_mul_lo_u32 v20, s40, v20
	v_mad_u64_u32 v[28:29], null, s40, v54, v[26:27]
	v_add3_u32 v27, v55, v29, v20
	s_delay_alu instid0(VALU_DEP_2)
	v_mov_b32_e32 v26, v28
	s_cbranch_scc0 .LBB41_66
; %bb.65:                               ;   in Loop: Header=BB41_60 Depth=2
	v_dual_mov_b32 v28, v30 :: v_dual_mov_b32 v29, v31
	s_branch .LBB41_60
.LBB41_66:                              ;   in Loop: Header=BB41_9 Depth=1
	v_cvt_f32_u32_e32 v4, v4
	s_delay_alu instid0(VALU_DEP_2) | instskip(SKIP_2) | instid1(VALU_DEP_4)
	v_mad_u64_u32 v[28:29], null, s18, v30, v[26:27]
	v_mul_lo_u32 v20, s18, v31
	v_mul_lo_u32 v26, s19, v30
	v_fmaak_f32 v4, 0x2f800000, v4, 0x2f800000
	s_delay_alu instid0(VALU_DEP_1) | instskip(NEXT) | instid1(VALU_DEP_3)
	v_cmp_gt_f32_e32 vcc_lo, s30, v4
	v_add3_u32 v29, v26, v29, v20
	v_cndmask_b32_e64 v4, 0, 1.0, vcc_lo
	v_cndmask_b32_e64 v20, 0, 1, vcc_lo
	s_delay_alu instid0(VALU_DEP_3) | instskip(SKIP_4) | instid1(VALU_DEP_4)
	v_lshlrev_b64 v[26:27], 2, v[28:29]
	v_add_co_u32 v28, s3, s10, v28
	s_waitcnt vmcnt(0)
	v_mul_f32_e32 v4, v0, v4
	v_add_co_ci_u32_e64 v29, s3, s11, v29, s3
	v_add_co_u32 v26, s3, s12, v26
	s_delay_alu instid0(VALU_DEP_1) | instskip(NEXT) | instid1(VALU_DEP_4)
	v_add_co_ci_u32_e64 v27, s3, s13, v27, s3
	v_mul_f32_e32 v4, v53, v4
	global_store_b32 v[26:27], v4, off
	global_store_b8 v[28:29], v20, off
	s_or_b32 exec_lo, exec_lo, s4
	s_and_saveexec_b32 s3, s2
	s_cbranch_execz .LBB41_49
.LBB41_67:                              ;   in Loop: Header=BB41_9 Depth=1
	v_mov_b32_e32 v26, 0
	v_mov_b32_e32 v27, 0
	s_and_not1_b32 vcc_lo, exec_lo, s33
	s_mov_b64 s[24:25], s[22:23]
	s_mov_b32 s4, s37
	s_cbranch_vccz .LBB41_73
.LBB41_68:                              ;   in Loop: Header=BB41_9 Depth=1
	v_cvt_f32_u32_e32 v5, v5
	s_delay_alu instid0(VALU_DEP_2) | instskip(NEXT) | instid1(VALU_DEP_3)
	v_mad_u64_u32 v[28:29], null, s18, v24, v[26:27]
	v_mul_lo_u32 v4, s18, v25
	v_mul_lo_u32 v20, s19, v24
	s_delay_alu instid0(VALU_DEP_4) | instskip(NEXT) | instid1(VALU_DEP_4)
	v_fmaak_f32 v5, 0x2f800000, v5, 0x2f800000
	v_add_co_u32 v24, s2, s10, v28
	s_delay_alu instid0(VALU_DEP_2) | instskip(NEXT) | instid1(VALU_DEP_4)
	v_cmp_gt_f32_e32 vcc_lo, s30, v5
	v_add3_u32 v29, v20, v29, v4
	v_cndmask_b32_e64 v20, 0, 1.0, vcc_lo
	s_delay_alu instid0(VALU_DEP_2) | instskip(SKIP_4) | instid1(VALU_DEP_4)
	v_lshlrev_b64 v[4:5], 2, v[28:29]
	v_add_co_ci_u32_e64 v25, s2, s11, v29, s2
	v_cndmask_b32_e64 v26, 0, 1, vcc_lo
	s_waitcnt vmcnt(0)
	v_mul_f32_e32 v20, v1, v20
	v_add_co_u32 v4, s2, s12, v4
	s_delay_alu instid0(VALU_DEP_1) | instskip(NEXT) | instid1(VALU_DEP_3)
	v_add_co_ci_u32_e64 v5, s2, s13, v5, s2
	v_mul_f32_e32 v20, v53, v20
	global_store_b32 v[4:5], v20, off
	global_store_b8 v[24:25], v26, off
	s_or_b32 exec_lo, exec_lo, s3
	s_and_saveexec_b32 s4, s1
	s_cbranch_execz .LBB41_50
.LBB41_69:                              ;   in Loop: Header=BB41_9 Depth=1
	v_mov_b32_e32 v4, 0
	v_mov_b32_e32 v5, 0
	s_and_not1_b32 vcc_lo, exec_lo, s33
	s_mov_b64 s[2:3], s[22:23]
	s_mov_b32 s26, s37
	s_cbranch_vccz .LBB41_78
.LBB41_70:                              ;   in Loop: Header=BB41_9 Depth=1
	v_cvt_f32_u32_e32 v6, v6
	s_delay_alu instid0(VALU_DEP_3) | instskip(NEXT) | instid1(VALU_DEP_3)
	v_mad_u64_u32 v[24:25], null, s18, v13, v[4:5]
	v_mul_lo_u32 v4, s18, v14
	v_mul_lo_u32 v5, s19, v13
	s_delay_alu instid0(VALU_DEP_4) | instskip(NEXT) | instid1(VALU_DEP_4)
	v_fmaak_f32 v6, 0x2f800000, v6, 0x2f800000
	v_add_co_u32 v13, s1, s10, v24
	s_delay_alu instid0(VALU_DEP_2) | instskip(NEXT) | instid1(VALU_DEP_4)
	v_cmp_gt_f32_e32 vcc_lo, s30, v6
	v_add3_u32 v25, v5, v25, v4
	v_cndmask_b32_e64 v6, 0, 1.0, vcc_lo
	s_delay_alu instid0(VALU_DEP_2) | instskip(SKIP_4) | instid1(VALU_DEP_4)
	v_lshlrev_b64 v[4:5], 2, v[24:25]
	v_add_co_ci_u32_e64 v14, s1, s11, v25, s1
	v_cndmask_b32_e64 v20, 0, 1, vcc_lo
	s_waitcnt vmcnt(0)
	v_mul_f32_e32 v6, v2, v6
	v_add_co_u32 v4, s1, s12, v4
	s_delay_alu instid0(VALU_DEP_1) | instskip(NEXT) | instid1(VALU_DEP_3)
	v_add_co_ci_u32_e64 v5, s1, s13, v5, s1
	v_mul_f32_e32 v6, v53, v6
	global_store_b32 v[4:5], v6, off
	global_store_b8 v[13:14], v20, off
	s_or_b32 exec_lo, exec_lo, s4
	s_and_saveexec_b32 s1, s0
	s_cbranch_execz .LBB41_8
.LBB41_71:                              ;   in Loop: Header=BB41_9 Depth=1
	v_mov_b32_e32 v4, 0
	v_mov_b32_e32 v5, 0
	s_and_not1_b32 vcc_lo, exec_lo, s33
	s_mov_b64 s[2:3], s[22:23]
	s_mov_b32 s4, s37
	s_cbranch_vccz .LBB41_83
	s_branch .LBB41_7
.LBB41_72:                              ;   in Loop: Header=BB41_73 Depth=2
	s_or_b32 exec_lo, exec_lo, s2
	s_load_b64 s[38:39], s[24:25], 0xc8
	v_mul_lo_u32 v4, v29, s26
	v_mul_lo_u32 v20, v28, s27
	v_mad_u64_u32 v[30:31], null, v28, s26, 0
	s_add_i32 s4, s4, -1
	s_add_u32 s24, s24, -8
	s_addc_u32 s25, s25, -1
	s_cmp_gt_u32 s4, 2
	s_delay_alu instid0(VALU_DEP_1) | instskip(NEXT) | instid1(VALU_DEP_2)
	v_add3_u32 v4, v31, v20, v4
	v_sub_co_u32 v20, vcc_lo, v24, v30
	s_delay_alu instid0(VALU_DEP_2) | instskip(SKIP_1) | instid1(VALU_DEP_2)
	v_sub_co_ci_u32_e32 v4, vcc_lo, v25, v4, vcc_lo
	s_waitcnt lgkmcnt(0)
	v_mul_lo_u32 v30, s39, v20
	s_delay_alu instid0(VALU_DEP_2) | instskip(SKIP_1) | instid1(VALU_DEP_1)
	v_mul_lo_u32 v4, s38, v4
	v_mad_u64_u32 v[24:25], null, s38, v20, v[26:27]
	v_add3_u32 v27, v30, v25, v4
	s_delay_alu instid0(VALU_DEP_2)
	v_mov_b32_e32 v26, v24
	v_dual_mov_b32 v24, v28 :: v_dual_mov_b32 v25, v29
	s_cbranch_scc0 .LBB41_68
.LBB41_73:                              ;   Parent Loop BB41_9 Depth=1
                                        ; =>  This Inner Loop Header: Depth=2
	s_load_b64 s[26:27], s[24:25], 0x0
                                        ; implicit-def: $vgpr28_vgpr29
	s_mov_b32 s2, exec_lo
	s_waitcnt lgkmcnt(0)
	v_or_b32_e32 v20, s27, v25
	s_delay_alu instid0(VALU_DEP_1)
	v_cmpx_ne_u64_e32 0, v[19:20]
	s_xor_b32 s38, exec_lo, s2
	s_cbranch_execz .LBB41_75
; %bb.74:                               ;   in Loop: Header=BB41_73 Depth=2
	v_cvt_f32_u32_e32 v4, s26
	v_cvt_f32_u32_e32 v20, s27
	s_sub_u32 s2, 0, s26
	s_subb_u32 s39, 0, s27
	s_delay_alu instid0(VALU_DEP_1) | instskip(NEXT) | instid1(VALU_DEP_1)
	v_fmac_f32_e32 v4, 0x4f800000, v20
	v_rcp_f32_e32 v4, v4
	s_waitcnt_depctr 0xfff
	v_mul_f32_e32 v4, 0x5f7ffffc, v4
	s_delay_alu instid0(VALU_DEP_1) | instskip(NEXT) | instid1(VALU_DEP_1)
	v_mul_f32_e32 v20, 0x2f800000, v4
	v_trunc_f32_e32 v20, v20
	s_delay_alu instid0(VALU_DEP_1) | instskip(SKIP_1) | instid1(VALU_DEP_2)
	v_fmac_f32_e32 v4, 0xcf800000, v20
	v_cvt_u32_f32_e32 v20, v20
	v_cvt_u32_f32_e32 v4, v4
	s_delay_alu instid0(VALU_DEP_2) | instskip(NEXT) | instid1(VALU_DEP_2)
	v_mul_lo_u32 v28, s2, v20
	v_mul_hi_u32 v29, s2, v4
	v_mul_lo_u32 v30, s39, v4
	s_delay_alu instid0(VALU_DEP_2) | instskip(SKIP_1) | instid1(VALU_DEP_2)
	v_add_nc_u32_e32 v28, v29, v28
	v_mul_lo_u32 v29, s2, v4
	v_add_nc_u32_e32 v28, v28, v30
	s_delay_alu instid0(VALU_DEP_2) | instskip(NEXT) | instid1(VALU_DEP_2)
	v_mul_hi_u32 v30, v4, v29
	v_mul_lo_u32 v31, v4, v28
	v_mul_hi_u32 v54, v4, v28
	v_mul_hi_u32 v55, v20, v29
	v_mul_lo_u32 v29, v20, v29
	v_mul_hi_u32 v56, v20, v28
	v_mul_lo_u32 v28, v20, v28
	v_add_co_u32 v30, vcc_lo, v30, v31
	v_add_co_ci_u32_e32 v31, vcc_lo, 0, v54, vcc_lo
	s_delay_alu instid0(VALU_DEP_2) | instskip(NEXT) | instid1(VALU_DEP_2)
	v_add_co_u32 v29, vcc_lo, v30, v29
	v_add_co_ci_u32_e32 v29, vcc_lo, v31, v55, vcc_lo
	v_add_co_ci_u32_e32 v30, vcc_lo, 0, v56, vcc_lo
	s_delay_alu instid0(VALU_DEP_2) | instskip(NEXT) | instid1(VALU_DEP_2)
	v_add_co_u32 v28, vcc_lo, v29, v28
	v_add_co_ci_u32_e32 v29, vcc_lo, 0, v30, vcc_lo
	s_delay_alu instid0(VALU_DEP_2) | instskip(NEXT) | instid1(VALU_DEP_2)
	v_add_co_u32 v4, vcc_lo, v4, v28
	v_add_co_ci_u32_e32 v20, vcc_lo, v20, v29, vcc_lo
	s_delay_alu instid0(VALU_DEP_2) | instskip(SKIP_1) | instid1(VALU_DEP_3)
	v_mul_hi_u32 v28, s2, v4
	v_mul_lo_u32 v30, s39, v4
	v_mul_lo_u32 v29, s2, v20
	s_delay_alu instid0(VALU_DEP_1) | instskip(SKIP_1) | instid1(VALU_DEP_2)
	v_add_nc_u32_e32 v28, v28, v29
	v_mul_lo_u32 v29, s2, v4
	v_add_nc_u32_e32 v28, v28, v30
	s_delay_alu instid0(VALU_DEP_2) | instskip(NEXT) | instid1(VALU_DEP_2)
	v_mul_hi_u32 v30, v4, v29
	v_mul_lo_u32 v31, v4, v28
	v_mul_hi_u32 v54, v4, v28
	v_mul_hi_u32 v55, v20, v29
	v_mul_lo_u32 v29, v20, v29
	v_mul_hi_u32 v56, v20, v28
	v_mul_lo_u32 v28, v20, v28
	v_add_co_u32 v30, vcc_lo, v30, v31
	v_add_co_ci_u32_e32 v31, vcc_lo, 0, v54, vcc_lo
	s_delay_alu instid0(VALU_DEP_2) | instskip(NEXT) | instid1(VALU_DEP_2)
	v_add_co_u32 v29, vcc_lo, v30, v29
	v_add_co_ci_u32_e32 v29, vcc_lo, v31, v55, vcc_lo
	v_add_co_ci_u32_e32 v30, vcc_lo, 0, v56, vcc_lo
	s_delay_alu instid0(VALU_DEP_2) | instskip(NEXT) | instid1(VALU_DEP_2)
	v_add_co_u32 v28, vcc_lo, v29, v28
	v_add_co_ci_u32_e32 v29, vcc_lo, 0, v30, vcc_lo
	s_delay_alu instid0(VALU_DEP_2) | instskip(NEXT) | instid1(VALU_DEP_2)
	v_add_co_u32 v4, vcc_lo, v4, v28
	v_add_co_ci_u32_e32 v20, vcc_lo, v20, v29, vcc_lo
	s_delay_alu instid0(VALU_DEP_2) | instskip(SKIP_1) | instid1(VALU_DEP_3)
	v_mul_hi_u32 v56, v24, v4
	v_mad_u64_u32 v[30:31], null, v25, v4, 0
	v_mad_u64_u32 v[28:29], null, v24, v20, 0
	;; [unrolled: 1-line block ×3, first 2 shown]
	s_delay_alu instid0(VALU_DEP_2) | instskip(NEXT) | instid1(VALU_DEP_3)
	v_add_co_u32 v4, vcc_lo, v56, v28
	v_add_co_ci_u32_e32 v20, vcc_lo, 0, v29, vcc_lo
	s_delay_alu instid0(VALU_DEP_2) | instskip(NEXT) | instid1(VALU_DEP_2)
	v_add_co_u32 v4, vcc_lo, v4, v30
	v_add_co_ci_u32_e32 v4, vcc_lo, v20, v31, vcc_lo
	v_add_co_ci_u32_e32 v20, vcc_lo, 0, v55, vcc_lo
	s_delay_alu instid0(VALU_DEP_2) | instskip(NEXT) | instid1(VALU_DEP_2)
	v_add_co_u32 v4, vcc_lo, v4, v54
	v_add_co_ci_u32_e32 v20, vcc_lo, 0, v20, vcc_lo
	s_delay_alu instid0(VALU_DEP_2) | instskip(SKIP_1) | instid1(VALU_DEP_3)
	v_mul_lo_u32 v30, s27, v4
	v_mad_u64_u32 v[28:29], null, s26, v4, 0
	v_mul_lo_u32 v31, s26, v20
	s_delay_alu instid0(VALU_DEP_2) | instskip(NEXT) | instid1(VALU_DEP_2)
	v_sub_co_u32 v28, vcc_lo, v24, v28
	v_add3_u32 v29, v29, v31, v30
	s_delay_alu instid0(VALU_DEP_1) | instskip(NEXT) | instid1(VALU_DEP_1)
	v_sub_nc_u32_e32 v30, v25, v29
	v_subrev_co_ci_u32_e64 v30, s2, s27, v30, vcc_lo
	v_add_co_u32 v31, s2, v4, 2
	s_delay_alu instid0(VALU_DEP_1) | instskip(SKIP_3) | instid1(VALU_DEP_3)
	v_add_co_ci_u32_e64 v54, s2, 0, v20, s2
	v_sub_co_u32 v55, s2, v28, s26
	v_sub_co_ci_u32_e32 v29, vcc_lo, v25, v29, vcc_lo
	v_subrev_co_ci_u32_e64 v30, s2, 0, v30, s2
	v_cmp_le_u32_e32 vcc_lo, s26, v55
	s_delay_alu instid0(VALU_DEP_3) | instskip(SKIP_1) | instid1(VALU_DEP_4)
	v_cmp_eq_u32_e64 s2, s27, v29
	v_cndmask_b32_e64 v55, 0, -1, vcc_lo
	v_cmp_le_u32_e32 vcc_lo, s27, v30
	v_cndmask_b32_e64 v56, 0, -1, vcc_lo
	v_cmp_le_u32_e32 vcc_lo, s26, v28
	;; [unrolled: 2-line block ×3, first 2 shown]
	v_cndmask_b32_e64 v57, 0, -1, vcc_lo
	v_cmp_eq_u32_e32 vcc_lo, s27, v30
	s_delay_alu instid0(VALU_DEP_2) | instskip(SKIP_3) | instid1(VALU_DEP_3)
	v_cndmask_b32_e64 v28, v57, v28, s2
	v_cndmask_b32_e32 v30, v56, v55, vcc_lo
	v_add_co_u32 v55, vcc_lo, v4, 1
	v_add_co_ci_u32_e32 v56, vcc_lo, 0, v20, vcc_lo
	v_cmp_ne_u32_e32 vcc_lo, 0, v30
	s_delay_alu instid0(VALU_DEP_2) | instskip(SKIP_1) | instid1(VALU_DEP_2)
	v_dual_cndmask_b32 v29, v56, v54 :: v_dual_cndmask_b32 v30, v55, v31
	v_cmp_ne_u32_e32 vcc_lo, 0, v28
	v_cndmask_b32_e32 v29, v20, v29, vcc_lo
	s_delay_alu instid0(VALU_DEP_3)
	v_cndmask_b32_e32 v28, v4, v30, vcc_lo
.LBB41_75:                              ;   in Loop: Header=BB41_73 Depth=2
	s_and_not1_saveexec_b32 s2, s38
	s_cbranch_execz .LBB41_72
; %bb.76:                               ;   in Loop: Header=BB41_73 Depth=2
	v_cvt_f32_u32_e32 v4, s26
	s_sub_i32 s38, 0, s26
	s_delay_alu instid0(VALU_DEP_1) | instskip(SKIP_2) | instid1(VALU_DEP_1)
	v_rcp_iflag_f32_e32 v4, v4
	s_waitcnt_depctr 0xfff
	v_mul_f32_e32 v4, 0x4f7ffffe, v4
	v_cvt_u32_f32_e32 v4, v4
	s_delay_alu instid0(VALU_DEP_1) | instskip(NEXT) | instid1(VALU_DEP_1)
	v_mul_lo_u32 v20, s38, v4
	v_mul_hi_u32 v20, v4, v20
	s_delay_alu instid0(VALU_DEP_1) | instskip(NEXT) | instid1(VALU_DEP_1)
	v_add_nc_u32_e32 v4, v4, v20
	v_mul_hi_u32 v4, v24, v4
	s_delay_alu instid0(VALU_DEP_1) | instskip(SKIP_1) | instid1(VALU_DEP_2)
	v_mul_lo_u32 v20, v4, s26
	v_add_nc_u32_e32 v28, 1, v4
	v_sub_nc_u32_e32 v20, v24, v20
	s_delay_alu instid0(VALU_DEP_1) | instskip(SKIP_1) | instid1(VALU_DEP_2)
	v_subrev_nc_u32_e32 v29, s26, v20
	v_cmp_le_u32_e32 vcc_lo, s26, v20
	v_dual_cndmask_b32 v20, v20, v29 :: v_dual_mov_b32 v29, v19
	v_cndmask_b32_e32 v4, v4, v28, vcc_lo
	s_delay_alu instid0(VALU_DEP_2) | instskip(NEXT) | instid1(VALU_DEP_2)
	v_cmp_le_u32_e32 vcc_lo, s26, v20
	v_add_nc_u32_e32 v28, 1, v4
	s_delay_alu instid0(VALU_DEP_1)
	v_cndmask_b32_e32 v28, v4, v28, vcc_lo
	s_branch .LBB41_72
.LBB41_77:                              ;   in Loop: Header=BB41_78 Depth=2
	s_or_b32 exec_lo, exec_lo, s1
	s_load_b64 s[38:39], s[2:3], 0xc8
	s_delay_alu instid0(VALU_DEP_1)
	v_mul_lo_u32 v20, v25, s24
	v_mul_lo_u32 v28, v24, s25
	v_mad_u64_u32 v[26:27], null, v24, s24, 0
	s_add_i32 s26, s26, -1
	s_add_u32 s2, s2, -8
	s_addc_u32 s3, s3, -1
	s_cmp_gt_u32 s26, 2
	s_delay_alu instid0(VALU_DEP_1) | instskip(NEXT) | instid1(VALU_DEP_2)
	v_add3_u32 v20, v27, v28, v20
	v_sub_co_u32 v26, vcc_lo, v13, v26
	s_delay_alu instid0(VALU_DEP_2) | instskip(SKIP_1) | instid1(VALU_DEP_2)
	v_sub_co_ci_u32_e32 v13, vcc_lo, v14, v20, vcc_lo
	s_waitcnt lgkmcnt(0)
	v_mul_lo_u32 v27, s39, v26
	s_delay_alu instid0(VALU_DEP_2) | instskip(SKIP_1) | instid1(VALU_DEP_1)
	v_mul_lo_u32 v20, s38, v13
	v_mad_u64_u32 v[13:14], null, s38, v26, v[4:5]
	v_add3_u32 v5, v27, v14, v20
	s_delay_alu instid0(VALU_DEP_2)
	v_dual_mov_b32 v4, v13 :: v_dual_mov_b32 v13, v24
	v_mov_b32_e32 v14, v25
	s_cbranch_scc0 .LBB41_70
.LBB41_78:                              ;   Parent Loop BB41_9 Depth=1
                                        ; =>  This Inner Loop Header: Depth=2
	s_load_b64 s[24:25], s[2:3], 0x0
                                        ; implicit-def: $vgpr24_vgpr25
	s_mov_b32 s1, exec_lo
	s_waitcnt lgkmcnt(0)
	v_or_b32_e32 v20, s25, v14
	s_delay_alu instid0(VALU_DEP_1)
	v_cmpx_ne_u64_e32 0, v[19:20]
	s_xor_b32 s27, exec_lo, s1
	s_cbranch_execz .LBB41_80
; %bb.79:                               ;   in Loop: Header=BB41_78 Depth=2
	v_cvt_f32_u32_e32 v20, s24
	v_cvt_f32_u32_e32 v24, s25
	s_sub_u32 s1, 0, s24
	s_subb_u32 s38, 0, s25
	s_delay_alu instid0(VALU_DEP_1) | instskip(NEXT) | instid1(VALU_DEP_1)
	v_fmac_f32_e32 v20, 0x4f800000, v24
	v_rcp_f32_e32 v20, v20
	s_waitcnt_depctr 0xfff
	v_mul_f32_e32 v20, 0x5f7ffffc, v20
	s_delay_alu instid0(VALU_DEP_1) | instskip(NEXT) | instid1(VALU_DEP_1)
	v_mul_f32_e32 v24, 0x2f800000, v20
	v_trunc_f32_e32 v24, v24
	s_delay_alu instid0(VALU_DEP_1) | instskip(SKIP_1) | instid1(VALU_DEP_2)
	v_fmac_f32_e32 v20, 0xcf800000, v24
	v_cvt_u32_f32_e32 v24, v24
	v_cvt_u32_f32_e32 v20, v20
	s_delay_alu instid0(VALU_DEP_2) | instskip(NEXT) | instid1(VALU_DEP_2)
	v_mul_lo_u32 v25, s1, v24
	v_mul_hi_u32 v26, s1, v20
	v_mul_lo_u32 v27, s38, v20
	s_delay_alu instid0(VALU_DEP_2) | instskip(SKIP_1) | instid1(VALU_DEP_2)
	v_add_nc_u32_e32 v25, v26, v25
	v_mul_lo_u32 v26, s1, v20
	v_add_nc_u32_e32 v25, v25, v27
	s_delay_alu instid0(VALU_DEP_2) | instskip(NEXT) | instid1(VALU_DEP_2)
	v_mul_hi_u32 v27, v20, v26
	v_mul_lo_u32 v28, v20, v25
	v_mul_hi_u32 v29, v20, v25
	v_mul_hi_u32 v30, v24, v26
	v_mul_lo_u32 v26, v24, v26
	v_mul_hi_u32 v31, v24, v25
	v_mul_lo_u32 v25, v24, v25
	v_add_co_u32 v27, vcc_lo, v27, v28
	v_add_co_ci_u32_e32 v28, vcc_lo, 0, v29, vcc_lo
	s_delay_alu instid0(VALU_DEP_2) | instskip(NEXT) | instid1(VALU_DEP_2)
	v_add_co_u32 v26, vcc_lo, v27, v26
	v_add_co_ci_u32_e32 v26, vcc_lo, v28, v30, vcc_lo
	v_add_co_ci_u32_e32 v27, vcc_lo, 0, v31, vcc_lo
	s_delay_alu instid0(VALU_DEP_2) | instskip(NEXT) | instid1(VALU_DEP_2)
	v_add_co_u32 v25, vcc_lo, v26, v25
	v_add_co_ci_u32_e32 v26, vcc_lo, 0, v27, vcc_lo
	s_delay_alu instid0(VALU_DEP_2) | instskip(NEXT) | instid1(VALU_DEP_2)
	v_add_co_u32 v20, vcc_lo, v20, v25
	v_add_co_ci_u32_e32 v24, vcc_lo, v24, v26, vcc_lo
	s_delay_alu instid0(VALU_DEP_2) | instskip(SKIP_1) | instid1(VALU_DEP_3)
	v_mul_hi_u32 v25, s1, v20
	v_mul_lo_u32 v27, s38, v20
	v_mul_lo_u32 v26, s1, v24
	s_delay_alu instid0(VALU_DEP_1) | instskip(SKIP_1) | instid1(VALU_DEP_2)
	v_add_nc_u32_e32 v25, v25, v26
	v_mul_lo_u32 v26, s1, v20
	v_add_nc_u32_e32 v25, v25, v27
	s_delay_alu instid0(VALU_DEP_2) | instskip(NEXT) | instid1(VALU_DEP_2)
	v_mul_hi_u32 v27, v20, v26
	v_mul_lo_u32 v28, v20, v25
	v_mul_hi_u32 v29, v20, v25
	v_mul_hi_u32 v30, v24, v26
	v_mul_lo_u32 v26, v24, v26
	v_mul_hi_u32 v31, v24, v25
	v_mul_lo_u32 v25, v24, v25
	v_add_co_u32 v27, vcc_lo, v27, v28
	v_add_co_ci_u32_e32 v28, vcc_lo, 0, v29, vcc_lo
	s_delay_alu instid0(VALU_DEP_2) | instskip(NEXT) | instid1(VALU_DEP_2)
	v_add_co_u32 v26, vcc_lo, v27, v26
	v_add_co_ci_u32_e32 v26, vcc_lo, v28, v30, vcc_lo
	v_add_co_ci_u32_e32 v27, vcc_lo, 0, v31, vcc_lo
	s_delay_alu instid0(VALU_DEP_2) | instskip(NEXT) | instid1(VALU_DEP_2)
	v_add_co_u32 v25, vcc_lo, v26, v25
	v_add_co_ci_u32_e32 v26, vcc_lo, 0, v27, vcc_lo
	s_delay_alu instid0(VALU_DEP_2) | instskip(NEXT) | instid1(VALU_DEP_2)
	v_add_co_u32 v20, vcc_lo, v20, v25
	v_add_co_ci_u32_e32 v30, vcc_lo, v24, v26, vcc_lo
	s_delay_alu instid0(VALU_DEP_2) | instskip(SKIP_1) | instid1(VALU_DEP_3)
	v_mul_hi_u32 v31, v13, v20
	v_mad_u64_u32 v[26:27], null, v14, v20, 0
	v_mad_u64_u32 v[24:25], null, v13, v30, 0
	;; [unrolled: 1-line block ×3, first 2 shown]
	s_delay_alu instid0(VALU_DEP_2) | instskip(NEXT) | instid1(VALU_DEP_3)
	v_add_co_u32 v20, vcc_lo, v31, v24
	v_add_co_ci_u32_e32 v24, vcc_lo, 0, v25, vcc_lo
	s_delay_alu instid0(VALU_DEP_2) | instskip(NEXT) | instid1(VALU_DEP_2)
	v_add_co_u32 v20, vcc_lo, v20, v26
	v_add_co_ci_u32_e32 v20, vcc_lo, v24, v27, vcc_lo
	v_add_co_ci_u32_e32 v24, vcc_lo, 0, v29, vcc_lo
	s_delay_alu instid0(VALU_DEP_2) | instskip(NEXT) | instid1(VALU_DEP_2)
	v_add_co_u32 v20, vcc_lo, v20, v28
	v_add_co_ci_u32_e32 v26, vcc_lo, 0, v24, vcc_lo
	s_delay_alu instid0(VALU_DEP_2) | instskip(SKIP_1) | instid1(VALU_DEP_3)
	v_mul_lo_u32 v27, s25, v20
	v_mad_u64_u32 v[24:25], null, s24, v20, 0
	v_mul_lo_u32 v28, s24, v26
	s_delay_alu instid0(VALU_DEP_2) | instskip(NEXT) | instid1(VALU_DEP_2)
	v_sub_co_u32 v24, vcc_lo, v13, v24
	v_add3_u32 v25, v25, v28, v27
	s_delay_alu instid0(VALU_DEP_1) | instskip(NEXT) | instid1(VALU_DEP_1)
	v_sub_nc_u32_e32 v27, v14, v25
	v_subrev_co_ci_u32_e64 v27, s1, s25, v27, vcc_lo
	v_add_co_u32 v28, s1, v20, 2
	s_delay_alu instid0(VALU_DEP_1) | instskip(SKIP_3) | instid1(VALU_DEP_3)
	v_add_co_ci_u32_e64 v29, s1, 0, v26, s1
	v_sub_co_u32 v30, s1, v24, s24
	v_sub_co_ci_u32_e32 v25, vcc_lo, v14, v25, vcc_lo
	v_subrev_co_ci_u32_e64 v27, s1, 0, v27, s1
	v_cmp_le_u32_e32 vcc_lo, s24, v30
	s_delay_alu instid0(VALU_DEP_3) | instskip(SKIP_1) | instid1(VALU_DEP_4)
	v_cmp_eq_u32_e64 s1, s25, v25
	v_cndmask_b32_e64 v30, 0, -1, vcc_lo
	v_cmp_le_u32_e32 vcc_lo, s25, v27
	v_cndmask_b32_e64 v31, 0, -1, vcc_lo
	v_cmp_le_u32_e32 vcc_lo, s24, v24
	;; [unrolled: 2-line block ×3, first 2 shown]
	v_cndmask_b32_e64 v54, 0, -1, vcc_lo
	v_cmp_eq_u32_e32 vcc_lo, s25, v27
	s_delay_alu instid0(VALU_DEP_2) | instskip(SKIP_3) | instid1(VALU_DEP_3)
	v_cndmask_b32_e64 v24, v54, v24, s1
	v_cndmask_b32_e32 v27, v31, v30, vcc_lo
	v_add_co_u32 v30, vcc_lo, v20, 1
	v_add_co_ci_u32_e32 v31, vcc_lo, 0, v26, vcc_lo
	v_cmp_ne_u32_e32 vcc_lo, 0, v27
	s_delay_alu instid0(VALU_DEP_3) | instskip(NEXT) | instid1(VALU_DEP_3)
	v_cndmask_b32_e32 v27, v30, v28, vcc_lo
	v_cndmask_b32_e32 v25, v31, v29, vcc_lo
	v_cmp_ne_u32_e32 vcc_lo, 0, v24
	s_delay_alu instid0(VALU_DEP_2)
	v_dual_cndmask_b32 v24, v20, v27 :: v_dual_cndmask_b32 v25, v26, v25
.LBB41_80:                              ;   in Loop: Header=BB41_78 Depth=2
	s_and_not1_saveexec_b32 s1, s27
	s_cbranch_execz .LBB41_77
; %bb.81:                               ;   in Loop: Header=BB41_78 Depth=2
	v_cvt_f32_u32_e32 v20, s24
	s_sub_i32 s27, 0, s24
	s_delay_alu instid0(VALU_DEP_1) | instskip(SKIP_2) | instid1(VALU_DEP_1)
	v_rcp_iflag_f32_e32 v20, v20
	s_waitcnt_depctr 0xfff
	v_mul_f32_e32 v20, 0x4f7ffffe, v20
	v_cvt_u32_f32_e32 v20, v20
	s_delay_alu instid0(VALU_DEP_1) | instskip(NEXT) | instid1(VALU_DEP_1)
	v_mul_lo_u32 v24, s27, v20
	v_mul_hi_u32 v24, v20, v24
	s_delay_alu instid0(VALU_DEP_1) | instskip(NEXT) | instid1(VALU_DEP_1)
	v_add_nc_u32_e32 v20, v20, v24
	v_mul_hi_u32 v20, v13, v20
	s_delay_alu instid0(VALU_DEP_1) | instskip(NEXT) | instid1(VALU_DEP_1)
	v_mul_lo_u32 v24, v20, s24
	v_sub_nc_u32_e32 v24, v13, v24
	s_delay_alu instid0(VALU_DEP_1) | instskip(SKIP_1) | instid1(VALU_DEP_2)
	v_subrev_nc_u32_e32 v26, s24, v24
	v_cmp_le_u32_e32 vcc_lo, s24, v24
	v_dual_cndmask_b32 v24, v24, v26 :: v_dual_add_nc_u32 v25, 1, v20
	s_delay_alu instid0(VALU_DEP_1) | instskip(NEXT) | instid1(VALU_DEP_2)
	v_cndmask_b32_e32 v20, v20, v25, vcc_lo
	v_cmp_le_u32_e32 vcc_lo, s24, v24
	s_delay_alu instid0(VALU_DEP_2) | instskip(NEXT) | instid1(VALU_DEP_1)
	v_add_nc_u32_e32 v25, 1, v20
	v_dual_cndmask_b32 v24, v20, v25 :: v_dual_mov_b32 v25, v19
	s_branch .LBB41_77
.LBB41_82:                              ;   in Loop: Header=BB41_83 Depth=2
	s_or_b32 exec_lo, exec_lo, s0
	s_load_b64 s[26:27], s[2:3], 0xc8
	s_delay_alu instid0(VALU_DEP_1)
	v_mul_lo_u32 v6, v14, s24
	v_mul_lo_u32 v20, v13, s25
	v_mad_u64_u32 v[24:25], null, v13, s24, 0
	s_add_i32 s4, s4, -1
	s_add_u32 s2, s2, -8
	s_addc_u32 s3, s3, -1
	s_cmp_gt_u32 s4, 2
	s_delay_alu instid0(VALU_DEP_1) | instskip(NEXT) | instid1(VALU_DEP_2)
	v_add3_u32 v6, v25, v20, v6
	v_sub_co_u32 v20, vcc_lo, v11, v24
	s_delay_alu instid0(VALU_DEP_2) | instskip(SKIP_1) | instid1(VALU_DEP_2)
	v_sub_co_ci_u32_e32 v6, vcc_lo, v12, v6, vcc_lo
	s_waitcnt lgkmcnt(0)
	v_mul_lo_u32 v24, s27, v20
	s_delay_alu instid0(VALU_DEP_2) | instskip(SKIP_1) | instid1(VALU_DEP_1)
	v_mul_lo_u32 v6, s26, v6
	v_mad_u64_u32 v[11:12], null, s26, v20, v[4:5]
	v_add3_u32 v5, v24, v12, v6
	s_delay_alu instid0(VALU_DEP_2)
	v_dual_mov_b32 v4, v11 :: v_dual_mov_b32 v11, v13
	v_mov_b32_e32 v12, v14
	s_cbranch_scc0 .LBB41_7
.LBB41_83:                              ;   Parent Loop BB41_9 Depth=1
                                        ; =>  This Inner Loop Header: Depth=2
	s_load_b64 s[24:25], s[2:3], 0x0
                                        ; implicit-def: $vgpr13_vgpr14
	s_mov_b32 s0, exec_lo
	s_waitcnt lgkmcnt(0)
	v_or_b32_e32 v20, s25, v12
	s_delay_alu instid0(VALU_DEP_1)
	v_cmpx_ne_u64_e32 0, v[19:20]
	s_xor_b32 s26, exec_lo, s0
	s_cbranch_execz .LBB41_85
; %bb.84:                               ;   in Loop: Header=BB41_83 Depth=2
	v_cvt_f32_u32_e32 v6, s24
	v_cvt_f32_u32_e32 v13, s25
	s_sub_u32 s0, 0, s24
	s_subb_u32 s27, 0, s25
	s_delay_alu instid0(VALU_DEP_1) | instskip(NEXT) | instid1(VALU_DEP_1)
	v_fmac_f32_e32 v6, 0x4f800000, v13
	v_rcp_f32_e32 v6, v6
	s_waitcnt_depctr 0xfff
	v_mul_f32_e32 v6, 0x5f7ffffc, v6
	s_delay_alu instid0(VALU_DEP_1) | instskip(NEXT) | instid1(VALU_DEP_1)
	v_mul_f32_e32 v13, 0x2f800000, v6
	v_trunc_f32_e32 v13, v13
	s_delay_alu instid0(VALU_DEP_1) | instskip(SKIP_1) | instid1(VALU_DEP_2)
	v_fmac_f32_e32 v6, 0xcf800000, v13
	v_cvt_u32_f32_e32 v13, v13
	v_cvt_u32_f32_e32 v6, v6
	s_delay_alu instid0(VALU_DEP_2) | instskip(NEXT) | instid1(VALU_DEP_2)
	v_mul_lo_u32 v14, s0, v13
	v_mul_hi_u32 v20, s0, v6
	v_mul_lo_u32 v24, s27, v6
	s_delay_alu instid0(VALU_DEP_2) | instskip(SKIP_1) | instid1(VALU_DEP_2)
	v_add_nc_u32_e32 v14, v20, v14
	v_mul_lo_u32 v20, s0, v6
	v_add_nc_u32_e32 v14, v14, v24
	s_delay_alu instid0(VALU_DEP_2) | instskip(NEXT) | instid1(VALU_DEP_2)
	v_mul_hi_u32 v24, v6, v20
	v_mul_lo_u32 v25, v6, v14
	v_mul_hi_u32 v26, v6, v14
	v_mul_hi_u32 v27, v13, v20
	v_mul_lo_u32 v20, v13, v20
	v_mul_hi_u32 v28, v13, v14
	v_mul_lo_u32 v14, v13, v14
	v_add_co_u32 v24, vcc_lo, v24, v25
	v_add_co_ci_u32_e32 v25, vcc_lo, 0, v26, vcc_lo
	s_delay_alu instid0(VALU_DEP_2) | instskip(NEXT) | instid1(VALU_DEP_2)
	v_add_co_u32 v20, vcc_lo, v24, v20
	v_add_co_ci_u32_e32 v20, vcc_lo, v25, v27, vcc_lo
	v_add_co_ci_u32_e32 v24, vcc_lo, 0, v28, vcc_lo
	s_delay_alu instid0(VALU_DEP_2) | instskip(NEXT) | instid1(VALU_DEP_2)
	v_add_co_u32 v14, vcc_lo, v20, v14
	v_add_co_ci_u32_e32 v20, vcc_lo, 0, v24, vcc_lo
	s_delay_alu instid0(VALU_DEP_2) | instskip(NEXT) | instid1(VALU_DEP_2)
	v_add_co_u32 v6, vcc_lo, v6, v14
	v_add_co_ci_u32_e32 v13, vcc_lo, v13, v20, vcc_lo
	s_delay_alu instid0(VALU_DEP_2) | instskip(SKIP_1) | instid1(VALU_DEP_3)
	v_mul_hi_u32 v14, s0, v6
	v_mul_lo_u32 v24, s27, v6
	v_mul_lo_u32 v20, s0, v13
	s_delay_alu instid0(VALU_DEP_1) | instskip(SKIP_1) | instid1(VALU_DEP_2)
	v_add_nc_u32_e32 v14, v14, v20
	v_mul_lo_u32 v20, s0, v6
	v_add_nc_u32_e32 v14, v14, v24
	s_delay_alu instid0(VALU_DEP_2) | instskip(NEXT) | instid1(VALU_DEP_2)
	v_mul_hi_u32 v24, v6, v20
	v_mul_lo_u32 v25, v6, v14
	v_mul_hi_u32 v26, v6, v14
	v_mul_hi_u32 v27, v13, v20
	v_mul_lo_u32 v20, v13, v20
	v_mul_hi_u32 v28, v13, v14
	v_mul_lo_u32 v14, v13, v14
	v_add_co_u32 v24, vcc_lo, v24, v25
	v_add_co_ci_u32_e32 v25, vcc_lo, 0, v26, vcc_lo
	s_delay_alu instid0(VALU_DEP_2) | instskip(NEXT) | instid1(VALU_DEP_2)
	v_add_co_u32 v20, vcc_lo, v24, v20
	v_add_co_ci_u32_e32 v20, vcc_lo, v25, v27, vcc_lo
	v_add_co_ci_u32_e32 v24, vcc_lo, 0, v28, vcc_lo
	s_delay_alu instid0(VALU_DEP_2) | instskip(NEXT) | instid1(VALU_DEP_2)
	v_add_co_u32 v14, vcc_lo, v20, v14
	v_add_co_ci_u32_e32 v20, vcc_lo, 0, v24, vcc_lo
	s_delay_alu instid0(VALU_DEP_2) | instskip(NEXT) | instid1(VALU_DEP_2)
	v_add_co_u32 v6, vcc_lo, v6, v14
	v_add_co_ci_u32_e32 v20, vcc_lo, v13, v20, vcc_lo
	s_delay_alu instid0(VALU_DEP_2) | instskip(SKIP_1) | instid1(VALU_DEP_3)
	v_mul_hi_u32 v28, v11, v6
	v_mad_u64_u32 v[24:25], null, v12, v6, 0
	v_mad_u64_u32 v[13:14], null, v11, v20, 0
	v_mad_u64_u32 v[26:27], null, v12, v20, 0
	s_delay_alu instid0(VALU_DEP_2) | instskip(NEXT) | instid1(VALU_DEP_3)
	v_add_co_u32 v6, vcc_lo, v28, v13
	v_add_co_ci_u32_e32 v13, vcc_lo, 0, v14, vcc_lo
	s_delay_alu instid0(VALU_DEP_2) | instskip(NEXT) | instid1(VALU_DEP_2)
	v_add_co_u32 v6, vcc_lo, v6, v24
	v_add_co_ci_u32_e32 v6, vcc_lo, v13, v25, vcc_lo
	v_add_co_ci_u32_e32 v13, vcc_lo, 0, v27, vcc_lo
	s_delay_alu instid0(VALU_DEP_2) | instskip(NEXT) | instid1(VALU_DEP_2)
	v_add_co_u32 v6, vcc_lo, v6, v26
	v_add_co_ci_u32_e32 v20, vcc_lo, 0, v13, vcc_lo
	s_delay_alu instid0(VALU_DEP_2) | instskip(SKIP_1) | instid1(VALU_DEP_3)
	v_mul_lo_u32 v24, s25, v6
	v_mad_u64_u32 v[13:14], null, s24, v6, 0
	v_mul_lo_u32 v25, s24, v20
	s_delay_alu instid0(VALU_DEP_2) | instskip(NEXT) | instid1(VALU_DEP_2)
	v_sub_co_u32 v13, vcc_lo, v11, v13
	v_add3_u32 v14, v14, v25, v24
	s_delay_alu instid0(VALU_DEP_1) | instskip(NEXT) | instid1(VALU_DEP_1)
	v_sub_nc_u32_e32 v24, v12, v14
	v_subrev_co_ci_u32_e64 v24, s0, s25, v24, vcc_lo
	v_add_co_u32 v25, s0, v6, 2
	s_delay_alu instid0(VALU_DEP_1) | instskip(SKIP_3) | instid1(VALU_DEP_3)
	v_add_co_ci_u32_e64 v26, s0, 0, v20, s0
	v_sub_co_u32 v27, s0, v13, s24
	v_sub_co_ci_u32_e32 v14, vcc_lo, v12, v14, vcc_lo
	v_subrev_co_ci_u32_e64 v24, s0, 0, v24, s0
	v_cmp_le_u32_e32 vcc_lo, s24, v27
	s_delay_alu instid0(VALU_DEP_3) | instskip(SKIP_1) | instid1(VALU_DEP_4)
	v_cmp_eq_u32_e64 s0, s25, v14
	v_cndmask_b32_e64 v27, 0, -1, vcc_lo
	v_cmp_le_u32_e32 vcc_lo, s25, v24
	v_cndmask_b32_e64 v28, 0, -1, vcc_lo
	v_cmp_le_u32_e32 vcc_lo, s24, v13
	;; [unrolled: 2-line block ×3, first 2 shown]
	v_cndmask_b32_e64 v29, 0, -1, vcc_lo
	v_cmp_eq_u32_e32 vcc_lo, s25, v24
	s_delay_alu instid0(VALU_DEP_2) | instskip(SKIP_3) | instid1(VALU_DEP_3)
	v_cndmask_b32_e64 v13, v29, v13, s0
	v_cndmask_b32_e32 v24, v28, v27, vcc_lo
	v_add_co_u32 v27, vcc_lo, v6, 1
	v_add_co_ci_u32_e32 v28, vcc_lo, 0, v20, vcc_lo
	v_cmp_ne_u32_e32 vcc_lo, 0, v24
	s_delay_alu instid0(VALU_DEP_2) | instskip(NEXT) | instid1(VALU_DEP_4)
	v_cndmask_b32_e32 v14, v28, v26, vcc_lo
	v_cndmask_b32_e32 v24, v27, v25, vcc_lo
	v_cmp_ne_u32_e32 vcc_lo, 0, v13
	s_delay_alu instid0(VALU_DEP_2)
	v_dual_cndmask_b32 v13, v6, v24 :: v_dual_cndmask_b32 v14, v20, v14
.LBB41_85:                              ;   in Loop: Header=BB41_83 Depth=2
	s_and_not1_saveexec_b32 s0, s26
	s_cbranch_execz .LBB41_82
; %bb.86:                               ;   in Loop: Header=BB41_83 Depth=2
	v_cvt_f32_u32_e32 v6, s24
	s_sub_i32 s26, 0, s24
	s_delay_alu instid0(VALU_DEP_1) | instskip(SKIP_2) | instid1(VALU_DEP_1)
	v_rcp_iflag_f32_e32 v6, v6
	s_waitcnt_depctr 0xfff
	v_mul_f32_e32 v6, 0x4f7ffffe, v6
	v_cvt_u32_f32_e32 v6, v6
	s_delay_alu instid0(VALU_DEP_1) | instskip(NEXT) | instid1(VALU_DEP_1)
	v_mul_lo_u32 v13, s26, v6
	v_mul_hi_u32 v13, v6, v13
	s_delay_alu instid0(VALU_DEP_1) | instskip(NEXT) | instid1(VALU_DEP_1)
	v_add_nc_u32_e32 v6, v6, v13
	v_mul_hi_u32 v6, v11, v6
	s_delay_alu instid0(VALU_DEP_1) | instskip(SKIP_1) | instid1(VALU_DEP_2)
	v_mul_lo_u32 v13, v6, s24
	v_add_nc_u32_e32 v14, 1, v6
	v_sub_nc_u32_e32 v13, v11, v13
	s_delay_alu instid0(VALU_DEP_1) | instskip(SKIP_1) | instid1(VALU_DEP_2)
	v_subrev_nc_u32_e32 v20, s24, v13
	v_cmp_le_u32_e32 vcc_lo, s24, v13
	v_dual_cndmask_b32 v13, v13, v20 :: v_dual_cndmask_b32 v6, v6, v14
	s_delay_alu instid0(VALU_DEP_1) | instskip(NEXT) | instid1(VALU_DEP_2)
	v_cmp_le_u32_e32 vcc_lo, s24, v13
	v_add_nc_u32_e32 v14, 1, v6
	s_delay_alu instid0(VALU_DEP_1)
	v_dual_cndmask_b32 v13, v6, v14 :: v_dual_mov_b32 v14, v19
	s_branch .LBB41_82
.LBB41_87:
	s_endpgm
.LBB41_88:
                                        ; implicit-def: $sgpr2_sgpr3
	s_branch .LBB41_4
	.section	.rodata,"a",@progbits
	.p2align	6, 0x0
	.amdhsa_kernel _ZN2at6native12_GLOBAL__N_120fused_dropout_kernelIffmLin1ELin1EbEEvNS_4cuda6detail10TensorInfoIKT_T1_EENS5_IS6_S8_EENS5_IT4_S8_EES8_T0_NS_15PhiloxCudaStateE
		.amdhsa_group_segment_fixed_size 0
		.amdhsa_private_segment_fixed_size 0
		.amdhsa_kernarg_size 1552
		.amdhsa_user_sgpr_count 15
		.amdhsa_user_sgpr_dispatch_ptr 0
		.amdhsa_user_sgpr_queue_ptr 0
		.amdhsa_user_sgpr_kernarg_segment_ptr 1
		.amdhsa_user_sgpr_dispatch_id 0
		.amdhsa_user_sgpr_private_segment_size 0
		.amdhsa_wavefront_size32 1
		.amdhsa_uses_dynamic_stack 0
		.amdhsa_enable_private_segment 0
		.amdhsa_system_sgpr_workgroup_id_x 1
		.amdhsa_system_sgpr_workgroup_id_y 0
		.amdhsa_system_sgpr_workgroup_id_z 0
		.amdhsa_system_sgpr_workgroup_info 0
		.amdhsa_system_vgpr_workitem_id 0
		.amdhsa_next_free_vgpr 61
		.amdhsa_next_free_sgpr 42
		.amdhsa_reserve_vcc 1
		.amdhsa_float_round_mode_32 0
		.amdhsa_float_round_mode_16_64 0
		.amdhsa_float_denorm_mode_32 3
		.amdhsa_float_denorm_mode_16_64 3
		.amdhsa_dx10_clamp 1
		.amdhsa_ieee_mode 1
		.amdhsa_fp16_overflow 0
		.amdhsa_workgroup_processor_mode 1
		.amdhsa_memory_ordered 1
		.amdhsa_forward_progress 0
		.amdhsa_shared_vgpr_count 0
		.amdhsa_exception_fp_ieee_invalid_op 0
		.amdhsa_exception_fp_denorm_src 0
		.amdhsa_exception_fp_ieee_div_zero 0
		.amdhsa_exception_fp_ieee_overflow 0
		.amdhsa_exception_fp_ieee_underflow 0
		.amdhsa_exception_fp_ieee_inexact 0
		.amdhsa_exception_int_div_zero 0
	.end_amdhsa_kernel
	.section	.text._ZN2at6native12_GLOBAL__N_120fused_dropout_kernelIffmLin1ELin1EbEEvNS_4cuda6detail10TensorInfoIKT_T1_EENS5_IS6_S8_EENS5_IT4_S8_EES8_T0_NS_15PhiloxCudaStateE,"axG",@progbits,_ZN2at6native12_GLOBAL__N_120fused_dropout_kernelIffmLin1ELin1EbEEvNS_4cuda6detail10TensorInfoIKT_T1_EENS5_IS6_S8_EENS5_IT4_S8_EES8_T0_NS_15PhiloxCudaStateE,comdat
.Lfunc_end41:
	.size	_ZN2at6native12_GLOBAL__N_120fused_dropout_kernelIffmLin1ELin1EbEEvNS_4cuda6detail10TensorInfoIKT_T1_EENS5_IS6_S8_EENS5_IT4_S8_EES8_T0_NS_15PhiloxCudaStateE, .Lfunc_end41-_ZN2at6native12_GLOBAL__N_120fused_dropout_kernelIffmLin1ELin1EbEEvNS_4cuda6detail10TensorInfoIKT_T1_EENS5_IS6_S8_EENS5_IT4_S8_EES8_T0_NS_15PhiloxCudaStateE
                                        ; -- End function
	.section	.AMDGPU.csdata,"",@progbits
; Kernel info:
; codeLenInByte = 12592
; NumSgprs: 44
; NumVgprs: 61
; ScratchSize: 0
; MemoryBound: 0
; FloatMode: 240
; IeeeMode: 1
; LDSByteSize: 0 bytes/workgroup (compile time only)
; SGPRBlocks: 5
; VGPRBlocks: 7
; NumSGPRsForWavesPerEU: 44
; NumVGPRsForWavesPerEU: 61
; Occupancy: 16
; WaveLimiterHint : 1
; COMPUTE_PGM_RSRC2:SCRATCH_EN: 0
; COMPUTE_PGM_RSRC2:USER_SGPR: 15
; COMPUTE_PGM_RSRC2:TRAP_HANDLER: 0
; COMPUTE_PGM_RSRC2:TGID_X_EN: 1
; COMPUTE_PGM_RSRC2:TGID_Y_EN: 0
; COMPUTE_PGM_RSRC2:TGID_Z_EN: 0
; COMPUTE_PGM_RSRC2:TIDIG_COMP_CNT: 0
	.section	.text._ZN2at6native12_GLOBAL__N_124fused_dropout_kernel_vecIN3c104HalfEfmLi1ELi16EbEEvNS_4cuda6detail10TensorInfoIKT_T1_EENS7_IS8_SA_EENS7_IT4_SA_EESA_T0_NS_15PhiloxCudaStateE,"axG",@progbits,_ZN2at6native12_GLOBAL__N_124fused_dropout_kernel_vecIN3c104HalfEfmLi1ELi16EbEEvNS_4cuda6detail10TensorInfoIKT_T1_EENS7_IS8_SA_EENS7_IT4_SA_EESA_T0_NS_15PhiloxCudaStateE,comdat
	.globl	_ZN2at6native12_GLOBAL__N_124fused_dropout_kernel_vecIN3c104HalfEfmLi1ELi16EbEEvNS_4cuda6detail10TensorInfoIKT_T1_EENS7_IS8_SA_EENS7_IT4_SA_EESA_T0_NS_15PhiloxCudaStateE ; -- Begin function _ZN2at6native12_GLOBAL__N_124fused_dropout_kernel_vecIN3c104HalfEfmLi1ELi16EbEEvNS_4cuda6detail10TensorInfoIKT_T1_EENS7_IS8_SA_EENS7_IT4_SA_EESA_T0_NS_15PhiloxCudaStateE
	.p2align	8
	.type	_ZN2at6native12_GLOBAL__N_124fused_dropout_kernel_vecIN3c104HalfEfmLi1ELi16EbEEvNS_4cuda6detail10TensorInfoIKT_T1_EENS7_IS8_SA_EENS7_IT4_SA_EESA_T0_NS_15PhiloxCudaStateE,@function
_ZN2at6native12_GLOBAL__N_124fused_dropout_kernel_vecIN3c104HalfEfmLi1ELi16EbEEvNS_4cuda6detail10TensorInfoIKT_T1_EENS7_IS8_SA_EENS7_IT4_SA_EESA_T0_NS_15PhiloxCudaStateE: ; @_ZN2at6native12_GLOBAL__N_124fused_dropout_kernel_vecIN3c104HalfEfmLi1ELi16EbEEvNS_4cuda6detail10TensorInfoIKT_T1_EENS7_IS8_SA_EENS7_IT4_SA_EESA_T0_NS_15PhiloxCudaStateE
; %bb.0:
	s_clause 0x1
	s_load_b128 s[4:7], s[0:1], 0x4f0
	s_load_b32 s2, s[0:1], 0x508
	s_waitcnt lgkmcnt(0)
	v_dual_mov_b32 v1, s6 :: v_dual_mov_b32 v2, s7
	v_dual_mov_b32 v11, s5 :: v_dual_mov_b32 v10, s4
	s_bitcmp0_b32 s2, 0
	s_cbranch_scc1 .LBB42_2
; %bb.1:
	v_dual_mov_b32 v1, s6 :: v_dual_mov_b32 v2, s7
	v_dual_mov_b32 v3, s4 :: v_dual_mov_b32 v4, s5
	s_load_b64 s[2:3], s[0:1], 0x500
	flat_load_b64 v[1:2], v[1:2]
	flat_load_b64 v[10:11], v[3:4]
	s_waitcnt vmcnt(1) lgkmcnt(0)
	v_add_co_u32 v1, vcc_lo, v1, s2
	v_add_co_ci_u32_e32 v2, vcc_lo, s3, v2, vcc_lo
.LBB42_2:
	s_clause 0x1
	s_load_b32 s4, s[0:1], 0x51c
	s_load_b64 s[16:17], s[0:1], 0x4e0
	s_add_u32 s2, s0, 0x510
	s_addc_u32 s3, s1, 0
	s_mov_b32 s5, exec_lo
	s_waitcnt lgkmcnt(0)
	s_and_b32 s4, s4, 0xffff
	s_delay_alu instid0(SALU_CYCLE_1) | instskip(SKIP_1) | instid1(VALU_DEP_1)
	v_mad_u64_u32 v[8:9], null, s15, s4, v[0:1]
	v_mov_b32_e32 v9, 0
	v_lshlrev_b64 v[12:13], 4, v[8:9]
	s_delay_alu instid0(VALU_DEP_1)
	v_cmpx_gt_u64_e64 s[16:17], v[12:13]
	s_cbranch_execz .LBB42_45
; %bb.3:
	v_alignbit_b32 v21, v2, v1, 2
	v_mad_u64_u32 v[3:4], null, 0xcd9e8d57, v8, 0
	v_lshrrev_b32_e32 v42, 2, v2
	s_waitcnt vmcnt(0)
	v_mov_b32_e32 v18, v11
	v_mad_u64_u32 v[5:6], null, 0xd2511f53, v21, 0
	v_add_co_u32 v23, null, 0x9e3779b9, v10
	v_xor3_b32 v0, v10, v4, v42
	s_delay_alu instid0(VALU_DEP_4) | instskip(SKIP_2) | instid1(VALU_DEP_4)
	v_add_co_u32 v22, null, 0xbb67ae85, v18
	v_add_co_u32 v24, null, 0x3c6ef372, v10
	v_xor_b32_e32 v2, v6, v11
	v_mad_u64_u32 v[6:7], null, 0xd2511f53, v0, 0
	v_add_co_u32 v25, null, 0x76cf5d0a, v18
	s_delay_alu instid0(VALU_DEP_3) | instskip(SKIP_1) | instid1(VALU_DEP_4)
	v_mad_u64_u32 v[14:15], null, 0xcd9e8d57, v2, 0
	v_add_co_u32 v26, null, 0x32370b8f, v18
	v_xor3_b32 v0, v22, v7, v5
	v_add_co_u32 v27, null, 0xdaa66d2b, v10
	s_load_b32 s28, s[0:1], 0x4e8
	s_delay_alu instid0(VALU_DEP_4) | instskip(NEXT) | instid1(VALU_DEP_3)
	v_xor3_b32 v7, v15, v23, v3
	v_mad_u64_u32 v[2:3], null, 0xcd9e8d57, v0, 0
	v_add_co_u32 v28, null, 0x78dde6e4, v10
	s_delay_alu instid0(VALU_DEP_3) | instskip(SKIP_1) | instid1(VALU_DEP_4)
	v_mad_u64_u32 v[4:5], null, 0xd2511f53, v7, 0
	v_add_co_u32 v29, null, 0xed9eba14, v18
	v_xor3_b32 v0, v24, v3, v14
	v_add_co_u32 v30, null, 0xa9066899, v18
	v_add_co_u32 v31, null, 0x1715609d, v10
	v_xor3_b32 v3, v5, v25, v6
	s_delay_alu instid0(VALU_DEP_4) | instskip(SKIP_1) | instid1(VALU_DEP_3)
	v_mad_u64_u32 v[5:6], null, 0xd2511f53, v0, 0
	v_add_co_u32 v32, null, 0xb54cda56, v10
	v_mad_u64_u32 v[14:15], null, 0xcd9e8d57, v3, 0
	v_add_co_u32 v33, null, 0x5384540f, v10
	s_delay_alu instid0(VALU_DEP_4)
	v_xor3_b32 v0, v26, v6, v4
	s_waitcnt lgkmcnt(0)
	v_div_scale_f32 v20, vcc_lo, 1.0, s28, 1.0
	s_clause 0x2
	s_load_b64 s[18:19], s[0:1], 0x0
	s_load_b64 s[20:21], s[0:1], 0x1a0
	;; [unrolled: 1-line block ×3, first 2 shown]
	v_xor3_b32 v4, v15, v27, v2
	v_mad_u64_u32 v[2:3], null, 0xcd9e8d57, v0, 0
	s_load_b32 s0, s[2:3], 0x0
	v_add_co_u32 v36, null, 0xf1bbcdc8, v10
	s_delay_alu instid0(VALU_DEP_3) | instskip(SKIP_1) | instid1(VALU_DEP_4)
	v_mad_u64_u32 v[6:7], null, 0xd2511f53, v4, 0
	v_add_nc_u32_e32 v39, 0x8ff34781, v10
	v_xor3_b32 v0, v28, v3, v14
	s_mov_b32 s25, 0
	v_and_b32_e32 v38, 3, v1
	s_delay_alu instid0(VALU_DEP_4) | instskip(NEXT) | instid1(VALU_DEP_3)
	v_xor3_b32 v5, v7, v29, v5
	v_mad_u64_u32 v[3:4], null, 0xd2511f53, v0, 0
	v_div_scale_f32 v0, null, s28, s28, 1.0
	s_delay_alu instid0(VALU_DEP_3) | instskip(NEXT) | instid1(VALU_DEP_2)
	v_mad_u64_u32 v[14:15], null, 0xcd9e8d57, v5, 0
	v_rcp_f32_e32 v19, v0
	s_delay_alu instid0(VALU_DEP_3) | instskip(SKIP_2) | instid1(SALU_CYCLE_1)
	v_xor3_b32 v6, v30, v4, v6
	s_waitcnt lgkmcnt(0)
	s_mul_i32 s0, s0, s4
	s_lshl_b32 s24, s0, 4
	s_delay_alu instid0(VALU_DEP_2) | instskip(SKIP_2) | instid1(VALU_DEP_2)
	v_xor3_b32 v2, v15, v31, v2
	v_mad_u64_u32 v[4:5], null, 0xcd9e8d57, v6, 0
	s_lshl_b64 s[26:27], s[24:25], 1
	v_mad_u64_u32 v[6:7], null, 0xd2511f53, v2, 0
	s_waitcnt_depctr 0xfff
	v_fma_f32 v2, -v0, v19, 1.0
	v_xor3_b32 v5, v32, v5, v14
	s_delay_alu instid0(VALU_DEP_2) | instskip(SKIP_3) | instid1(VALU_DEP_3)
	v_fmac_f32_e32 v19, v2, v19
	v_add_co_u32 v34, null, 0x646e171e, v18
	v_add_co_u32 v35, null, 0x1fd5c5a3, v18
	;; [unrolled: 1-line block ×3, first 2 shown]
	v_xor3_b32 v7, v7, v34, v3
	v_mad_u64_u32 v[2:3], null, 0xd2511f53, v5, 0
	s_delay_alu instid0(VALU_DEP_2) | instskip(SKIP_1) | instid1(VALU_DEP_3)
	v_mad_u64_u32 v[14:15], null, 0xcd9e8d57, v7, 0
	v_mul_f32_e32 v7, v20, v19
	v_xor3_b32 v5, v35, v3, v6
	s_delay_alu instid0(VALU_DEP_3) | instskip(NEXT) | instid1(VALU_DEP_2)
	v_xor3_b32 v6, v15, v33, v4
	v_mad_u64_u32 v[3:4], null, 0xcd9e8d57, v5, 0
	s_delay_alu instid0(VALU_DEP_4) | instskip(NEXT) | instid1(VALU_DEP_3)
	v_fma_f32 v15, -v0, v7, v20
	v_mad_u64_u32 v[16:17], null, 0xd2511f53, v6, 0
	s_delay_alu instid0(VALU_DEP_2) | instskip(NEXT) | instid1(VALU_DEP_4)
	v_fmac_f32_e32 v7, v15, v19
	v_xor3_b32 v4, v36, v4, v14
	s_delay_alu instid0(VALU_DEP_3) | instskip(NEXT) | instid1(VALU_DEP_3)
	v_xor3_b32 v2, v17, v37, v2
	v_fma_f32 v14, -v0, v7, v20
	s_delay_alu instid0(VALU_DEP_3) | instskip(SKIP_1) | instid1(VALU_DEP_4)
	v_mad_u64_u32 v[0:1], null, 0xd2511f53, v4, 0
	v_add_nc_u32_e32 v40, 0x96a522ad, v11
	v_mad_u64_u32 v[5:6], null, 0xcd9e8d57, v2, 0
	s_delay_alu instid0(VALU_DEP_4) | instskip(SKIP_2) | instid1(VALU_DEP_3)
	v_div_fmas_f32 v2, v14, v19, v7
	v_lshlrev_b64 v[14:15], 5, v[8:9]
	v_mov_b32_e32 v7, v0
	v_div_fixup_f32 v41, v2, s28, 1.0
	v_xor3_b32 v4, v3, v6, v39
	v_xor3_b32 v6, v1, v16, v40
	s_branch .LBB42_6
.LBB42_4:                               ;   in Loop: Header=BB42_6 Depth=1
	s_or_b32 exec_lo, exec_lo, s1
	s_delay_alu instid0(VALU_DEP_1)
	v_mov_b32_e32 v18, v50
.LBB42_5:                               ;   in Loop: Header=BB42_6 Depth=1
	s_or_b32 exec_lo, exec_lo, s0
	v_add_co_u32 v49, vcc_lo, s18, v14
	v_add_co_ci_u32_e32 v50, vcc_lo, s19, v15, vcc_lo
	v_cvt_f32_u32_e32 v61, v48
	v_mov_b32_e32 v7, v19
	v_cvt_f32_u32_e32 v19, v45
	s_clause 0x1
	global_load_b128 v[53:56], v[49:50], off
	global_load_b128 v[57:60], v[49:50], off offset:16
	v_cvt_f32_u32_e32 v43, v43
	v_cvt_f32_u32_e32 v17, v17
	;; [unrolled: 1-line block ×8, first 2 shown]
	v_fmaak_f32 v19, 0x2f800000, v19, 0x2f800000
	v_fmaak_f32 v43, 0x2f800000, v43, 0x2f800000
	v_cvt_f32_u32_e32 v2, v2
	v_fmaak_f32 v0, 0x2f800000, v0, 0x2f800000
	v_cvt_f32_u32_e32 v3, v3
	v_cvt_f32_u32_e32 v45, v52
	;; [unrolled: 1-line block ×3, first 2 shown]
	v_dual_fmaak_f32 v17, 0x2f800000, v17, 0x2f800000 :: v_dual_fmaak_f32 v46, 0x2f800000, v46, 0x2f800000
	v_dual_fmaak_f32 v52, 0x2f800000, v61, 0x2f800000 :: v_dual_fmaak_f32 v61, 0x2f800000, v62, 0x2f800000
	v_fmaak_f32 v16, 0x2f800000, v16, 0x2f800000
	v_dual_fmaak_f32 v44, 0x2f800000, v44, 0x2f800000 :: v_dual_fmaak_f32 v1, 0x2f800000, v1, 0x2f800000
	v_fmaak_f32 v2, 0x2f800000, v2, 0x2f800000
	v_cmp_gt_f32_e64 s5, s28, v19
	v_cmp_gt_f32_e64 s7, s28, v43
	v_cvt_f32_u32_e32 v18, v18
	v_cvt_f32_u32_e32 v51, v51
	v_fmaak_f32 v3, 0x2f800000, v3, 0x2f800000
	v_dual_fmaak_f32 v45, 0x2f800000, v45, 0x2f800000 :: v_dual_fmaak_f32 v20, 0x2f800000, v20, 0x2f800000
	v_cmp_gt_f32_e64 s0, s28, v0
	v_cmp_gt_f32_e64 s1, s28, v1
	;; [unrolled: 1-line block ×6, first 2 shown]
	v_cndmask_b32_e64 v67, 0, 1, s5
	v_cndmask_b32_e64 v69, 0, 1, s7
	v_fmaak_f32 v18, 0x2f800000, v18, 0x2f800000
	v_cndmask_b32_e64 v0, 0, 1.0, s0
	v_fmaak_f32 v51, 0x2f800000, v51, 0x2f800000
	v_cmp_gt_f32_e64 s2, s28, v2
	v_cmp_gt_f32_e64 s3, s28, v3
	;; [unrolled: 1-line block ×6, first 2 shown]
	v_cndmask_b32_e64 v2, 0, 1, s1
	v_cndmask_b32_e64 v66, 0, 1, s4
	;; [unrolled: 1-line block ×5, first 2 shown]
	v_lshlrev_b16 v67, 8, v67
	v_lshlrev_b16 v69, 8, v69
	v_cmp_gt_f32_e64 s12, s28, v18
	v_cmp_gt_f32_e64 s14, s28, v51
	v_cndmask_b32_e64 v1, 0, 1, s0
	v_cndmask_b32_e64 v51, 0, 1, s3
	;; [unrolled: 1-line block ×6, first 2 shown]
	v_lshlrev_b16 v71, 8, v71
	v_lshlrev_b16 v75, 8, v75
	;; [unrolled: 1-line block ×3, first 2 shown]
	v_or_b32_e32 v66, v66, v67
	v_or_b32_e32 v67, v68, v69
	v_cndmask_b32_e64 v43, 0, 1.0, s7
	v_cndmask_b32_e64 v17, 0, 1.0, s8
	v_cndmask_b32_e64 v3, 0, 1, s2
	v_cndmask_b32_e64 v76, 0, 1, s12
	;; [unrolled: 1-line block ×3, first 2 shown]
	v_lshlrev_b16 v73, 8, v73
	v_lshlrev_b16 v74, 8, v74
	;; [unrolled: 1-line block ×3, first 2 shown]
	v_or_b32_e32 v70, v70, v71
	v_or_b32_e32 v71, v72, v75
	;; [unrolled: 1-line block ×3, first 2 shown]
	v_and_b32_e32 v66, 0xffff, v66
	v_lshlrev_b32_e32 v67, 16, v67
	v_cndmask_b32_e64 v63, 0, 1.0, s2
	v_cndmask_b32_e64 v16, 0, 1.0, s4
	v_cndmask_b32_e64 v61, 0, 1.0, s10
	v_or_b32_e32 v73, v76, v73
	v_or_b32_e32 v74, v77, v74
	;; [unrolled: 1-line block ×3, first 2 shown]
	v_and_b32_e32 v68, 0xffff, v70
	v_and_b32_e32 v70, 0xffff, v1
	v_or_b32_e32 v1, v66, v67
	v_cndmask_b32_e64 v62, 0, 1.0, s1
	v_cndmask_b32_e64 v44, 0, 1.0, s6
	;; [unrolled: 1-line block ×3, first 2 shown]
	v_lshlrev_b32_e32 v51, 16, v74
	v_add_co_u32 v47, vcc_lo, s20, v14
	v_add_co_ci_u32_e32 v48, vcc_lo, s21, v15, vcc_lo
	v_cndmask_b32_e64 v18, 0, 1.0, s12
	v_add_co_u32 v49, vcc_lo, s22, v12
	v_add_co_ci_u32_e32 v50, vcc_lo, s23, v13, vcc_lo
	v_add_co_u32 v12, vcc_lo, v12, s24
	v_cndmask_b32_e64 v64, 0, 1.0, s3
	v_cndmask_b32_e64 v19, 0, 1.0, s5
	;; [unrolled: 1-line block ×6, first 2 shown]
	v_add_co_ci_u32_e32 v13, vcc_lo, 0, v13, vcc_lo
	s_add_u32 s18, s18, s26
	s_addc_u32 s19, s19, s27
	s_add_u32 s20, s20, s26
	s_delay_alu instid0(VALU_DEP_1)
	v_cmp_le_u64_e32 vcc_lo, s[16:17], v[12:13]
	s_addc_u32 s21, s21, s27
	s_or_b32 s25, vcc_lo, s25
	s_waitcnt vmcnt(1)
	v_lshrrev_b32_e32 v67, 16, v55
	s_waitcnt vmcnt(0)
	v_lshrrev_b32_e32 v72, 16, v58
	v_cvt_f32_f16_e32 v55, v55
	v_cvt_f32_f16_e32 v58, v58
	v_lshlrev_b32_e32 v69, 16, v71
	v_lshlrev_b32_e32 v71, 16, v2
	v_lshrrev_b32_e32 v74, 16, v60
	v_cvt_f32_f16_e32 v60, v60
	v_dual_mul_f32 v55, v16, v55 :: v_dual_mul_f32 v58, v61, v58
	v_or_b32_e32 v2, v68, v69
	v_lshrrev_b32_e32 v68, 16, v56
	v_cvt_f32_f16_e32 v56, v56
	v_and_b32_e32 v3, 0xffff, v73
	v_lshrrev_b32_e32 v66, 16, v54
	v_cvt_f32_f16_e32 v54, v54
	v_mul_f32_e32 v60, v45, v60
	v_mul_f32_e32 v44, v44, v56
	v_or_b32_e32 v3, v3, v51
	v_lshrrev_b32_e32 v51, 16, v53
	v_cvt_f32_f16_e32 v53, v53
	v_lshrrev_b32_e32 v69, 16, v57
	v_lshrrev_b32_e32 v73, 16, v59
	v_cvt_f32_f16_e32 v57, v57
	v_cvt_f32_f16_e32 v59, v59
	v_mul_f32_e32 v0, v0, v53
	v_cvt_f32_f16_e32 v51, v51
	v_mul_f32_e32 v53, v63, v54
	v_cvt_f32_f16_e32 v54, v66
	v_cvt_f32_f16_e32 v63, v67
	;; [unrolled: 1-line block ×3, first 2 shown]
	v_mul_f32_e32 v57, v17, v57
	v_cvt_f32_f16_e32 v66, v69
	v_cvt_f32_f16_e32 v61, v72
	v_mul_f32_e32 v59, v18, v59
	v_cvt_f32_f16_e32 v67, v73
	v_cvt_f32_f16_e32 v68, v74
	v_mul_f32_e32 v52, v52, v66
	v_fma_mixlo_f16 v16, v41, v0, 0
	v_mul_f32_e32 v0, v62, v51
	v_fma_mixlo_f16 v17, v41, v53, 0
	v_mul_f32_e32 v51, v64, v54
	v_fma_mixlo_f16 v18, v41, v55, 0
	v_dual_mul_f32 v53, v19, v63 :: v_dual_mul_f32 v20, v20, v68
	v_fma_mixlo_f16 v19, v41, v44, 0
	v_mul_f32_e32 v54, v43, v56
	v_fma_mixlo_f16 v43, v41, v57, 0
	v_fma_mixlo_f16 v44, v41, v58, 0
	v_mul_f32_e32 v55, v46, v61
	v_fma_mixlo_f16 v45, v41, v59, 0
	v_mul_f32_e32 v56, v65, v67
	v_fma_mixlo_f16 v46, v41, v60, 0
	v_fma_mixhi_f16 v19, v41, v54, 0
	v_fma_mixhi_f16 v18, v41, v53, 0
	;; [unrolled: 1-line block ×8, first 2 shown]
	v_or_b32_e32 v0, v70, v71
	s_clause 0x1
	global_store_b128 v[47:48], v[16:19], off
	global_store_b128 v[47:48], v[43:46], off offset:16
	global_store_b128 v[49:50], v[0:3], off
	s_waitcnt_vscnt null, 0x0
	s_barrier
	buffer_gl0_inv
	s_and_not1_b32 exec_lo, exec_lo, s25
	s_cbranch_execz .LBB42_45
.LBB42_6:                               ; =>This Inner Loop Header: Depth=1
	v_add_co_u32 v2, vcc_lo, v21, 1
	s_delay_alu instid0(VALU_DEP_1) | instskip(SKIP_2) | instid1(VALU_DEP_1)
	v_cndmask_b32_e64 v0, 0, 1, vcc_lo
	v_add_co_ci_u32_e32 v18, vcc_lo, 0, v42, vcc_lo
	s_mov_b32 s0, exec_lo
	v_cmp_eq_u32_e32 vcc_lo, 0, v18
	s_delay_alu instid0(VALU_DEP_3) | instskip(SKIP_1) | instid1(VALU_DEP_2)
	v_cndmask_b32_e32 v3, 0, v0, vcc_lo
	v_mad_u64_u32 v[0:1], null, 0xd2511f53, v2, 0
	v_add_nc_u32_e32 v20, v3, v8
	s_delay_alu instid0(VALU_DEP_2) | instskip(NEXT) | instid1(VALU_DEP_2)
	v_xor_b32_e32 v8, v1, v11
	v_cmp_eq_u32_e32 vcc_lo, 0, v20
	v_cndmask_b32_e32 v3, 0, v3, vcc_lo
	v_mad_u64_u32 v[1:2], null, 0xcd9e8d57, v20, 0
	s_delay_alu instid0(VALU_DEP_2) | instskip(NEXT) | instid1(VALU_DEP_2)
	v_add_nc_u32_e32 v42, v3, v9
	v_xor3_b32 v16, v2, v10, v18
	s_delay_alu instid0(VALU_DEP_2) | instskip(NEXT) | instid1(VALU_DEP_1)
	v_xor_b32_e32 v8, v42, v8
	v_mad_u64_u32 v[2:3], null, 0xcd9e8d57, v8, 0
	s_delay_alu instid0(VALU_DEP_3) | instskip(NEXT) | instid1(VALU_DEP_2)
	v_mad_u64_u32 v[8:9], null, 0xd2511f53, v16, 0
	v_xor3_b32 v3, v23, v3, v1
	s_delay_alu instid0(VALU_DEP_2) | instskip(NEXT) | instid1(VALU_DEP_2)
	v_xor3_b32 v9, v22, v9, v0
	v_mad_u64_u32 v[0:1], null, 0xd2511f53, v3, 0
	s_delay_alu instid0(VALU_DEP_2) | instskip(NEXT) | instid1(VALU_DEP_2)
	v_mad_u64_u32 v[16:17], null, 0xcd9e8d57, v9, 0
	v_xor3_b32 v3, v25, v1, v8
	s_delay_alu instid0(VALU_DEP_2) | instskip(NEXT) | instid1(VALU_DEP_2)
	v_xor3_b32 v17, v24, v17, v2
	v_mad_u64_u32 v[1:2], null, 0xcd9e8d57, v3, 0
	s_delay_alu instid0(VALU_DEP_2) | instskip(NEXT) | instid1(VALU_DEP_2)
	v_mad_u64_u32 v[8:9], null, 0xd2511f53, v17, 0
	v_xor3_b32 v16, v27, v2, v16
	s_delay_alu instid0(VALU_DEP_2) | instskip(NEXT) | instid1(VALU_DEP_2)
	v_xor3_b32 v0, v26, v9, v0
	v_mad_u64_u32 v[2:3], null, 0xd2511f53, v16, 0
	s_delay_alu instid0(VALU_DEP_2) | instskip(NEXT) | instid1(VALU_DEP_2)
	v_mad_u64_u32 v[16:17], null, 0xcd9e8d57, v0, 0
	v_xor3_b32 v3, v29, v3, v8
	s_delay_alu instid0(VALU_DEP_2) | instskip(NEXT) | instid1(VALU_DEP_2)
	v_xor3_b32 v17, v28, v17, v1
	v_mad_u64_u32 v[0:1], null, 0xcd9e8d57, v3, 0
	s_delay_alu instid0(VALU_DEP_2) | instskip(NEXT) | instid1(VALU_DEP_2)
	v_mad_u64_u32 v[8:9], null, 0xd2511f53, v17, 0
	v_xor3_b32 v3, v31, v1, v16
	s_delay_alu instid0(VALU_DEP_2) | instskip(NEXT) | instid1(VALU_DEP_2)
	v_xor3_b32 v9, v30, v9, v2
	v_mad_u64_u32 v[1:2], null, 0xd2511f53, v3, 0
	s_delay_alu instid0(VALU_DEP_2) | instskip(NEXT) | instid1(VALU_DEP_2)
	v_mad_u64_u32 v[16:17], null, 0xcd9e8d57, v9, 0
	v_xor3_b32 v8, v34, v2, v8
	s_delay_alu instid0(VALU_DEP_2) | instskip(NEXT) | instid1(VALU_DEP_2)
	v_xor3_b32 v0, v32, v17, v0
	v_mad_u64_u32 v[2:3], null, 0xcd9e8d57, v8, 0
	s_delay_alu instid0(VALU_DEP_2) | instskip(NEXT) | instid1(VALU_DEP_2)
	v_mad_u64_u32 v[8:9], null, 0xd2511f53, v0, 0
	v_xor3_b32 v3, v33, v3, v16
	s_delay_alu instid0(VALU_DEP_2) | instskip(NEXT) | instid1(VALU_DEP_2)
	v_xor3_b32 v9, v35, v9, v1
	v_mad_u64_u32 v[0:1], null, 0xd2511f53, v3, 0
	s_delay_alu instid0(VALU_DEP_2) | instskip(NEXT) | instid1(VALU_DEP_2)
	v_mad_u64_u32 v[43:44], null, 0xcd9e8d57, v9, 0
	v_xor3_b32 v1, v37, v1, v8
	s_delay_alu instid0(VALU_DEP_2) | instskip(NEXT) | instid1(VALU_DEP_2)
	v_xor3_b32 v2, v36, v44, v2
	v_mad_u64_u32 v[8:9], null, 0xcd9e8d57, v1, 0
	s_delay_alu instid0(VALU_DEP_2) | instskip(NEXT) | instid1(VALU_DEP_2)
	v_mad_u64_u32 v[16:17], null, 0xd2511f53, v2, 0
	v_xor3_b32 v19, v9, v43, v39
	s_delay_alu instid0(VALU_DEP_2)
	v_xor3_b32 v9, v17, v0, v40
                                        ; implicit-def: $vgpr0_vgpr1_vgpr2_vgpr3
	v_cmpx_lt_i32_e32 1, v38
	s_xor_b32 s0, exec_lo, s0
	s_cbranch_execz .LBB42_12
; %bb.7:                                ;   in Loop: Header=BB42_6 Depth=1
	s_mov_b32 s1, exec_lo
                                        ; implicit-def: $vgpr0_vgpr1_vgpr2_vgpr3
	v_cmpx_lt_i32_e32 2, v38
	s_xor_b32 s1, exec_lo, s1
; %bb.8:                                ;   in Loop: Header=BB42_6 Depth=1
	v_mov_b32_e32 v6, v7
	v_mov_b32_e32 v7, v19
	s_delay_alu instid0(VALU_DEP_1)
	v_dual_mov_b32 v0, v6 :: v_dual_mov_b32 v1, v7
	v_dual_mov_b32 v2, v8 :: v_dual_mov_b32 v3, v9
                                        ; implicit-def: $vgpr4_vgpr5_vgpr6_vgpr7
; %bb.9:                                ;   in Loop: Header=BB42_6 Depth=1
	s_and_not1_saveexec_b32 s1, s1
; %bb.10:                               ;   in Loop: Header=BB42_6 Depth=1
	v_dual_mov_b32 v0, v6 :: v_dual_mov_b32 v1, v7
	v_dual_mov_b32 v2, v19 :: v_dual_mov_b32 v3, v8
; %bb.11:                               ;   in Loop: Header=BB42_6 Depth=1
	s_or_b32 exec_lo, exec_lo, s1
                                        ; implicit-def: $vgpr4_vgpr5_vgpr6_vgpr7
.LBB42_12:                              ;   in Loop: Header=BB42_6 Depth=1
	s_and_not1_saveexec_b32 s0, s0
	s_cbranch_execz .LBB42_16
; %bb.13:                               ;   in Loop: Header=BB42_6 Depth=1
	s_mov_b32 s1, exec_lo
	v_cmpx_eq_u32_e32 1, v38
; %bb.14:                               ;   in Loop: Header=BB42_6 Depth=1
	v_dual_mov_b32 v4, v5 :: v_dual_mov_b32 v5, v6
	v_mov_b32_e32 v6, v7
	v_mov_b32_e32 v7, v19
; %bb.15:                               ;   in Loop: Header=BB42_6 Depth=1
	s_or_b32 exec_lo, exec_lo, s1
	s_delay_alu instid0(VALU_DEP_3) | instskip(NEXT) | instid1(VALU_DEP_2)
	v_dual_mov_b32 v0, v4 :: v_dual_mov_b32 v1, v5
	v_dual_mov_b32 v2, v6 :: v_dual_mov_b32 v3, v7
.LBB42_16:                              ;   in Loop: Header=BB42_6 Depth=1
	s_or_b32 exec_lo, exec_lo, s0
	v_add_nc_u32_e32 v6, 2, v21
	s_mov_b32 s0, exec_lo
	s_delay_alu instid0(VALU_DEP_1) | instskip(SKIP_2) | instid1(VALU_DEP_1)
	v_cmp_eq_u32_e32 vcc_lo, 0, v6
	v_cndmask_b32_e64 v4, 0, 1, vcc_lo
	v_add_co_ci_u32_e32 v7, vcc_lo, 0, v18, vcc_lo
	v_cmp_eq_u32_e32 vcc_lo, 0, v7
	s_delay_alu instid0(VALU_DEP_3) | instskip(SKIP_1) | instid1(VALU_DEP_2)
	v_cndmask_b32_e32 v17, 0, v4, vcc_lo
	v_mad_u64_u32 v[4:5], null, 0xd2511f53, v6, 0
	v_add_nc_u32_e32 v20, v17, v20
	s_delay_alu instid0(VALU_DEP_2) | instskip(NEXT) | instid1(VALU_DEP_2)
	v_xor_b32_e32 v5, v5, v11
	v_cmp_eq_u32_e32 vcc_lo, 0, v20
	v_cndmask_b32_e32 v6, 0, v17, vcc_lo
	v_mad_u64_u32 v[17:18], null, 0xcd9e8d57, v20, 0
	s_delay_alu instid0(VALU_DEP_2) | instskip(NEXT) | instid1(VALU_DEP_2)
	v_add_nc_u32_e32 v42, v6, v42
	v_xor3_b32 v18, v18, v10, v7
	s_delay_alu instid0(VALU_DEP_2) | instskip(NEXT) | instid1(VALU_DEP_2)
	v_xor_b32_e32 v45, v42, v5
	v_mad_u64_u32 v[5:6], null, 0xd2511f53, v18, 0
	s_delay_alu instid0(VALU_DEP_2) | instskip(NEXT) | instid1(VALU_DEP_2)
	v_mad_u64_u32 v[43:44], null, 0xcd9e8d57, v45, 0
	v_xor3_b32 v4, v22, v6, v4
	s_delay_alu instid0(VALU_DEP_2) | instskip(NEXT) | instid1(VALU_DEP_2)
	v_xor3_b32 v6, v23, v44, v17
	v_mad_u64_u32 v[17:18], null, 0xcd9e8d57, v4, 0
	s_delay_alu instid0(VALU_DEP_2) | instskip(NEXT) | instid1(VALU_DEP_2)
	v_mad_u64_u32 v[44:45], null, 0xd2511f53, v6, 0
	v_xor3_b32 v6, v24, v18, v43
	s_delay_alu instid0(VALU_DEP_2) | instskip(NEXT) | instid1(VALU_DEP_2)
	v_xor3_b32 v18, v25, v45, v5
	;; [unrolled: 6-line block ×7, first 2 shown]
	v_mad_u64_u32 v[44:45], null, 0xcd9e8d57, v6, 0
	s_delay_alu instid0(VALU_DEP_2) | instskip(NEXT) | instid1(VALU_DEP_2)
	v_mad_u64_u32 v[46:47], null, 0xd2511f53, v4, 0
	v_xor3_b32 v4, v36, v45, v43
                                        ; implicit-def: $vgpr43
                                        ; implicit-def: $vgpr45
	s_delay_alu instid0(VALU_DEP_2) | instskip(NEXT) | instid1(VALU_DEP_2)
	v_xor3_b32 v6, v37, v47, v5
	v_mad_u64_u32 v[17:18], null, 0xd2511f53, v4, 0
	s_delay_alu instid0(VALU_DEP_2) | instskip(NEXT) | instid1(VALU_DEP_2)
	v_mad_u64_u32 v[4:5], null, 0xcd9e8d57, v6, 0
	v_xor3_b32 v6, v18, v46, v40
	s_delay_alu instid0(VALU_DEP_2)
	v_xor3_b32 v5, v5, v44, v39
                                        ; implicit-def: $vgpr44
	v_cmpx_lt_i32_e32 1, v38
	s_xor_b32 s0, exec_lo, s0
	s_cbranch_execz .LBB42_22
; %bb.17:                               ;   in Loop: Header=BB42_6 Depth=1
	s_mov_b32 s1, exec_lo
	v_cmpx_lt_i32_e32 2, v38
	s_xor_b32 s1, exec_lo, s1
; %bb.18:                               ;   in Loop: Header=BB42_6 Depth=1
                                        ; implicit-def: $vgpr9
; %bb.19:                               ;   in Loop: Header=BB42_6 Depth=1
	s_delay_alu instid0(SALU_CYCLE_1)
	s_or_saveexec_b32 s1, s1
	v_dual_mov_b32 v43, v6 :: v_dual_mov_b32 v44, v4
	v_mov_b32_e32 v45, v5
	s_xor_b32 exec_lo, exec_lo, s1
; %bb.20:                               ;   in Loop: Header=BB42_6 Depth=1
	v_dual_mov_b32 v43, v4 :: v_dual_mov_b32 v44, v5
	v_dual_mov_b32 v45, v16 :: v_dual_mov_b32 v16, v9
; %bb.21:                               ;   in Loop: Header=BB42_6 Depth=1
	s_or_b32 exec_lo, exec_lo, s1
                                        ; implicit-def: $vgpr9
                                        ; implicit-def: $vgpr19
.LBB42_22:                              ;   in Loop: Header=BB42_6 Depth=1
	s_and_not1_saveexec_b32 s0, s0
	s_cbranch_execz .LBB42_26
; %bb.23:                               ;   in Loop: Header=BB42_6 Depth=1
	s_delay_alu instid0(VALU_DEP_1)
	v_dual_mov_b32 v43, v16 :: v_dual_mov_b32 v44, v9
	v_mov_b32_e32 v45, v8
	s_mov_b32 s1, exec_lo
	v_cmpx_eq_u32_e32 1, v38
; %bb.24:                               ;   in Loop: Header=BB42_6 Depth=1
	v_dual_mov_b32 v43, v5 :: v_dual_mov_b32 v44, v16
	v_mov_b32_e32 v45, v9
	v_mov_b32_e32 v19, v8
; %bb.25:                               ;   in Loop: Header=BB42_6 Depth=1
	s_or_b32 exec_lo, exec_lo, s1
	s_delay_alu instid0(VALU_DEP_1)
	v_mov_b32_e32 v16, v19
.LBB42_26:                              ;   in Loop: Header=BB42_6 Depth=1
	s_or_b32 exec_lo, exec_lo, s0
	v_add_nc_u32_e32 v18, 3, v21
	s_mov_b32 s0, exec_lo
	s_delay_alu instid0(VALU_DEP_1) | instskip(SKIP_2) | instid1(VALU_DEP_1)
	v_cmp_eq_u32_e32 vcc_lo, 0, v18
	v_cndmask_b32_e64 v8, 0, 1, vcc_lo
	v_add_co_ci_u32_e32 v9, vcc_lo, 0, v7, vcc_lo
	v_cmp_eq_u32_e32 vcc_lo, 0, v9
	s_delay_alu instid0(VALU_DEP_3) | instskip(SKIP_1) | instid1(VALU_DEP_2)
	v_cndmask_b32_e32 v19, 0, v8, vcc_lo
	v_mad_u64_u32 v[7:8], null, 0xd2511f53, v18, 0
	v_add_nc_u32_e32 v20, v19, v20
	s_delay_alu instid0(VALU_DEP_2) | instskip(NEXT) | instid1(VALU_DEP_2)
	v_xor_b32_e32 v8, v8, v11
	v_cmp_eq_u32_e32 vcc_lo, 0, v20
	v_cndmask_b32_e32 v46, 0, v19, vcc_lo
	v_mad_u64_u32 v[18:19], null, 0xcd9e8d57, v20, 0
	s_delay_alu instid0(VALU_DEP_2) | instskip(NEXT) | instid1(VALU_DEP_2)
	v_add_nc_u32_e32 v51, v46, v42
	v_xor3_b32 v19, v19, v10, v9
	s_delay_alu instid0(VALU_DEP_2) | instskip(NEXT) | instid1(VALU_DEP_2)
	v_xor_b32_e32 v8, v51, v8
	v_mad_u64_u32 v[46:47], null, 0xd2511f53, v19, 0
	s_delay_alu instid0(VALU_DEP_2) | instskip(NEXT) | instid1(VALU_DEP_2)
	v_mad_u64_u32 v[48:49], null, 0xcd9e8d57, v8, 0
	v_xor3_b32 v19, v22, v47, v7
	s_delay_alu instid0(VALU_DEP_2) | instskip(NEXT) | instid1(VALU_DEP_2)
	v_xor3_b32 v42, v23, v49, v18
	v_mad_u64_u32 v[7:8], null, 0xcd9e8d57, v19, 0
	s_delay_alu instid0(VALU_DEP_2) | instskip(NEXT) | instid1(VALU_DEP_2)
	v_mad_u64_u32 v[18:19], null, 0xd2511f53, v42, 0
	v_xor3_b32 v8, v24, v8, v48
	s_delay_alu instid0(VALU_DEP_2) | instskip(NEXT) | instid1(VALU_DEP_2)
	v_xor3_b32 v19, v25, v19, v46
	;; [unrolled: 6-line block ×6, first 2 shown]
	v_mad_u64_u32 v[46:47], null, 0xd2511f53, v8, 0
	s_delay_alu instid0(VALU_DEP_2) | instskip(NEXT) | instid1(VALU_DEP_2)
	v_mad_u64_u32 v[48:49], null, 0xcd9e8d57, v19, 0
	v_xor3_b32 v8, v35, v47, v18
                                        ; implicit-def: $vgpr47
	s_delay_alu instid0(VALU_DEP_2) | instskip(NEXT) | instid1(VALU_DEP_2)
	v_xor3_b32 v7, v33, v49, v7
	v_mad_u64_u32 v[52:53], null, 0xcd9e8d57, v8, 0
	s_delay_alu instid0(VALU_DEP_2) | instskip(NEXT) | instid1(VALU_DEP_2)
	v_mad_u64_u32 v[49:50], null, 0xd2511f53, v7, 0
	v_xor3_b32 v7, v36, v53, v48
                                        ; implicit-def: $vgpr48
	s_delay_alu instid0(VALU_DEP_2) | instskip(NEXT) | instid1(VALU_DEP_2)
	v_xor3_b32 v42, v37, v50, v46
                                        ; implicit-def: $vgpr46
	v_mad_u64_u32 v[18:19], null, 0xd2511f53, v7, 0
	s_delay_alu instid0(VALU_DEP_2) | instskip(NEXT) | instid1(VALU_DEP_2)
	v_mad_u64_u32 v[7:8], null, 0xcd9e8d57, v42, 0
	v_xor3_b32 v49, v19, v49, v40
	s_delay_alu instid0(VALU_DEP_2)
	v_xor3_b32 v50, v8, v52, v39
	v_cmpx_lt_i32_e32 1, v38
	s_xor_b32 s0, exec_lo, s0
	s_cbranch_execz .LBB42_32
; %bb.27:                               ;   in Loop: Header=BB42_6 Depth=1
	s_mov_b32 s1, exec_lo
	v_cmpx_lt_i32_e32 2, v38
	s_xor_b32 s1, exec_lo, s1
; %bb.28:                               ;   in Loop: Header=BB42_6 Depth=1
                                        ; implicit-def: $vgpr6
; %bb.29:                               ;   in Loop: Header=BB42_6 Depth=1
	s_delay_alu instid0(SALU_CYCLE_1)
	s_or_saveexec_b32 s1, s1
	v_dual_mov_b32 v46, v49 :: v_dual_mov_b32 v47, v7
	v_mov_b32_e32 v48, v50
	s_xor_b32 exec_lo, exec_lo, s1
; %bb.30:                               ;   in Loop: Header=BB42_6 Depth=1
	v_dual_mov_b32 v46, v7 :: v_dual_mov_b32 v47, v50
	v_dual_mov_b32 v48, v17 :: v_dual_mov_b32 v17, v6
; %bb.31:                               ;   in Loop: Header=BB42_6 Depth=1
	s_or_b32 exec_lo, exec_lo, s1
                                        ; implicit-def: $vgpr6
                                        ; implicit-def: $vgpr4
                                        ; implicit-def: $vgpr5
.LBB42_32:                              ;   in Loop: Header=BB42_6 Depth=1
	s_and_not1_saveexec_b32 s0, s0
	s_cbranch_execz .LBB42_36
; %bb.33:                               ;   in Loop: Header=BB42_6 Depth=1
	s_delay_alu instid0(VALU_DEP_1)
	v_dual_mov_b32 v46, v17 :: v_dual_mov_b32 v47, v6
	v_mov_b32_e32 v48, v4
	s_mov_b32 s1, exec_lo
	v_cmpx_eq_u32_e32 1, v38
; %bb.34:                               ;   in Loop: Header=BB42_6 Depth=1
	v_dual_mov_b32 v46, v50 :: v_dual_mov_b32 v47, v17
	v_dual_mov_b32 v48, v6 :: v_dual_mov_b32 v5, v4
; %bb.35:                               ;   in Loop: Header=BB42_6 Depth=1
	s_or_b32 exec_lo, exec_lo, s1
	s_delay_alu instid0(VALU_DEP_1)
	v_mov_b32_e32 v17, v5
.LBB42_36:                              ;   in Loop: Header=BB42_6 Depth=1
	s_or_b32 exec_lo, exec_lo, s0
	v_add_nc_u32_e32 v21, 4, v21
	s_mov_b32 s0, exec_lo
	s_delay_alu instid0(VALU_DEP_1) | instskip(SKIP_2) | instid1(VALU_DEP_1)
	v_cmp_eq_u32_e32 vcc_lo, 0, v21
	v_cndmask_b32_e64 v4, 0, 1, vcc_lo
	v_add_co_ci_u32_e32 v42, vcc_lo, 0, v9, vcc_lo
	v_cmp_eq_u32_e32 vcc_lo, 0, v42
	s_delay_alu instid0(VALU_DEP_3) | instskip(NEXT) | instid1(VALU_DEP_1)
	v_cndmask_b32_e32 v4, 0, v4, vcc_lo
	v_add_nc_u32_e32 v8, v4, v20
	s_delay_alu instid0(VALU_DEP_1) | instskip(SKIP_2) | instid1(VALU_DEP_2)
	v_cmp_eq_u32_e32 vcc_lo, 0, v8
	v_mad_u64_u32 v[19:20], null, 0xcd9e8d57, v8, 0
	v_cndmask_b32_e32 v4, 0, v4, vcc_lo
	v_xor3_b32 v20, v20, v10, v42
	s_delay_alu instid0(VALU_DEP_2) | instskip(SKIP_1) | instid1(VALU_DEP_1)
	v_add_nc_u32_e32 v9, v4, v51
	v_mad_u64_u32 v[4:5], null, 0xd2511f53, v21, 0
	v_xor_b32_e32 v5, v5, v11
	s_delay_alu instid0(VALU_DEP_1) | instskip(NEXT) | instid1(VALU_DEP_1)
	v_xor_b32_e32 v51, v9, v5
	v_mad_u64_u32 v[5:6], null, 0xcd9e8d57, v51, 0
	v_mad_u64_u32 v[51:52], null, 0xd2511f53, v20, 0
	s_delay_alu instid0(VALU_DEP_2) | instskip(NEXT) | instid1(VALU_DEP_2)
	v_xor3_b32 v6, v23, v6, v19
	v_xor3_b32 v4, v22, v52, v4
	s_delay_alu instid0(VALU_DEP_2) | instskip(NEXT) | instid1(VALU_DEP_2)
	v_mad_u64_u32 v[19:20], null, 0xd2511f53, v6, 0
	v_mad_u64_u32 v[52:53], null, 0xcd9e8d57, v4, 0
	s_delay_alu instid0(VALU_DEP_2) | instskip(NEXT) | instid1(VALU_DEP_2)
	v_xor3_b32 v6, v25, v20, v51
	v_xor3_b32 v20, v24, v53, v5
	s_delay_alu instid0(VALU_DEP_2) | instskip(NEXT) | instid1(VALU_DEP_2)
	;; [unrolled: 6-line block ×8, first 2 shown]
	v_mad_u64_u32 v[5:6], null, 0xcd9e8d57, v4, 0
	v_mad_u64_u32 v[19:20], null, 0xd2511f53, v51, 0
                                        ; implicit-def: $vgpr51
	s_delay_alu instid0(VALU_DEP_2) | instskip(NEXT) | instid1(VALU_DEP_2)
	v_xor3_b32 v4, v6, v54, v39
	v_xor3_b32 v6, v20, v52, v40
                                        ; implicit-def: $vgpr20
                                        ; implicit-def: $vgpr52
	v_cmpx_lt_i32_e32 1, v38
	s_xor_b32 s0, exec_lo, s0
	s_cbranch_execz .LBB42_42
; %bb.37:                               ;   in Loop: Header=BB42_6 Depth=1
	s_mov_b32 s1, exec_lo
	v_cmpx_lt_i32_e32 2, v38
	s_xor_b32 s1, exec_lo, s1
; %bb.38:                               ;   in Loop: Header=BB42_6 Depth=1
                                        ; implicit-def: $vgpr49
; %bb.39:                               ;   in Loop: Header=BB42_6 Depth=1
	s_delay_alu instid0(SALU_CYCLE_1)
	s_or_saveexec_b32 s1, s1
	v_dual_mov_b32 v20, v6 :: v_dual_mov_b32 v51, v5
	v_mov_b32_e32 v52, v4
	s_xor_b32 exec_lo, exec_lo, s1
; %bb.40:                               ;   in Loop: Header=BB42_6 Depth=1
	v_dual_mov_b32 v20, v5 :: v_dual_mov_b32 v51, v4
	v_mov_b32_e32 v52, v18
	v_mov_b32_e32 v18, v49
; %bb.41:                               ;   in Loop: Header=BB42_6 Depth=1
	s_or_b32 exec_lo, exec_lo, s1
                                        ; implicit-def: $vgpr49
                                        ; implicit-def: $vgpr7
                                        ; implicit-def: $vgpr50
.LBB42_42:                              ;   in Loop: Header=BB42_6 Depth=1
	s_and_not1_saveexec_b32 s0, s0
	s_cbranch_execz .LBB42_5
; %bb.43:                               ;   in Loop: Header=BB42_6 Depth=1
	s_delay_alu instid0(VALU_DEP_1)
	v_dual_mov_b32 v20, v18 :: v_dual_mov_b32 v51, v49
	v_mov_b32_e32 v52, v7
	s_mov_b32 s1, exec_lo
	v_cmpx_eq_u32_e32 1, v38
	s_cbranch_execz .LBB42_4
; %bb.44:                               ;   in Loop: Header=BB42_6 Depth=1
	v_dual_mov_b32 v20, v4 :: v_dual_mov_b32 v51, v18
	v_mov_b32_e32 v52, v49
	v_mov_b32_e32 v50, v7
	s_branch .LBB42_4
.LBB42_45:
	s_endpgm
	.section	.rodata,"a",@progbits
	.p2align	6, 0x0
	.amdhsa_kernel _ZN2at6native12_GLOBAL__N_124fused_dropout_kernel_vecIN3c104HalfEfmLi1ELi16EbEEvNS_4cuda6detail10TensorInfoIKT_T1_EENS7_IS8_SA_EENS7_IT4_SA_EESA_T0_NS_15PhiloxCudaStateE
		.amdhsa_group_segment_fixed_size 0
		.amdhsa_private_segment_fixed_size 0
		.amdhsa_kernarg_size 1552
		.amdhsa_user_sgpr_count 15
		.amdhsa_user_sgpr_dispatch_ptr 0
		.amdhsa_user_sgpr_queue_ptr 0
		.amdhsa_user_sgpr_kernarg_segment_ptr 1
		.amdhsa_user_sgpr_dispatch_id 0
		.amdhsa_user_sgpr_private_segment_size 0
		.amdhsa_wavefront_size32 1
		.amdhsa_uses_dynamic_stack 0
		.amdhsa_enable_private_segment 0
		.amdhsa_system_sgpr_workgroup_id_x 1
		.amdhsa_system_sgpr_workgroup_id_y 0
		.amdhsa_system_sgpr_workgroup_id_z 0
		.amdhsa_system_sgpr_workgroup_info 0
		.amdhsa_system_vgpr_workitem_id 0
		.amdhsa_next_free_vgpr 78
		.amdhsa_next_free_sgpr 29
		.amdhsa_reserve_vcc 1
		.amdhsa_float_round_mode_32 0
		.amdhsa_float_round_mode_16_64 0
		.amdhsa_float_denorm_mode_32 3
		.amdhsa_float_denorm_mode_16_64 3
		.amdhsa_dx10_clamp 1
		.amdhsa_ieee_mode 1
		.amdhsa_fp16_overflow 0
		.amdhsa_workgroup_processor_mode 1
		.amdhsa_memory_ordered 1
		.amdhsa_forward_progress 0
		.amdhsa_shared_vgpr_count 0
		.amdhsa_exception_fp_ieee_invalid_op 0
		.amdhsa_exception_fp_denorm_src 0
		.amdhsa_exception_fp_ieee_div_zero 0
		.amdhsa_exception_fp_ieee_overflow 0
		.amdhsa_exception_fp_ieee_underflow 0
		.amdhsa_exception_fp_ieee_inexact 0
		.amdhsa_exception_int_div_zero 0
	.end_amdhsa_kernel
	.section	.text._ZN2at6native12_GLOBAL__N_124fused_dropout_kernel_vecIN3c104HalfEfmLi1ELi16EbEEvNS_4cuda6detail10TensorInfoIKT_T1_EENS7_IS8_SA_EENS7_IT4_SA_EESA_T0_NS_15PhiloxCudaStateE,"axG",@progbits,_ZN2at6native12_GLOBAL__N_124fused_dropout_kernel_vecIN3c104HalfEfmLi1ELi16EbEEvNS_4cuda6detail10TensorInfoIKT_T1_EENS7_IS8_SA_EENS7_IT4_SA_EESA_T0_NS_15PhiloxCudaStateE,comdat
.Lfunc_end42:
	.size	_ZN2at6native12_GLOBAL__N_124fused_dropout_kernel_vecIN3c104HalfEfmLi1ELi16EbEEvNS_4cuda6detail10TensorInfoIKT_T1_EENS7_IS8_SA_EENS7_IT4_SA_EESA_T0_NS_15PhiloxCudaStateE, .Lfunc_end42-_ZN2at6native12_GLOBAL__N_124fused_dropout_kernel_vecIN3c104HalfEfmLi1ELi16EbEEvNS_4cuda6detail10TensorInfoIKT_T1_EENS7_IS8_SA_EENS7_IT4_SA_EESA_T0_NS_15PhiloxCudaStateE
                                        ; -- End function
	.section	.AMDGPU.csdata,"",@progbits
; Kernel info:
; codeLenInByte = 4924
; NumSgprs: 31
; NumVgprs: 78
; ScratchSize: 0
; MemoryBound: 0
; FloatMode: 240
; IeeeMode: 1
; LDSByteSize: 0 bytes/workgroup (compile time only)
; SGPRBlocks: 3
; VGPRBlocks: 9
; NumSGPRsForWavesPerEU: 31
; NumVGPRsForWavesPerEU: 78
; Occupancy: 16
; WaveLimiterHint : 1
; COMPUTE_PGM_RSRC2:SCRATCH_EN: 0
; COMPUTE_PGM_RSRC2:USER_SGPR: 15
; COMPUTE_PGM_RSRC2:TRAP_HANDLER: 0
; COMPUTE_PGM_RSRC2:TGID_X_EN: 1
; COMPUTE_PGM_RSRC2:TGID_Y_EN: 0
; COMPUTE_PGM_RSRC2:TGID_Z_EN: 0
; COMPUTE_PGM_RSRC2:TIDIG_COMP_CNT: 0
	.section	.text._ZN2at6native12_GLOBAL__N_124fused_dropout_kernel_vecIN3c104HalfEfmLi1ELi8EbEEvNS_4cuda6detail10TensorInfoIKT_T1_EENS7_IS8_SA_EENS7_IT4_SA_EESA_T0_NS_15PhiloxCudaStateE,"axG",@progbits,_ZN2at6native12_GLOBAL__N_124fused_dropout_kernel_vecIN3c104HalfEfmLi1ELi8EbEEvNS_4cuda6detail10TensorInfoIKT_T1_EENS7_IS8_SA_EENS7_IT4_SA_EESA_T0_NS_15PhiloxCudaStateE,comdat
	.globl	_ZN2at6native12_GLOBAL__N_124fused_dropout_kernel_vecIN3c104HalfEfmLi1ELi8EbEEvNS_4cuda6detail10TensorInfoIKT_T1_EENS7_IS8_SA_EENS7_IT4_SA_EESA_T0_NS_15PhiloxCudaStateE ; -- Begin function _ZN2at6native12_GLOBAL__N_124fused_dropout_kernel_vecIN3c104HalfEfmLi1ELi8EbEEvNS_4cuda6detail10TensorInfoIKT_T1_EENS7_IS8_SA_EENS7_IT4_SA_EESA_T0_NS_15PhiloxCudaStateE
	.p2align	8
	.type	_ZN2at6native12_GLOBAL__N_124fused_dropout_kernel_vecIN3c104HalfEfmLi1ELi8EbEEvNS_4cuda6detail10TensorInfoIKT_T1_EENS7_IS8_SA_EENS7_IT4_SA_EESA_T0_NS_15PhiloxCudaStateE,@function
_ZN2at6native12_GLOBAL__N_124fused_dropout_kernel_vecIN3c104HalfEfmLi1ELi8EbEEvNS_4cuda6detail10TensorInfoIKT_T1_EENS7_IS8_SA_EENS7_IT4_SA_EESA_T0_NS_15PhiloxCudaStateE: ; @_ZN2at6native12_GLOBAL__N_124fused_dropout_kernel_vecIN3c104HalfEfmLi1ELi8EbEEvNS_4cuda6detail10TensorInfoIKT_T1_EENS7_IS8_SA_EENS7_IT4_SA_EESA_T0_NS_15PhiloxCudaStateE
; %bb.0:
	s_clause 0x1
	s_load_b128 s[4:7], s[0:1], 0x4f0
	s_load_b32 s2, s[0:1], 0x508
	s_waitcnt lgkmcnt(0)
	v_dual_mov_b32 v1, s6 :: v_dual_mov_b32 v2, s7
	v_dual_mov_b32 v11, s5 :: v_dual_mov_b32 v10, s4
	s_bitcmp0_b32 s2, 0
	s_cbranch_scc1 .LBB43_2
; %bb.1:
	v_dual_mov_b32 v1, s6 :: v_dual_mov_b32 v2, s7
	v_dual_mov_b32 v3, s4 :: v_dual_mov_b32 v4, s5
	s_load_b64 s[2:3], s[0:1], 0x500
	flat_load_b64 v[1:2], v[1:2]
	flat_load_b64 v[10:11], v[3:4]
	s_waitcnt vmcnt(1) lgkmcnt(0)
	v_add_co_u32 v1, vcc_lo, v1, s2
	v_add_co_ci_u32_e32 v2, vcc_lo, s3, v2, vcc_lo
.LBB43_2:
	s_clause 0x1
	s_load_b32 s4, s[0:1], 0x51c
	s_load_b64 s[8:9], s[0:1], 0x4e0
	s_add_u32 s2, s0, 0x510
	s_addc_u32 s3, s1, 0
	s_mov_b32 s5, exec_lo
	s_waitcnt lgkmcnt(0)
	s_and_b32 s4, s4, 0xffff
	s_delay_alu instid0(SALU_CYCLE_1) | instskip(SKIP_1) | instid1(VALU_DEP_1)
	v_mad_u64_u32 v[14:15], null, s15, s4, v[0:1]
	v_mov_b32_e32 v15, 0
	v_lshlrev_b64 v[12:13], 3, v[14:15]
	s_delay_alu instid0(VALU_DEP_1)
	v_cmpx_gt_u64_e64 s[8:9], v[12:13]
	s_cbranch_execz .LBB43_25
; %bb.3:
	v_alignbit_b32 v21, v2, v1, 2
	v_mad_u64_u32 v[3:4], null, 0xcd9e8d57, v14, 0
	v_lshrrev_b32_e32 v42, 2, v2
	s_waitcnt vmcnt(0)
	v_mov_b32_e32 v16, v11
	v_mad_u64_u32 v[5:6], null, 0xd2511f53, v21, 0
	v_add_co_u32 v23, null, 0x9e3779b9, v10
	v_xor3_b32 v0, v10, v4, v42
	s_delay_alu instid0(VALU_DEP_4) | instskip(SKIP_2) | instid1(VALU_DEP_4)
	v_add_co_u32 v22, null, 0xbb67ae85, v16
	v_add_co_u32 v24, null, 0x3c6ef372, v10
	v_xor_b32_e32 v2, v6, v11
	v_mad_u64_u32 v[6:7], null, 0xd2511f53, v0, 0
	v_add_co_u32 v25, null, 0x76cf5d0a, v16
	s_delay_alu instid0(VALU_DEP_3) | instskip(SKIP_1) | instid1(VALU_DEP_4)
	v_mad_u64_u32 v[8:9], null, 0xcd9e8d57, v2, 0
	v_add_co_u32 v26, null, 0x32370b8f, v16
	v_xor3_b32 v0, v22, v7, v5
	v_add_co_u32 v27, null, 0xdaa66d2b, v10
	s_load_b32 s7, s[0:1], 0x4e8
	s_delay_alu instid0(VALU_DEP_4) | instskip(NEXT) | instid1(VALU_DEP_3)
	v_xor3_b32 v7, v9, v23, v3
	v_mad_u64_u32 v[2:3], null, 0xcd9e8d57, v0, 0
	v_add_co_u32 v28, null, 0x78dde6e4, v10
	s_delay_alu instid0(VALU_DEP_3) | instskip(SKIP_1) | instid1(VALU_DEP_4)
	v_mad_u64_u32 v[4:5], null, 0xd2511f53, v7, 0
	v_add_co_u32 v29, null, 0xed9eba14, v16
	v_xor3_b32 v0, v24, v3, v8
	v_add_co_u32 v31, null, 0x1715609d, v10
	v_add_co_u32 v30, null, 0xa9066899, v16
	v_xor3_b32 v3, v5, v25, v6
	s_delay_alu instid0(VALU_DEP_4) | instskip(SKIP_1) | instid1(VALU_DEP_3)
	v_mad_u64_u32 v[5:6], null, 0xd2511f53, v0, 0
	v_add_co_u32 v32, null, 0xb54cda56, v10
	v_mad_u64_u32 v[7:8], null, 0xcd9e8d57, v3, 0
	v_add_co_u32 v33, null, 0x5384540f, v10
	s_delay_alu instid0(VALU_DEP_4)
	v_xor3_b32 v0, v26, v6, v4
	s_waitcnt lgkmcnt(0)
	v_div_scale_f32 v18, vcc_lo, 1.0, s7, 1.0
	s_clause 0x2
	s_load_b64 s[10:11], s[0:1], 0x0
	s_load_b64 s[12:13], s[0:1], 0x1a0
	;; [unrolled: 1-line block ×3, first 2 shown]
	v_xor3_b32 v4, v8, v27, v2
	v_mad_u64_u32 v[2:3], null, 0xcd9e8d57, v0, 0
	s_load_b32 s0, s[2:3], 0x0
	v_add_co_u32 v36, null, 0xf1bbcdc8, v10
	s_delay_alu instid0(VALU_DEP_3) | instskip(SKIP_1) | instid1(VALU_DEP_4)
	v_mad_u64_u32 v[8:9], null, 0xd2511f53, v4, 0
	v_and_b32_e32 v38, 3, v1
	v_xor3_b32 v0, v28, v3, v7
	v_add_nc_u32_e32 v39, 0x8ff34781, v10
	s_mov_b32 s17, 0
	v_add_nc_u32_e32 v40, 0x96a522ad, v11
	v_xor3_b32 v7, v9, v29, v5
	v_mad_u64_u32 v[3:4], null, 0xd2511f53, v0, 0
	v_div_scale_f32 v0, null, s7, s7, 1.0
	s_delay_alu instid0(VALU_DEP_3) | instskip(NEXT) | instid1(VALU_DEP_2)
	v_mad_u64_u32 v[5:6], null, 0xcd9e8d57, v7, 0
	v_rcp_f32_e32 v17, v0
	s_delay_alu instid0(VALU_DEP_3) | instskip(SKIP_2) | instid1(SALU_CYCLE_1)
	v_xor3_b32 v4, v30, v4, v8
	s_waitcnt lgkmcnt(0)
	s_mul_i32 s0, s0, s4
	s_lshl_b32 s16, s0, 3
	s_delay_alu instid0(VALU_DEP_2) | instskip(SKIP_2) | instid1(VALU_DEP_2)
	v_xor3_b32 v2, v6, v31, v2
	v_mad_u64_u32 v[6:7], null, 0xcd9e8d57, v4, 0
	s_lshl_b64 s[18:19], s[16:17], 1
	v_mad_u64_u32 v[8:9], null, 0xd2511f53, v2, 0
	s_waitcnt_depctr 0xfff
	v_fma_f32 v2, -v0, v17, 1.0
	v_xor3_b32 v4, v32, v7, v5
	s_delay_alu instid0(VALU_DEP_2) | instskip(SKIP_3) | instid1(VALU_DEP_3)
	v_fmac_f32_e32 v17, v2, v17
	v_add_co_u32 v34, null, 0x646e171e, v16
	v_add_co_u32 v35, null, 0x1fd5c5a3, v16
	;; [unrolled: 1-line block ×3, first 2 shown]
	v_xor3_b32 v7, v9, v34, v3
	v_mad_u64_u32 v[2:3], null, 0xd2511f53, v4, 0
	v_mul_f32_e32 v9, v18, v17
	s_delay_alu instid0(VALU_DEP_3) | instskip(NEXT) | instid1(VALU_DEP_2)
	v_mad_u64_u32 v[4:5], null, 0xcd9e8d57, v7, 0
	v_fma_f32 v20, -v0, v9, v18
	s_delay_alu instid0(VALU_DEP_4) | instskip(NEXT) | instid1(VALU_DEP_3)
	v_xor3_b32 v3, v35, v3, v8
	v_xor3_b32 v19, v5, v33, v6
	s_delay_alu instid0(VALU_DEP_2) | instskip(NEXT) | instid1(VALU_DEP_4)
	v_mad_u64_u32 v[5:6], null, 0xcd9e8d57, v3, 0
	v_fmac_f32_e32 v9, v20, v17
	s_delay_alu instid0(VALU_DEP_3) | instskip(NEXT) | instid1(VALU_DEP_2)
	v_mad_u64_u32 v[7:8], null, 0xd2511f53, v19, 0
	v_fma_f32 v0, -v0, v9, v18
	s_delay_alu instid0(VALU_DEP_4) | instskip(NEXT) | instid1(VALU_DEP_3)
	v_xor3_b32 v6, v36, v6, v4
	v_xor3_b32 v8, v8, v37, v2
	s_delay_alu instid0(VALU_DEP_2) | instskip(NEXT) | instid1(VALU_DEP_4)
	v_mad_u64_u32 v[3:4], null, 0xd2511f53, v6, 0
	v_div_fmas_f32 v0, v0, v17, v9
	v_lshlrev_b64 v[16:17], 4, v[14:15]
	s_delay_alu instid0(VALU_DEP_4) | instskip(NEXT) | instid1(VALU_DEP_3)
	v_mad_u64_u32 v[1:2], null, 0xcd9e8d57, v8, 0
	v_div_fixup_f32 v41, v0, s7, 1.0
	s_delay_alu instid0(VALU_DEP_2)
	v_xor3_b32 v0, v5, v2, v39
	v_xor3_b32 v2, v4, v7, v40
	s_branch .LBB43_6
.LBB43_4:                               ;   in Loop: Header=BB43_6 Depth=1
	s_or_b32 exec_lo, exec_lo, s1
	s_delay_alu instid0(VALU_DEP_1)
	v_mov_b32_e32 v18, v43
.LBB43_5:                               ;   in Loop: Header=BB43_6 Depth=1
	s_or_b32 exec_lo, exec_lo, s0
	v_add_co_u32 v8, vcc_lo, s10, v16
	v_add_co_ci_u32_e32 v9, vcc_lo, s11, v17, vcc_lo
	v_cvt_f32_u32_e32 v4, v4
	v_cvt_f32_u32_e32 v43, v18
	v_mov_b32_e32 v3, v19
	global_load_b128 v[46:49], v[8:9], off
	v_add_co_u32 v8, vcc_lo, s12, v16
	v_fmaak_f32 v4, 0x2f800000, v4, 0x2f800000
	v_add_co_ci_u32_e32 v9, vcc_lo, s13, v17, vcc_lo
	v_add_co_u32 v18, vcc_lo, s14, v12
	v_add_co_ci_u32_e32 v19, vcc_lo, s15, v13, vcc_lo
	v_add_co_u32 v12, vcc_lo, v12, s16
	v_add_co_ci_u32_e32 v13, vcc_lo, 0, v13, vcc_lo
	v_cvt_f32_u32_e32 v5, v5
	v_cvt_f32_u32_e32 v45, v45
	;; [unrolled: 1-line block ×3, first 2 shown]
	v_cmp_gt_f32_e32 vcc_lo, s7, v4
	v_cvt_f32_u32_e32 v6, v6
	v_cvt_f32_u32_e32 v7, v7
	;; [unrolled: 1-line block ×3, first 2 shown]
	v_fmaak_f32 v5, 0x2f800000, v5, 0x2f800000
	v_dual_fmaak_f32 v43, 0x2f800000, v43, 0x2f800000 :: v_dual_fmaak_f32 v20, 0x2f800000, v20, 0x2f800000
	v_cndmask_b32_e64 v4, 0, 1.0, vcc_lo
	v_dual_fmaak_f32 v45, 0x2f800000, v45, 0x2f800000 :: v_dual_fmaak_f32 v6, 0x2f800000, v6, 0x2f800000
	v_dual_fmaak_f32 v7, 0x2f800000, v7, 0x2f800000 :: v_dual_fmaak_f32 v44, 0x2f800000, v44, 0x2f800000
	v_cmp_gt_f32_e64 s0, s7, v5
	s_delay_alu instid0(VALU_DEP_3) | instskip(SKIP_1) | instid1(VALU_DEP_4)
	v_cmp_gt_f32_e64 s4, s7, v45
	v_cmp_gt_f32_e64 s6, s7, v20
	;; [unrolled: 1-line block ×5, first 2 shown]
	v_cndmask_b32_e64 v45, 0, 1, s0
	v_cndmask_b32_e64 v53, 0, 1, s4
	;; [unrolled: 1-line block ×3, first 2 shown]
	v_cmp_gt_f32_e64 s1, s7, v6
	v_cndmask_b32_e64 v44, 0, 1, vcc_lo
	v_cndmask_b32_e64 v55, 0, 1, s2
	v_cndmask_b32_e64 v56, 0, 1, s3
	;; [unrolled: 1-line block ×3, first 2 shown]
	v_lshlrev_b16 v53, 8, v53
	v_lshlrev_b16 v54, 8, v54
	;; [unrolled: 1-line block ×3, first 2 shown]
	v_cndmask_b32_e64 v52, 0, 1, s1
	v_lshlrev_b16 v55, 8, v55
	v_or_b32_e32 v53, v56, v53
	v_or_b32_e32 v54, v57, v54
	;; [unrolled: 1-line block ×3, first 2 shown]
	v_cndmask_b32_e64 v5, 0, 1.0, s1
	v_cndmask_b32_e64 v6, 0, 1.0, s3
	;; [unrolled: 1-line block ×3, first 2 shown]
	v_or_b32_e32 v45, v52, v55
	v_cndmask_b32_e64 v50, 0, 1.0, s0
	v_cndmask_b32_e64 v51, 0, 1.0, s2
	;; [unrolled: 1-line block ×4, first 2 shown]
	v_cmp_le_u64_e32 vcc_lo, s[8:9], v[12:13]
	s_add_u32 s12, s12, s18
	s_addc_u32 s13, s13, s19
	s_add_u32 s10, s10, s18
	s_addc_u32 s11, s11, s19
	s_or_b32 s17, vcc_lo, s17
	s_waitcnt vmcnt(0)
	v_lshrrev_b32_e32 v55, 16, v47
	v_lshrrev_b32_e32 v56, 16, v48
	;; [unrolled: 1-line block ×3, first 2 shown]
	v_cvt_f32_f16_e32 v47, v47
	v_and_b32_e32 v52, 0xffff, v53
	v_cvt_f32_f16_e32 v48, v48
	v_lshlrev_b32_e32 v53, 16, v54
	v_cvt_f32_f16_e32 v49, v49
	v_and_b32_e32 v54, 0xffff, v44
	v_lshrrev_b32_e32 v44, 16, v46
	v_cvt_f32_f16_e32 v46, v46
	v_mul_f32_e32 v5, v5, v47
	v_dual_mul_f32 v7, v7, v49 :: v_dual_mul_f32 v6, v6, v48
	s_delay_alu instid0(VALU_DEP_4) | instskip(NEXT) | instid1(VALU_DEP_4)
	v_cvt_f32_f16_e32 v44, v44
	v_mul_f32_e32 v4, v4, v46
	v_cvt_f32_f16_e32 v46, v55
	v_cvt_f32_f16_e32 v47, v56
	;; [unrolled: 1-line block ×3, first 2 shown]
	v_lshlrev_b32_e32 v45, 16, v45
	v_fma_mixlo_f16 v4, v41, v4, 0
	v_fma_mixlo_f16 v5, v41, v5, 0
	;; [unrolled: 1-line block ×3, first 2 shown]
	v_mul_f32_e32 v20, v20, v48
	v_fma_mixlo_f16 v7, v41, v7, 0
	v_mul_f32_e32 v43, v43, v47
	v_dual_mul_f32 v46, v51, v46 :: v_dual_mul_f32 v47, v50, v44
	v_or_b32_e32 v44, v52, v53
	s_delay_alu instid0(VALU_DEP_4) | instskip(NEXT) | instid1(VALU_DEP_4)
	v_fma_mixhi_f16 v7, v41, v20, 0
	v_fma_mixhi_f16 v6, v41, v43, 0
	s_delay_alu instid0(VALU_DEP_4)
	v_fma_mixhi_f16 v5, v41, v46, 0
	v_fma_mixhi_f16 v4, v41, v47, 0
	v_or_b32_e32 v43, v54, v45
	global_store_b128 v[8:9], v[4:7], off
	global_store_b64 v[18:19], v[43:44], off
	s_waitcnt_vscnt null, 0x0
	s_barrier
	buffer_gl0_inv
	s_and_not1_b32 exec_lo, exec_lo, s17
	s_cbranch_execz .LBB43_25
.LBB43_6:                               ; =>This Inner Loop Header: Depth=1
	v_add_co_u32 v6, vcc_lo, v21, 1
	s_delay_alu instid0(VALU_DEP_1) | instskip(SKIP_2) | instid1(VALU_DEP_1)
	v_cndmask_b32_e64 v4, 0, 1, vcc_lo
	v_add_co_ci_u32_e32 v20, vcc_lo, 0, v42, vcc_lo
	s_mov_b32 s0, exec_lo
	v_cmp_eq_u32_e32 vcc_lo, 0, v20
	s_delay_alu instid0(VALU_DEP_3) | instskip(SKIP_1) | instid1(VALU_DEP_2)
	v_cndmask_b32_e32 v7, 0, v4, vcc_lo
	v_mad_u64_u32 v[4:5], null, 0xd2511f53, v6, 0
	v_add_nc_u32_e32 v14, v7, v14
	s_delay_alu instid0(VALU_DEP_2) | instskip(NEXT) | instid1(VALU_DEP_2)
	v_xor_b32_e32 v8, v5, v11
	v_cmp_eq_u32_e32 vcc_lo, 0, v14
	v_cndmask_b32_e32 v7, 0, v7, vcc_lo
	v_mad_u64_u32 v[5:6], null, 0xcd9e8d57, v14, 0
	s_delay_alu instid0(VALU_DEP_2) | instskip(NEXT) | instid1(VALU_DEP_2)
	v_add_nc_u32_e32 v15, v7, v15
	v_xor3_b32 v18, v6, v10, v20
	s_delay_alu instid0(VALU_DEP_2) | instskip(NEXT) | instid1(VALU_DEP_1)
	v_xor_b32_e32 v8, v15, v8
	v_mad_u64_u32 v[6:7], null, 0xcd9e8d57, v8, 0
	s_delay_alu instid0(VALU_DEP_3) | instskip(NEXT) | instid1(VALU_DEP_2)
	v_mad_u64_u32 v[8:9], null, 0xd2511f53, v18, 0
	v_xor3_b32 v7, v23, v7, v5
	s_delay_alu instid0(VALU_DEP_2) | instskip(NEXT) | instid1(VALU_DEP_2)
	v_xor3_b32 v9, v22, v9, v4
	v_mad_u64_u32 v[4:5], null, 0xd2511f53, v7, 0
	s_delay_alu instid0(VALU_DEP_2) | instskip(NEXT) | instid1(VALU_DEP_2)
	v_mad_u64_u32 v[18:19], null, 0xcd9e8d57, v9, 0
	v_xor3_b32 v7, v25, v5, v8
	s_delay_alu instid0(VALU_DEP_2) | instskip(NEXT) | instid1(VALU_DEP_2)
	v_xor3_b32 v9, v24, v19, v6
	v_mad_u64_u32 v[5:6], null, 0xcd9e8d57, v7, 0
	s_delay_alu instid0(VALU_DEP_2) | instskip(NEXT) | instid1(VALU_DEP_2)
	;; [unrolled: 6-line block ×8, first 2 shown]
	v_mad_u64_u32 v[18:19], null, 0xd2511f53, v4, 0
	v_xor3_b32 v43, v9, v42, v39
	s_delay_alu instid0(VALU_DEP_2)
	v_xor3_b32 v9, v19, v5, v40
                                        ; implicit-def: $vgpr4_vgpr5_vgpr6_vgpr7
	v_cmpx_lt_i32_e32 1, v38
	s_xor_b32 s0, exec_lo, s0
	s_cbranch_execz .LBB43_12
; %bb.7:                                ;   in Loop: Header=BB43_6 Depth=1
	s_mov_b32 s1, exec_lo
                                        ; implicit-def: $vgpr4_vgpr5_vgpr6_vgpr7
	v_cmpx_lt_i32_e32 2, v38
	s_xor_b32 s1, exec_lo, s1
; %bb.8:                                ;   in Loop: Header=BB43_6 Depth=1
	v_mov_b32_e32 v6, v3
	v_mov_b32_e32 v7, v43
                                        ; implicit-def: $vgpr0_vgpr1_vgpr2_vgpr3
	s_delay_alu instid0(VALU_DEP_2) | instskip(NEXT) | instid1(VALU_DEP_2)
	v_mov_b32_e32 v4, v6
	v_dual_mov_b32 v5, v7 :: v_dual_mov_b32 v6, v8
	v_mov_b32_e32 v7, v9
; %bb.9:                                ;   in Loop: Header=BB43_6 Depth=1
	s_and_not1_saveexec_b32 s1, s1
; %bb.10:                               ;   in Loop: Header=BB43_6 Depth=1
	v_dual_mov_b32 v4, v2 :: v_dual_mov_b32 v5, v3
	v_dual_mov_b32 v6, v43 :: v_dual_mov_b32 v7, v8
; %bb.11:                               ;   in Loop: Header=BB43_6 Depth=1
	s_or_b32 exec_lo, exec_lo, s1
                                        ; implicit-def: $vgpr0_vgpr1_vgpr2_vgpr3
.LBB43_12:                              ;   in Loop: Header=BB43_6 Depth=1
	s_and_not1_saveexec_b32 s0, s0
	s_cbranch_execz .LBB43_16
; %bb.13:                               ;   in Loop: Header=BB43_6 Depth=1
	s_mov_b32 s1, exec_lo
	v_cmpx_eq_u32_e32 1, v38
; %bb.14:                               ;   in Loop: Header=BB43_6 Depth=1
	v_dual_mov_b32 v0, v1 :: v_dual_mov_b32 v1, v2
	v_mov_b32_e32 v2, v3
	v_mov_b32_e32 v3, v43
; %bb.15:                               ;   in Loop: Header=BB43_6 Depth=1
	s_or_b32 exec_lo, exec_lo, s1
	s_delay_alu instid0(VALU_DEP_1)
	v_dual_mov_b32 v7, v3 :: v_dual_mov_b32 v6, v2
	v_dual_mov_b32 v5, v1 :: v_dual_mov_b32 v4, v0
.LBB43_16:                              ;   in Loop: Header=BB43_6 Depth=1
	s_or_b32 exec_lo, exec_lo, s0
	v_add_nc_u32_e32 v21, 2, v21
	s_mov_b32 s0, exec_lo
	s_delay_alu instid0(VALU_DEP_1) | instskip(SKIP_2) | instid1(VALU_DEP_1)
	v_cmp_eq_u32_e32 vcc_lo, 0, v21
	v_cndmask_b32_e64 v0, 0, 1, vcc_lo
	v_add_co_ci_u32_e32 v42, vcc_lo, 0, v20, vcc_lo
	v_cmp_eq_u32_e32 vcc_lo, 0, v42
	s_delay_alu instid0(VALU_DEP_3) | instskip(NEXT) | instid1(VALU_DEP_1)
	v_cndmask_b32_e32 v0, 0, v0, vcc_lo
	v_add_nc_u32_e32 v14, v0, v14
	s_delay_alu instid0(VALU_DEP_1) | instskip(SKIP_2) | instid1(VALU_DEP_2)
	v_cmp_eq_u32_e32 vcc_lo, 0, v14
	v_mad_u64_u32 v[2:3], null, 0xcd9e8d57, v14, 0
	v_cndmask_b32_e32 v0, 0, v0, vcc_lo
	v_xor3_b32 v3, v3, v10, v42
	s_delay_alu instid0(VALU_DEP_2) | instskip(SKIP_1) | instid1(VALU_DEP_3)
	v_add_nc_u32_e32 v15, v0, v15
	v_mad_u64_u32 v[0:1], null, 0xd2511f53, v21, 0
	v_mad_u64_u32 v[44:45], null, 0xd2511f53, v3, 0
	s_delay_alu instid0(VALU_DEP_2) | instskip(NEXT) | instid1(VALU_DEP_1)
	v_xor_b32_e32 v1, v1, v11
	v_xor_b32_e32 v1, v15, v1
	s_delay_alu instid0(VALU_DEP_1) | instskip(NEXT) | instid1(VALU_DEP_1)
	v_mad_u64_u32 v[19:20], null, 0xcd9e8d57, v1, 0
	v_xor3_b32 v2, v23, v20, v2
	v_xor3_b32 v20, v22, v45, v0
	s_delay_alu instid0(VALU_DEP_2) | instskip(NEXT) | instid1(VALU_DEP_2)
	v_mad_u64_u32 v[0:1], null, 0xd2511f53, v2, 0
	v_mad_u64_u32 v[2:3], null, 0xcd9e8d57, v20, 0
	s_delay_alu instid0(VALU_DEP_2) | instskip(NEXT) | instid1(VALU_DEP_2)
	v_xor3_b32 v1, v25, v1, v44
	v_xor3_b32 v3, v24, v3, v19
	s_delay_alu instid0(VALU_DEP_2) | instskip(NEXT) | instid1(VALU_DEP_2)
	v_mad_u64_u32 v[19:20], null, 0xcd9e8d57, v1, 0
	v_mad_u64_u32 v[44:45], null, 0xd2511f53, v3, 0
	s_delay_alu instid0(VALU_DEP_2) | instskip(NEXT) | instid1(VALU_DEP_2)
	;; [unrolled: 6-line block ×7, first 2 shown]
	v_xor3_b32 v3, v37, v46, v44
	v_xor3_b32 v44, v36, v1, v19
	s_delay_alu instid0(VALU_DEP_2) | instskip(NEXT) | instid1(VALU_DEP_2)
	v_mad_u64_u32 v[1:2], null, 0xcd9e8d57, v3, 0
	v_mad_u64_u32 v[19:20], null, 0xd2511f53, v44, 0
                                        ; implicit-def: $vgpr44
	s_delay_alu instid0(VALU_DEP_2) | instskip(NEXT) | instid1(VALU_DEP_2)
	v_xor3_b32 v0, v2, v0, v39
	v_xor3_b32 v2, v20, v45, v40
                                        ; implicit-def: $vgpr20
                                        ; implicit-def: $vgpr45
	v_cmpx_lt_i32_e32 1, v38
	s_xor_b32 s0, exec_lo, s0
	s_cbranch_execz .LBB43_22
; %bb.17:                               ;   in Loop: Header=BB43_6 Depth=1
	s_mov_b32 s1, exec_lo
	v_cmpx_lt_i32_e32 2, v38
	s_xor_b32 s1, exec_lo, s1
; %bb.18:                               ;   in Loop: Header=BB43_6 Depth=1
                                        ; implicit-def: $vgpr9
; %bb.19:                               ;   in Loop: Header=BB43_6 Depth=1
	s_delay_alu instid0(SALU_CYCLE_1)
	s_or_saveexec_b32 s1, s1
	v_dual_mov_b32 v20, v2 :: v_dual_mov_b32 v45, v0
	v_mov_b32_e32 v44, v1
	s_xor_b32 exec_lo, exec_lo, s1
; %bb.20:                               ;   in Loop: Header=BB43_6 Depth=1
	v_dual_mov_b32 v20, v1 :: v_dual_mov_b32 v45, v18
	v_mov_b32_e32 v44, v0
	v_mov_b32_e32 v18, v9
; %bb.21:                               ;   in Loop: Header=BB43_6 Depth=1
	s_or_b32 exec_lo, exec_lo, s1
                                        ; implicit-def: $vgpr9
                                        ; implicit-def: $vgpr43
.LBB43_22:                              ;   in Loop: Header=BB43_6 Depth=1
	s_and_not1_saveexec_b32 s0, s0
	s_cbranch_execz .LBB43_5
; %bb.23:                               ;   in Loop: Header=BB43_6 Depth=1
	s_delay_alu instid0(VALU_DEP_1)
	v_dual_mov_b32 v20, v18 :: v_dual_mov_b32 v45, v8
	v_mov_b32_e32 v44, v9
	s_mov_b32 s1, exec_lo
	v_cmpx_eq_u32_e32 1, v38
	s_cbranch_execz .LBB43_4
; %bb.24:                               ;   in Loop: Header=BB43_6 Depth=1
	v_dual_mov_b32 v20, v0 :: v_dual_mov_b32 v45, v9
	v_dual_mov_b32 v44, v18 :: v_dual_mov_b32 v43, v8
	s_branch .LBB43_4
.LBB43_25:
	s_endpgm
	.section	.rodata,"a",@progbits
	.p2align	6, 0x0
	.amdhsa_kernel _ZN2at6native12_GLOBAL__N_124fused_dropout_kernel_vecIN3c104HalfEfmLi1ELi8EbEEvNS_4cuda6detail10TensorInfoIKT_T1_EENS7_IS8_SA_EENS7_IT4_SA_EESA_T0_NS_15PhiloxCudaStateE
		.amdhsa_group_segment_fixed_size 0
		.amdhsa_private_segment_fixed_size 0
		.amdhsa_kernarg_size 1552
		.amdhsa_user_sgpr_count 15
		.amdhsa_user_sgpr_dispatch_ptr 0
		.amdhsa_user_sgpr_queue_ptr 0
		.amdhsa_user_sgpr_kernarg_segment_ptr 1
		.amdhsa_user_sgpr_dispatch_id 0
		.amdhsa_user_sgpr_private_segment_size 0
		.amdhsa_wavefront_size32 1
		.amdhsa_uses_dynamic_stack 0
		.amdhsa_enable_private_segment 0
		.amdhsa_system_sgpr_workgroup_id_x 1
		.amdhsa_system_sgpr_workgroup_id_y 0
		.amdhsa_system_sgpr_workgroup_id_z 0
		.amdhsa_system_sgpr_workgroup_info 0
		.amdhsa_system_vgpr_workitem_id 0
		.amdhsa_next_free_vgpr 58
		.amdhsa_next_free_sgpr 20
		.amdhsa_reserve_vcc 1
		.amdhsa_float_round_mode_32 0
		.amdhsa_float_round_mode_16_64 0
		.amdhsa_float_denorm_mode_32 3
		.amdhsa_float_denorm_mode_16_64 3
		.amdhsa_dx10_clamp 1
		.amdhsa_ieee_mode 1
		.amdhsa_fp16_overflow 0
		.amdhsa_workgroup_processor_mode 1
		.amdhsa_memory_ordered 1
		.amdhsa_forward_progress 0
		.amdhsa_shared_vgpr_count 0
		.amdhsa_exception_fp_ieee_invalid_op 0
		.amdhsa_exception_fp_denorm_src 0
		.amdhsa_exception_fp_ieee_div_zero 0
		.amdhsa_exception_fp_ieee_overflow 0
		.amdhsa_exception_fp_ieee_underflow 0
		.amdhsa_exception_fp_ieee_inexact 0
		.amdhsa_exception_int_div_zero 0
	.end_amdhsa_kernel
	.section	.text._ZN2at6native12_GLOBAL__N_124fused_dropout_kernel_vecIN3c104HalfEfmLi1ELi8EbEEvNS_4cuda6detail10TensorInfoIKT_T1_EENS7_IS8_SA_EENS7_IT4_SA_EESA_T0_NS_15PhiloxCudaStateE,"axG",@progbits,_ZN2at6native12_GLOBAL__N_124fused_dropout_kernel_vecIN3c104HalfEfmLi1ELi8EbEEvNS_4cuda6detail10TensorInfoIKT_T1_EENS7_IS8_SA_EENS7_IT4_SA_EESA_T0_NS_15PhiloxCudaStateE,comdat
.Lfunc_end43:
	.size	_ZN2at6native12_GLOBAL__N_124fused_dropout_kernel_vecIN3c104HalfEfmLi1ELi8EbEEvNS_4cuda6detail10TensorInfoIKT_T1_EENS7_IS8_SA_EENS7_IT4_SA_EESA_T0_NS_15PhiloxCudaStateE, .Lfunc_end43-_ZN2at6native12_GLOBAL__N_124fused_dropout_kernel_vecIN3c104HalfEfmLi1ELi8EbEEvNS_4cuda6detail10TensorInfoIKT_T1_EENS7_IS8_SA_EENS7_IT4_SA_EESA_T0_NS_15PhiloxCudaStateE
                                        ; -- End function
	.section	.AMDGPU.csdata,"",@progbits
; Kernel info:
; codeLenInByte = 3048
; NumSgprs: 22
; NumVgprs: 58
; ScratchSize: 0
; MemoryBound: 0
; FloatMode: 240
; IeeeMode: 1
; LDSByteSize: 0 bytes/workgroup (compile time only)
; SGPRBlocks: 2
; VGPRBlocks: 7
; NumSGPRsForWavesPerEU: 22
; NumVGPRsForWavesPerEU: 58
; Occupancy: 16
; WaveLimiterHint : 1
; COMPUTE_PGM_RSRC2:SCRATCH_EN: 0
; COMPUTE_PGM_RSRC2:USER_SGPR: 15
; COMPUTE_PGM_RSRC2:TRAP_HANDLER: 0
; COMPUTE_PGM_RSRC2:TGID_X_EN: 1
; COMPUTE_PGM_RSRC2:TGID_Y_EN: 0
; COMPUTE_PGM_RSRC2:TGID_Z_EN: 0
; COMPUTE_PGM_RSRC2:TIDIG_COMP_CNT: 0
	.section	.text._ZN2at6native12_GLOBAL__N_124fused_dropout_kernel_vecIN3c104HalfEfmLi1ELi4EbEEvNS_4cuda6detail10TensorInfoIKT_T1_EENS7_IS8_SA_EENS7_IT4_SA_EESA_T0_NS_15PhiloxCudaStateE,"axG",@progbits,_ZN2at6native12_GLOBAL__N_124fused_dropout_kernel_vecIN3c104HalfEfmLi1ELi4EbEEvNS_4cuda6detail10TensorInfoIKT_T1_EENS7_IS8_SA_EENS7_IT4_SA_EESA_T0_NS_15PhiloxCudaStateE,comdat
	.globl	_ZN2at6native12_GLOBAL__N_124fused_dropout_kernel_vecIN3c104HalfEfmLi1ELi4EbEEvNS_4cuda6detail10TensorInfoIKT_T1_EENS7_IS8_SA_EENS7_IT4_SA_EESA_T0_NS_15PhiloxCudaStateE ; -- Begin function _ZN2at6native12_GLOBAL__N_124fused_dropout_kernel_vecIN3c104HalfEfmLi1ELi4EbEEvNS_4cuda6detail10TensorInfoIKT_T1_EENS7_IS8_SA_EENS7_IT4_SA_EESA_T0_NS_15PhiloxCudaStateE
	.p2align	8
	.type	_ZN2at6native12_GLOBAL__N_124fused_dropout_kernel_vecIN3c104HalfEfmLi1ELi4EbEEvNS_4cuda6detail10TensorInfoIKT_T1_EENS7_IS8_SA_EENS7_IT4_SA_EESA_T0_NS_15PhiloxCudaStateE,@function
_ZN2at6native12_GLOBAL__N_124fused_dropout_kernel_vecIN3c104HalfEfmLi1ELi4EbEEvNS_4cuda6detail10TensorInfoIKT_T1_EENS7_IS8_SA_EENS7_IT4_SA_EESA_T0_NS_15PhiloxCudaStateE: ; @_ZN2at6native12_GLOBAL__N_124fused_dropout_kernel_vecIN3c104HalfEfmLi1ELi4EbEEvNS_4cuda6detail10TensorInfoIKT_T1_EENS7_IS8_SA_EENS7_IT4_SA_EESA_T0_NS_15PhiloxCudaStateE
; %bb.0:
	s_clause 0x1
	s_load_b128 s[4:7], s[0:1], 0x4f0
	s_load_b32 s2, s[0:1], 0x508
	s_waitcnt lgkmcnt(0)
	v_dual_mov_b32 v1, s6 :: v_dual_mov_b32 v2, s7
	v_dual_mov_b32 v12, s5 :: v_dual_mov_b32 v11, s4
	s_bitcmp0_b32 s2, 0
	s_cbranch_scc1 .LBB44_2
; %bb.1:
	v_dual_mov_b32 v1, s6 :: v_dual_mov_b32 v2, s7
	v_dual_mov_b32 v3, s4 :: v_dual_mov_b32 v4, s5
	s_load_b64 s[2:3], s[0:1], 0x500
	flat_load_b64 v[1:2], v[1:2]
	flat_load_b64 v[11:12], v[3:4]
	s_waitcnt vmcnt(1) lgkmcnt(0)
	v_add_co_u32 v1, vcc_lo, v1, s2
	v_add_co_ci_u32_e32 v2, vcc_lo, s3, v2, vcc_lo
.LBB44_2:
	s_clause 0x1
	s_load_b32 s4, s[0:1], 0x51c
	s_load_b64 s[2:3], s[0:1], 0x4e0
	s_add_u32 s10, s0, 0x510
	s_addc_u32 s11, s1, 0
	s_waitcnt lgkmcnt(0)
	s_and_b32 s12, s4, 0xffff
	s_mov_b32 s4, exec_lo
	v_mad_u64_u32 v[13:14], null, s15, s12, v[0:1]
	v_mov_b32_e32 v14, 0
	s_delay_alu instid0(VALU_DEP_1) | instskip(NEXT) | instid1(VALU_DEP_1)
	v_lshlrev_b64 v[15:16], 2, v[13:14]
	v_cmpx_gt_u64_e64 s[2:3], v[15:16]
	s_cbranch_execz .LBB44_15
; %bb.3:
	v_alignbit_b32 v21, v2, v1, 2
	v_mad_u64_u32 v[3:4], null, 0xcd9e8d57, v13, 0
	v_lshrrev_b32_e32 v22, 2, v2
	s_waitcnt vmcnt(0)
	v_mov_b32_e32 v10, v12
	v_mad_u64_u32 v[5:6], null, 0xd2511f53, v21, 0
	v_add_co_u32 v24, null, 0x9e3779b9, v11
	v_xor3_b32 v0, v11, v4, v22
	s_delay_alu instid0(VALU_DEP_4) | instskip(SKIP_2) | instid1(VALU_DEP_4)
	v_add_co_u32 v23, null, 0xbb67ae85, v10
	v_add_co_u32 v25, null, 0x3c6ef372, v11
	v_xor_b32_e32 v2, v6, v12
	v_mad_u64_u32 v[6:7], null, 0xd2511f53, v0, 0
	v_add_co_u32 v26, null, 0x76cf5d0a, v10
	s_delay_alu instid0(VALU_DEP_3) | instskip(SKIP_1) | instid1(VALU_DEP_4)
	v_mad_u64_u32 v[8:9], null, 0xcd9e8d57, v2, 0
	v_add_co_u32 v27, null, 0x32370b8f, v10
	v_xor3_b32 v0, v23, v7, v5
	v_add_co_u32 v28, null, 0xdaa66d2b, v11
	s_load_b32 s14, s[0:1], 0x4e8
	s_delay_alu instid0(VALU_DEP_4) | instskip(NEXT) | instid1(VALU_DEP_3)
	v_xor3_b32 v7, v9, v24, v3
	v_mad_u64_u32 v[2:3], null, 0xcd9e8d57, v0, 0
	v_add_co_u32 v29, null, 0x78dde6e4, v11
	s_delay_alu instid0(VALU_DEP_3) | instskip(SKIP_1) | instid1(VALU_DEP_4)
	v_mad_u64_u32 v[4:5], null, 0xd2511f53, v7, 0
	v_add_co_u32 v30, null, 0xed9eba14, v10
	v_xor3_b32 v0, v25, v3, v8
	v_add_co_u32 v32, null, 0x1715609d, v11
	v_add_co_u32 v31, null, 0xa9066899, v10
	v_xor3_b32 v3, v5, v26, v6
	s_delay_alu instid0(VALU_DEP_4) | instskip(SKIP_1) | instid1(VALU_DEP_3)
	v_mad_u64_u32 v[5:6], null, 0xd2511f53, v0, 0
	v_add_co_u32 v33, null, 0xb54cda56, v11
	v_mad_u64_u32 v[7:8], null, 0xcd9e8d57, v3, 0
	v_add_co_u32 v34, null, 0x5384540f, v11
	s_delay_alu instid0(VALU_DEP_4)
	v_xor3_b32 v0, v27, v6, v4
	s_waitcnt lgkmcnt(0)
	v_div_scale_f32 v18, vcc_lo, 1.0, s14, 1.0
	s_clause 0x2
	s_load_b64 s[4:5], s[0:1], 0x0
	s_load_b64 s[6:7], s[0:1], 0x1a0
	;; [unrolled: 1-line block ×3, first 2 shown]
	v_xor3_b32 v4, v8, v28, v2
	v_mad_u64_u32 v[2:3], null, 0xcd9e8d57, v0, 0
	s_load_b32 s0, s[10:11], 0x0
	v_add_co_u32 v37, null, 0xf1bbcdc8, v11
	s_delay_alu instid0(VALU_DEP_3) | instskip(SKIP_1) | instid1(VALU_DEP_4)
	v_mad_u64_u32 v[8:9], null, 0xd2511f53, v4, 0
	v_and_b32_e32 v39, 3, v1
	v_xor3_b32 v0, v29, v3, v7
	v_add_nc_u32_e32 v41, 0x96a522ad, v12
	s_mov_b32 s11, 0
	v_add_nc_u32_e32 v40, 0x8ff34781, v11
	v_xor3_b32 v7, v9, v30, v5
	v_mad_u64_u32 v[3:4], null, 0xd2511f53, v0, 0
	v_div_scale_f32 v0, null, s14, s14, 1.0
	s_delay_alu instid0(VALU_DEP_3) | instskip(NEXT) | instid1(VALU_DEP_2)
	v_mad_u64_u32 v[5:6], null, 0xcd9e8d57, v7, 0
	v_rcp_f32_e32 v17, v0
	s_delay_alu instid0(VALU_DEP_3) | instskip(SKIP_2) | instid1(SALU_CYCLE_1)
	v_xor3_b32 v4, v31, v4, v8
	s_waitcnt lgkmcnt(0)
	s_mul_i32 s0, s0, s12
	s_lshl_b32 s10, s0, 2
	s_delay_alu instid0(VALU_DEP_2) | instskip(SKIP_2) | instid1(VALU_DEP_2)
	v_xor3_b32 v2, v6, v32, v2
	v_mad_u64_u32 v[6:7], null, 0xcd9e8d57, v4, 0
	s_lshl_b64 s[12:13], s[10:11], 1
	v_mad_u64_u32 v[8:9], null, 0xd2511f53, v2, 0
	s_waitcnt_depctr 0xfff
	v_fma_f32 v2, -v0, v17, 1.0
	v_xor3_b32 v4, v33, v7, v5
	s_delay_alu instid0(VALU_DEP_2) | instskip(SKIP_3) | instid1(VALU_DEP_3)
	v_fmac_f32_e32 v17, v2, v17
	v_add_co_u32 v35, null, 0x646e171e, v10
	v_add_co_u32 v36, null, 0x1fd5c5a3, v10
	;; [unrolled: 1-line block ×3, first 2 shown]
	v_xor3_b32 v7, v9, v35, v3
	v_mad_u64_u32 v[2:3], null, 0xd2511f53, v4, 0
	v_mul_f32_e32 v9, v18, v17
	s_delay_alu instid0(VALU_DEP_3) | instskip(NEXT) | instid1(VALU_DEP_2)
	v_mad_u64_u32 v[4:5], null, 0xcd9e8d57, v7, 0
	v_fma_f32 v20, -v0, v9, v18
	s_delay_alu instid0(VALU_DEP_4) | instskip(NEXT) | instid1(VALU_DEP_3)
	v_xor3_b32 v3, v36, v3, v8
	v_xor3_b32 v19, v5, v34, v6
	s_delay_alu instid0(VALU_DEP_2) | instskip(NEXT) | instid1(VALU_DEP_4)
	v_mad_u64_u32 v[5:6], null, 0xcd9e8d57, v3, 0
	v_fmac_f32_e32 v9, v20, v17
	s_delay_alu instid0(VALU_DEP_3) | instskip(NEXT) | instid1(VALU_DEP_2)
	v_mad_u64_u32 v[7:8], null, 0xd2511f53, v19, 0
	v_fma_f32 v0, -v0, v9, v18
	s_delay_alu instid0(VALU_DEP_4) | instskip(NEXT) | instid1(VALU_DEP_3)
	v_xor3_b32 v6, v37, v6, v4
	v_xor3_b32 v8, v8, v38, v2
	s_delay_alu instid0(VALU_DEP_2) | instskip(NEXT) | instid1(VALU_DEP_4)
	v_mad_u64_u32 v[3:4], null, 0xd2511f53, v6, 0
	v_div_fmas_f32 v0, v0, v17, v9
	v_lshlrev_b64 v[17:18], 3, v[13:14]
	s_delay_alu instid0(VALU_DEP_4) | instskip(NEXT) | instid1(VALU_DEP_3)
	v_mad_u64_u32 v[1:2], null, 0xcd9e8d57, v8, 0
	v_div_fixup_f32 v42, v0, s14, 1.0
	s_delay_alu instid0(VALU_DEP_2)
	v_xor3_b32 v0, v5, v2, v40
	v_xor3_b32 v2, v4, v7, v41
	s_branch .LBB44_6
.LBB44_4:                               ;   in Loop: Header=BB44_6 Depth=1
	s_or_b32 exec_lo, exec_lo, s1
.LBB44_5:                               ;   in Loop: Header=BB44_6 Depth=1
	s_delay_alu instid0(SALU_CYCLE_1)
	s_or_b32 exec_lo, exec_lo, s0
	v_add_co_u32 v7, vcc_lo, s4, v17
	v_add_co_ci_u32_e32 v8, vcc_lo, s5, v18, vcc_lo
	v_cvt_f32_u32_e32 v0, v0
	v_cvt_f32_u32_e32 v1, v1
	;; [unrolled: 1-line block ×3, first 2 shown]
	global_load_b64 v[8:9], v[7:8], off
	v_dual_mov_b32 v7, v19 :: v_dual_fmaak_f32 v0, 0x2f800000, v0, 0x2f800000
	v_add_co_u32 v19, vcc_lo, s6, v17
	v_add_co_ci_u32_e32 v20, vcc_lo, s7, v18, vcc_lo
	v_add_co_u32 v43, vcc_lo, s8, v15
	v_cvt_f32_u32_e32 v3, v3
	v_dual_fmaak_f32 v1, 0x2f800000, v1, 0x2f800000 :: v_dual_fmaak_f32 v2, 0x2f800000, v2, 0x2f800000
	v_cmp_gt_f32_e64 s0, s14, v0
	v_add_co_ci_u32_e32 v44, vcc_lo, s9, v16, vcc_lo
	v_add_co_u32 v15, vcc_lo, v15, s10
	v_add_co_ci_u32_e32 v16, vcc_lo, 0, v16, vcc_lo
	v_cmp_gt_f32_e32 vcc_lo, s14, v1
	v_cndmask_b32_e64 v0, 0, 1.0, s0
	v_fmaak_f32 v3, 0x2f800000, v3, 0x2f800000
	v_cndmask_b32_e64 v45, 0, 1, s0
	s_add_u32 s4, s4, s12
	v_cndmask_b32_e64 v1, 0, 1.0, vcc_lo
	s_addc_u32 s5, s5, s13
	v_cmp_gt_f32_e64 s1, s14, v3
	v_cndmask_b32_e64 v3, 0, 1, vcc_lo
	v_cmp_gt_f32_e32 vcc_lo, s14, v2
	s_add_u32 s6, s6, s12
	s_addc_u32 s7, s7, s13
	v_cndmask_b32_e64 v2, 0, 1, s1
	v_lshlrev_b16 v3, 8, v3
	v_cndmask_b32_e64 v46, 0, 1.0, vcc_lo
	v_cndmask_b32_e64 v47, 0, 1, vcc_lo
	v_cndmask_b32_e64 v10, 0, 1.0, s1
	v_lshlrev_b16 v2, 8, v2
	v_or_b32_e32 v3, v45, v3
	v_cmp_le_u64_e32 vcc_lo, s[2:3], v[15:16]
	s_delay_alu instid0(VALU_DEP_3) | instskip(SKIP_1) | instid1(VALU_DEP_1)
	v_or_b32_e32 v2, v47, v2
	s_or_b32 s11, vcc_lo, s11
	v_lshlrev_b32_e32 v2, 16, v2
	s_waitcnt vmcnt(0)
	v_cvt_f32_f16_e32 v45, v8
	v_cvt_f32_f16_e32 v48, v9
	v_lshrrev_b32_e32 v9, 16, v9
	v_lshrrev_b32_e32 v8, 16, v8
	s_delay_alu instid0(VALU_DEP_3) | instskip(NEXT) | instid1(VALU_DEP_3)
	v_dual_mul_f32 v0, v0, v45 :: v_dual_mul_f32 v45, v46, v48
	v_cvt_f32_f16_e32 v46, v9
	s_delay_alu instid0(VALU_DEP_3) | instskip(SKIP_1) | instid1(VALU_DEP_4)
	v_cvt_f32_f16_e32 v47, v8
	v_and_b32_e32 v3, 0xffff, v3
	v_fma_mixlo_f16 v8, v42, v0, 0
	v_fma_mixlo_f16 v9, v42, v45, 0
	s_delay_alu instid0(VALU_DEP_4) | instskip(NEXT) | instid1(VALU_DEP_4)
	v_dual_mul_f32 v0, v10, v46 :: v_dual_mul_f32 v1, v1, v47
	v_or_b32_e32 v10, v3, v2
	s_delay_alu instid0(VALU_DEP_2) | instskip(NEXT) | instid1(VALU_DEP_3)
	v_fma_mixhi_f16 v9, v42, v0, 0
	v_fma_mixhi_f16 v8, v42, v1, 0
	v_dual_mov_b32 v0, v4 :: v_dual_mov_b32 v1, v5
	v_dual_mov_b32 v2, v6 :: v_dual_mov_b32 v3, v7
	global_store_b64 v[19:20], v[8:9], off
	global_store_b32 v[43:44], v10, off
	s_waitcnt_vscnt null, 0x0
	s_barrier
	buffer_gl0_inv
	s_and_not1_b32 exec_lo, exec_lo, s11
	s_cbranch_execz .LBB44_15
.LBB44_6:                               ; =>This Inner Loop Header: Depth=1
	v_add_co_u32 v21, vcc_lo, v21, 1
	s_delay_alu instid0(VALU_DEP_1) | instskip(SKIP_2) | instid1(VALU_DEP_1)
	v_cndmask_b32_e64 v4, 0, 1, vcc_lo
	v_add_co_ci_u32_e32 v22, vcc_lo, 0, v22, vcc_lo
	s_mov_b32 s0, exec_lo
	v_cmp_eq_u32_e32 vcc_lo, 0, v22
	s_delay_alu instid0(VALU_DEP_3) | instskip(NEXT) | instid1(VALU_DEP_1)
	v_cndmask_b32_e32 v4, 0, v4, vcc_lo
	v_add_nc_u32_e32 v13, v4, v13
	s_delay_alu instid0(VALU_DEP_1) | instskip(SKIP_2) | instid1(VALU_DEP_2)
	v_cmp_eq_u32_e32 vcc_lo, 0, v13
	v_cndmask_b32_e32 v4, 0, v4, vcc_lo
	v_mad_u64_u32 v[6:7], null, 0xcd9e8d57, v13, 0
	v_add_nc_u32_e32 v14, v4, v14
	v_mad_u64_u32 v[4:5], null, 0xd2511f53, v21, 0
	s_delay_alu instid0(VALU_DEP_3) | instskip(NEXT) | instid1(VALU_DEP_2)
	v_xor3_b32 v9, v7, v11, v22
	v_xor_b32_e32 v5, v5, v12
	s_delay_alu instid0(VALU_DEP_2) | instskip(NEXT) | instid1(VALU_DEP_2)
	v_mad_u64_u32 v[7:8], null, 0xd2511f53, v9, 0
	v_xor_b32_e32 v5, v14, v5
	s_delay_alu instid0(VALU_DEP_2) | instskip(NEXT) | instid1(VALU_DEP_2)
	v_xor3_b32 v8, v23, v8, v4
	v_mad_u64_u32 v[9:10], null, 0xcd9e8d57, v5, 0
	s_delay_alu instid0(VALU_DEP_2) | instskip(NEXT) | instid1(VALU_DEP_2)
	v_mad_u64_u32 v[4:5], null, 0xcd9e8d57, v8, 0
	v_xor3_b32 v6, v24, v10, v6
	s_delay_alu instid0(VALU_DEP_2) | instskip(NEXT) | instid1(VALU_DEP_2)
	v_xor3_b32 v8, v25, v5, v9
	v_mad_u64_u32 v[19:20], null, 0xd2511f53, v6, 0
	s_delay_alu instid0(VALU_DEP_2) | instskip(NEXT) | instid1(VALU_DEP_2)
	v_mad_u64_u32 v[5:6], null, 0xd2511f53, v8, 0
	v_xor3_b32 v9, v26, v20, v7
	s_delay_alu instid0(VALU_DEP_2) | instskip(NEXT) | instid1(VALU_DEP_2)
	v_xor3_b32 v6, v27, v6, v19
	v_mad_u64_u32 v[7:8], null, 0xcd9e8d57, v9, 0
	s_delay_alu instid0(VALU_DEP_1) | instskip(NEXT) | instid1(VALU_DEP_3)
	v_xor3_b32 v4, v28, v8, v4
	v_mad_u64_u32 v[8:9], null, 0xcd9e8d57, v6, 0
	s_delay_alu instid0(VALU_DEP_2) | instskip(NEXT) | instid1(VALU_DEP_2)
	v_mad_u64_u32 v[19:20], null, 0xd2511f53, v4, 0
	v_xor3_b32 v6, v29, v9, v7
	s_delay_alu instid0(VALU_DEP_2) | instskip(NEXT) | instid1(VALU_DEP_2)
	v_xor3_b32 v9, v30, v20, v5
	v_mad_u64_u32 v[4:5], null, 0xd2511f53, v6, 0
	s_delay_alu instid0(VALU_DEP_2) | instskip(NEXT) | instid1(VALU_DEP_2)
	v_mad_u64_u32 v[6:7], null, 0xcd9e8d57, v9, 0
	v_xor3_b32 v5, v31, v5, v19
	s_delay_alu instid0(VALU_DEP_2) | instskip(NEXT) | instid1(VALU_DEP_2)
	;; [unrolled: 6-line block ×6, first 2 shown]
	v_xor3_b32 v4, v6, v7, v40
	v_mov_b32_e32 v6, v10
	v_cmpx_lt_i32_e32 1, v39
	s_xor_b32 s0, exec_lo, s0
	s_cbranch_execz .LBB44_12
; %bb.7:                                ;   in Loop: Header=BB44_6 Depth=1
	s_mov_b32 s1, exec_lo
	v_cmpx_lt_i32_e32 2, v39
	s_xor_b32 s1, exec_lo, s1
; %bb.8:                                ;   in Loop: Header=BB44_6 Depth=1
	v_dual_mov_b32 v7, v3 :: v_dual_mov_b32 v8, v4
	v_mov_b32_e32 v9, v5
	s_delay_alu instid0(VALU_DEP_2) | instskip(NEXT) | instid1(VALU_DEP_2)
	v_dual_mov_b32 v0, v7 :: v_dual_mov_b32 v1, v8
	v_dual_mov_b32 v2, v9 :: v_dual_mov_b32 v3, v10
; %bb.9:                                ;   in Loop: Header=BB44_6 Depth=1
	s_and_not1_saveexec_b32 s1, s1
; %bb.10:                               ;   in Loop: Header=BB44_6 Depth=1
	s_delay_alu instid0(VALU_DEP_1)
	v_dual_mov_b32 v0, v2 :: v_dual_mov_b32 v1, v3
	v_dual_mov_b32 v2, v4 :: v_dual_mov_b32 v3, v5
; %bb.11:                               ;   in Loop: Header=BB44_6 Depth=1
	s_or_b32 exec_lo, exec_lo, s1
.LBB44_12:                              ;   in Loop: Header=BB44_6 Depth=1
	s_and_not1_saveexec_b32 s0, s0
	s_cbranch_execz .LBB44_5
; %bb.13:                               ;   in Loop: Header=BB44_6 Depth=1
	s_mov_b32 s1, exec_lo
	v_cmpx_eq_u32_e32 1, v39
	s_cbranch_execz .LBB44_4
; %bb.14:                               ;   in Loop: Header=BB44_6 Depth=1
	v_dual_mov_b32 v0, v1 :: v_dual_mov_b32 v1, v2
	v_dual_mov_b32 v2, v3 :: v_dual_mov_b32 v3, v4
	s_branch .LBB44_4
.LBB44_15:
	s_endpgm
	.section	.rodata,"a",@progbits
	.p2align	6, 0x0
	.amdhsa_kernel _ZN2at6native12_GLOBAL__N_124fused_dropout_kernel_vecIN3c104HalfEfmLi1ELi4EbEEvNS_4cuda6detail10TensorInfoIKT_T1_EENS7_IS8_SA_EENS7_IT4_SA_EESA_T0_NS_15PhiloxCudaStateE
		.amdhsa_group_segment_fixed_size 0
		.amdhsa_private_segment_fixed_size 0
		.amdhsa_kernarg_size 1552
		.amdhsa_user_sgpr_count 15
		.amdhsa_user_sgpr_dispatch_ptr 0
		.amdhsa_user_sgpr_queue_ptr 0
		.amdhsa_user_sgpr_kernarg_segment_ptr 1
		.amdhsa_user_sgpr_dispatch_id 0
		.amdhsa_user_sgpr_private_segment_size 0
		.amdhsa_wavefront_size32 1
		.amdhsa_uses_dynamic_stack 0
		.amdhsa_enable_private_segment 0
		.amdhsa_system_sgpr_workgroup_id_x 1
		.amdhsa_system_sgpr_workgroup_id_y 0
		.amdhsa_system_sgpr_workgroup_id_z 0
		.amdhsa_system_sgpr_workgroup_info 0
		.amdhsa_system_vgpr_workitem_id 0
		.amdhsa_next_free_vgpr 49
		.amdhsa_next_free_sgpr 16
		.amdhsa_reserve_vcc 1
		.amdhsa_float_round_mode_32 0
		.amdhsa_float_round_mode_16_64 0
		.amdhsa_float_denorm_mode_32 3
		.amdhsa_float_denorm_mode_16_64 3
		.amdhsa_dx10_clamp 1
		.amdhsa_ieee_mode 1
		.amdhsa_fp16_overflow 0
		.amdhsa_workgroup_processor_mode 1
		.amdhsa_memory_ordered 1
		.amdhsa_forward_progress 0
		.amdhsa_shared_vgpr_count 0
		.amdhsa_exception_fp_ieee_invalid_op 0
		.amdhsa_exception_fp_denorm_src 0
		.amdhsa_exception_fp_ieee_div_zero 0
		.amdhsa_exception_fp_ieee_overflow 0
		.amdhsa_exception_fp_ieee_underflow 0
		.amdhsa_exception_fp_ieee_inexact 0
		.amdhsa_exception_int_div_zero 0
	.end_amdhsa_kernel
	.section	.text._ZN2at6native12_GLOBAL__N_124fused_dropout_kernel_vecIN3c104HalfEfmLi1ELi4EbEEvNS_4cuda6detail10TensorInfoIKT_T1_EENS7_IS8_SA_EENS7_IT4_SA_EESA_T0_NS_15PhiloxCudaStateE,"axG",@progbits,_ZN2at6native12_GLOBAL__N_124fused_dropout_kernel_vecIN3c104HalfEfmLi1ELi4EbEEvNS_4cuda6detail10TensorInfoIKT_T1_EENS7_IS8_SA_EENS7_IT4_SA_EESA_T0_NS_15PhiloxCudaStateE,comdat
.Lfunc_end44:
	.size	_ZN2at6native12_GLOBAL__N_124fused_dropout_kernel_vecIN3c104HalfEfmLi1ELi4EbEEvNS_4cuda6detail10TensorInfoIKT_T1_EENS7_IS8_SA_EENS7_IT4_SA_EESA_T0_NS_15PhiloxCudaStateE, .Lfunc_end44-_ZN2at6native12_GLOBAL__N_124fused_dropout_kernel_vecIN3c104HalfEfmLi1ELi4EbEEvNS_4cuda6detail10TensorInfoIKT_T1_EENS7_IS8_SA_EENS7_IT4_SA_EESA_T0_NS_15PhiloxCudaStateE
                                        ; -- End function
	.section	.AMDGPU.csdata,"",@progbits
; Kernel info:
; codeLenInByte = 2140
; NumSgprs: 18
; NumVgprs: 49
; ScratchSize: 0
; MemoryBound: 0
; FloatMode: 240
; IeeeMode: 1
; LDSByteSize: 0 bytes/workgroup (compile time only)
; SGPRBlocks: 2
; VGPRBlocks: 6
; NumSGPRsForWavesPerEU: 18
; NumVGPRsForWavesPerEU: 49
; Occupancy: 16
; WaveLimiterHint : 1
; COMPUTE_PGM_RSRC2:SCRATCH_EN: 0
; COMPUTE_PGM_RSRC2:USER_SGPR: 15
; COMPUTE_PGM_RSRC2:TRAP_HANDLER: 0
; COMPUTE_PGM_RSRC2:TGID_X_EN: 1
; COMPUTE_PGM_RSRC2:TGID_Y_EN: 0
; COMPUTE_PGM_RSRC2:TGID_Z_EN: 0
; COMPUTE_PGM_RSRC2:TIDIG_COMP_CNT: 0
	.section	.text._ZN2at6native12_GLOBAL__N_124fused_dropout_kernel_vecIN3c104HalfEfmLi1ELi2EbEEvNS_4cuda6detail10TensorInfoIKT_T1_EENS7_IS8_SA_EENS7_IT4_SA_EESA_T0_NS_15PhiloxCudaStateE,"axG",@progbits,_ZN2at6native12_GLOBAL__N_124fused_dropout_kernel_vecIN3c104HalfEfmLi1ELi2EbEEvNS_4cuda6detail10TensorInfoIKT_T1_EENS7_IS8_SA_EENS7_IT4_SA_EESA_T0_NS_15PhiloxCudaStateE,comdat
	.globl	_ZN2at6native12_GLOBAL__N_124fused_dropout_kernel_vecIN3c104HalfEfmLi1ELi2EbEEvNS_4cuda6detail10TensorInfoIKT_T1_EENS7_IS8_SA_EENS7_IT4_SA_EESA_T0_NS_15PhiloxCudaStateE ; -- Begin function _ZN2at6native12_GLOBAL__N_124fused_dropout_kernel_vecIN3c104HalfEfmLi1ELi2EbEEvNS_4cuda6detail10TensorInfoIKT_T1_EENS7_IS8_SA_EENS7_IT4_SA_EESA_T0_NS_15PhiloxCudaStateE
	.p2align	8
	.type	_ZN2at6native12_GLOBAL__N_124fused_dropout_kernel_vecIN3c104HalfEfmLi1ELi2EbEEvNS_4cuda6detail10TensorInfoIKT_T1_EENS7_IS8_SA_EENS7_IT4_SA_EESA_T0_NS_15PhiloxCudaStateE,@function
_ZN2at6native12_GLOBAL__N_124fused_dropout_kernel_vecIN3c104HalfEfmLi1ELi2EbEEvNS_4cuda6detail10TensorInfoIKT_T1_EENS7_IS8_SA_EENS7_IT4_SA_EESA_T0_NS_15PhiloxCudaStateE: ; @_ZN2at6native12_GLOBAL__N_124fused_dropout_kernel_vecIN3c104HalfEfmLi1ELi2EbEEvNS_4cuda6detail10TensorInfoIKT_T1_EENS7_IS8_SA_EENS7_IT4_SA_EESA_T0_NS_15PhiloxCudaStateE
; %bb.0:
	s_clause 0x1
	s_load_b128 s[4:7], s[0:1], 0x4f0
	s_load_b32 s2, s[0:1], 0x508
	s_waitcnt lgkmcnt(0)
	v_dual_mov_b32 v1, s6 :: v_dual_mov_b32 v2, s7
	v_dual_mov_b32 v9, s5 :: v_dual_mov_b32 v8, s4
	s_bitcmp0_b32 s2, 0
	s_cbranch_scc1 .LBB45_2
; %bb.1:
	v_dual_mov_b32 v1, s6 :: v_dual_mov_b32 v2, s7
	v_dual_mov_b32 v3, s4 :: v_dual_mov_b32 v4, s5
	s_load_b64 s[2:3], s[0:1], 0x500
	flat_load_b64 v[1:2], v[1:2]
	flat_load_b64 v[8:9], v[3:4]
	s_waitcnt vmcnt(1) lgkmcnt(0)
	v_add_co_u32 v1, vcc_lo, v1, s2
	v_add_co_ci_u32_e32 v2, vcc_lo, s3, v2, vcc_lo
.LBB45_2:
	s_clause 0x1
	s_load_b32 s4, s[0:1], 0x51c
	s_load_b64 s[2:3], s[0:1], 0x4e0
	s_add_u32 s10, s0, 0x510
	s_addc_u32 s11, s1, 0
	s_waitcnt lgkmcnt(0)
	s_and_b32 s12, s4, 0xffff
	s_mov_b32 s4, exec_lo
	v_mad_u64_u32 v[10:11], null, s15, s12, v[0:1]
	v_mov_b32_e32 v11, 0
	s_delay_alu instid0(VALU_DEP_1) | instskip(NEXT) | instid1(VALU_DEP_1)
	v_lshlrev_b64 v[12:13], 1, v[10:11]
	v_cmpx_gt_u64_e64 s[2:3], v[12:13]
	s_cbranch_execz .LBB45_15
; %bb.3:
	v_alignbit_b32 v18, v2, v1, 2
	v_mad_u64_u32 v[3:4], null, 0xcd9e8d57, v10, 0
	v_lshrrev_b32_e32 v19, 2, v2
	s_waitcnt vmcnt(0)
	v_mov_b32_e32 v16, v9
	v_mad_u64_u32 v[5:6], null, 0xd2511f53, v18, 0
	v_add_co_u32 v21, null, 0x9e3779b9, v8
	v_xor3_b32 v0, v8, v4, v19
	s_delay_alu instid0(VALU_DEP_4) | instskip(SKIP_2) | instid1(VALU_DEP_4)
	v_add_co_u32 v20, null, 0xbb67ae85, v16
	v_add_co_u32 v22, null, 0x3c6ef372, v8
	v_xor_b32_e32 v2, v6, v9
	v_mad_u64_u32 v[6:7], null, 0xd2511f53, v0, 0
	v_add_co_u32 v23, null, 0x76cf5d0a, v16
	s_delay_alu instid0(VALU_DEP_3) | instskip(SKIP_1) | instid1(VALU_DEP_4)
	v_mad_u64_u32 v[14:15], null, 0xcd9e8d57, v2, 0
	v_add_co_u32 v24, null, 0x32370b8f, v16
	v_xor3_b32 v0, v20, v7, v5
	v_add_co_u32 v25, null, 0xdaa66d2b, v8
	s_load_b32 s14, s[0:1], 0x4e8
	s_delay_alu instid0(VALU_DEP_4) | instskip(NEXT) | instid1(VALU_DEP_3)
	v_xor3_b32 v7, v15, v21, v3
	v_mad_u64_u32 v[2:3], null, 0xcd9e8d57, v0, 0
	v_add_co_u32 v26, null, 0x78dde6e4, v8
	s_delay_alu instid0(VALU_DEP_3) | instskip(SKIP_1) | instid1(VALU_DEP_4)
	v_mad_u64_u32 v[4:5], null, 0xd2511f53, v7, 0
	v_add_co_u32 v27, null, 0xed9eba14, v16
	v_xor3_b32 v0, v22, v3, v14
	v_add_co_u32 v28, null, 0xa9066899, v16
	v_add_co_u32 v29, null, 0x1715609d, v8
	v_xor3_b32 v3, v5, v23, v6
	s_delay_alu instid0(VALU_DEP_4) | instskip(SKIP_1) | instid1(VALU_DEP_3)
	v_mad_u64_u32 v[5:6], null, 0xd2511f53, v0, 0
	v_add_co_u32 v30, null, 0xb54cda56, v8
	v_mad_u64_u32 v[14:15], null, 0xcd9e8d57, v3, 0
	v_add_co_u32 v31, null, 0x5384540f, v8
	s_delay_alu instid0(VALU_DEP_4)
	v_xor3_b32 v0, v24, v6, v4
	s_waitcnt lgkmcnt(0)
	v_div_scale_f32 v17, vcc_lo, 1.0, s14, 1.0
	s_clause 0x2
	s_load_b64 s[4:5], s[0:1], 0x0
	s_load_b64 s[6:7], s[0:1], 0x1a0
	;; [unrolled: 1-line block ×3, first 2 shown]
	v_xor3_b32 v4, v15, v25, v2
	v_mad_u64_u32 v[2:3], null, 0xcd9e8d57, v0, 0
	s_load_b32 s0, s[10:11], 0x0
	v_add_co_u32 v34, null, 0xf1bbcdc8, v8
	s_delay_alu instid0(VALU_DEP_3) | instskip(SKIP_1) | instid1(VALU_DEP_3)
	v_mad_u64_u32 v[6:7], null, 0xd2511f53, v4, 0
	s_mov_b32 s11, 0
	v_xor3_b32 v0, v26, v3, v14
	s_delay_alu instid0(VALU_DEP_2) | instskip(NEXT) | instid1(VALU_DEP_2)
	v_xor3_b32 v5, v7, v27, v5
	v_mad_u64_u32 v[3:4], null, 0xd2511f53, v0, 0
	v_div_scale_f32 v0, null, s14, s14, 1.0
	s_delay_alu instid0(VALU_DEP_3) | instskip(NEXT) | instid1(VALU_DEP_2)
	v_mad_u64_u32 v[14:15], null, 0xcd9e8d57, v5, 0
	v_rcp_f32_e32 v37, v0
	s_delay_alu instid0(VALU_DEP_3) | instskip(SKIP_2) | instid1(SALU_CYCLE_1)
	v_xor3_b32 v6, v28, v4, v6
	s_waitcnt lgkmcnt(0)
	s_mul_i32 s0, s0, s12
	s_lshl_b32 s10, s0, 1
	s_delay_alu instid0(VALU_DEP_2) | instskip(SKIP_2) | instid1(VALU_DEP_2)
	v_xor3_b32 v2, v15, v29, v2
	v_mad_u64_u32 v[4:5], null, 0xcd9e8d57, v6, 0
	s_lshl_b64 s[12:13], s[10:11], 1
	v_mad_u64_u32 v[6:7], null, 0xd2511f53, v2, 0
	s_waitcnt_depctr 0xfff
	v_fma_f32 v2, -v0, v37, 1.0
	v_xor3_b32 v5, v30, v5, v14
	s_delay_alu instid0(VALU_DEP_2) | instskip(SKIP_2) | instid1(VALU_DEP_3)
	v_fmac_f32_e32 v37, v2, v37
	v_add_co_u32 v32, null, 0x646e171e, v16
	v_add_co_u32 v33, null, 0x1fd5c5a3, v16
	v_mul_f32_e32 v38, v17, v37
	s_delay_alu instid0(VALU_DEP_3) | instskip(SKIP_2) | instid1(VALU_DEP_3)
	v_xor3_b32 v7, v7, v32, v3
	v_mad_u64_u32 v[2:3], null, 0xd2511f53, v5, 0
	v_add_co_u32 v35, null, 0xdb3d7428, v16
	v_mad_u64_u32 v[14:15], null, 0xcd9e8d57, v7, 0
	v_fma_f32 v36, -v0, v38, v17
	s_delay_alu instid0(VALU_DEP_4) | instskip(NEXT) | instid1(VALU_DEP_2)
	v_xor3_b32 v3, v33, v3, v6
	v_fmac_f32_e32 v38, v36, v37
	s_delay_alu instid0(VALU_DEP_4) | instskip(NEXT) | instid1(VALU_DEP_3)
	v_xor3_b32 v15, v15, v31, v4
	v_mad_u64_u32 v[4:5], null, 0xcd9e8d57, v3, 0
	s_delay_alu instid0(VALU_DEP_3) | instskip(NEXT) | instid1(VALU_DEP_3)
	v_fma_f32 v0, -v0, v38, v17
	v_mad_u64_u32 v[6:7], null, 0xd2511f53, v15, 0
	s_delay_alu instid0(VALU_DEP_3) | instskip(SKIP_1) | instid1(VALU_DEP_4)
	v_xor3_b32 v3, v34, v5, v14
	v_lshlrev_b64 v[14:15], 2, v[10:11]
	v_div_fmas_f32 v0, v0, v37, v38
	v_add_nc_u32_e32 v37, 0x8ff34781, v8
	v_xor3_b32 v5, v7, v35, v2
	v_mad_u64_u32 v[16:17], null, 0xd2511f53, v3, 0
	v_and_b32_e32 v36, 3, v1
	v_add_nc_u32_e32 v38, 0x96a522ad, v9
	s_delay_alu instid0(VALU_DEP_4) | instskip(SKIP_3) | instid1(VALU_DEP_4)
	v_mad_u64_u32 v[1:2], null, 0xcd9e8d57, v5, 0
	v_div_fixup_f32 v39, v0, s14, 1.0
	v_or_b32_e32 v14, 2, v14
	v_mov_b32_e32 v3, v16
	v_xor3_b32 v0, v4, v2, v37
	v_xor3_b32 v2, v17, v6, v38
	s_branch .LBB45_6
.LBB45_4:                               ;   in Loop: Header=BB45_6 Depth=1
	s_or_b32 exec_lo, exec_lo, s1
.LBB45_5:                               ;   in Loop: Header=BB45_6 Depth=1
	s_delay_alu instid0(SALU_CYCLE_1)
	s_or_b32 exec_lo, exec_lo, s0
	v_add_co_u32 v2, vcc_lo, s4, v14
	v_add_co_ci_u32_e32 v3, vcc_lo, s5, v15, vcc_lo
	v_cvt_f32_u32_e32 v0, v0
	v_cvt_f32_u32_e32 v1, v1
	global_load_b32 v2, v[2:3], off offset:-2
	v_dual_fmaak_f32 v0, 0x2f800000, v0, 0x2f800000 :: v_dual_fmaak_f32 v1, 0x2f800000, v1, 0x2f800000
	s_delay_alu instid0(VALU_DEP_1) | instskip(NEXT) | instid1(VALU_DEP_2)
	v_cmp_gt_f32_e32 vcc_lo, s14, v0
	v_cmp_gt_f32_e64 s0, s14, v1
	v_cndmask_b32_e64 v0, 0, 1.0, vcc_lo
	s_delay_alu instid0(VALU_DEP_2) | instskip(SKIP_1) | instid1(VALU_DEP_1)
	v_cndmask_b32_e64 v3, 0, 1.0, s0
	v_cndmask_b32_e64 v40, 0, 1, s0
	v_lshlrev_b16 v42, 8, v40
	s_waitcnt vmcnt(0)
	v_lshrrev_b32_e32 v1, 16, v2
	v_cvt_f32_f16_e32 v2, v2
	s_delay_alu instid0(VALU_DEP_2) | instskip(SKIP_1) | instid1(VALU_DEP_3)
	v_cvt_f32_f16_e32 v1, v1
	v_mov_b32_e32 v7, v16
	v_mul_f32_e32 v0, v0, v2
	v_add_co_u32 v16, s1, s8, v12
	v_add_co_u32 v12, s0, v12, s10
	v_add_co_ci_u32_e64 v17, s1, s9, v13, s1
	v_add_co_ci_u32_e64 v13, s0, 0, v13, s0
	v_cndmask_b32_e64 v2, 0, 1, vcc_lo
	v_fma_mixlo_f16 v43, v39, v0, 0
	v_mul_f32_e32 v0, v3, v1
	v_add_co_u32 v40, vcc_lo, s6, v14
	v_add_co_ci_u32_e32 v41, vcc_lo, s7, v15, vcc_lo
	v_cmp_le_u64_e32 vcc_lo, s[2:3], v[12:13]
	v_add_co_u32 v14, s0, v14, s12
	v_or_b32_e32 v42, v2, v42
	v_fma_mixhi_f16 v43, v39, v0, 0
	v_dual_mov_b32 v0, v4 :: v_dual_mov_b32 v3, v7
	v_add_co_ci_u32_e64 v15, s0, s13, v15, s0
	v_dual_mov_b32 v1, v5 :: v_dual_mov_b32 v2, v6
	s_or_b32 s11, vcc_lo, s11
	global_store_b32 v[40:41], v43, off offset:-2
	global_store_b16 v[16:17], v42, off
	s_waitcnt_vscnt null, 0x0
	s_barrier
	buffer_gl0_inv
	s_and_not1_b32 exec_lo, exec_lo, s11
	s_cbranch_execz .LBB45_15
.LBB45_6:                               ; =>This Inner Loop Header: Depth=1
	v_add_co_u32 v18, vcc_lo, v18, 1
	s_delay_alu instid0(VALU_DEP_1) | instskip(SKIP_2) | instid1(VALU_DEP_1)
	v_cndmask_b32_e64 v4, 0, 1, vcc_lo
	v_add_co_ci_u32_e32 v19, vcc_lo, 0, v19, vcc_lo
	s_mov_b32 s0, exec_lo
	v_cmp_eq_u32_e32 vcc_lo, 0, v19
	s_delay_alu instid0(VALU_DEP_3) | instskip(NEXT) | instid1(VALU_DEP_1)
	v_cndmask_b32_e32 v4, 0, v4, vcc_lo
	v_add_nc_u32_e32 v10, v4, v10
	s_delay_alu instid0(VALU_DEP_1) | instskip(SKIP_2) | instid1(VALU_DEP_2)
	v_cmp_eq_u32_e32 vcc_lo, 0, v10
	v_mad_u64_u32 v[6:7], null, 0xcd9e8d57, v10, 0
	v_cndmask_b32_e32 v4, 0, v4, vcc_lo
	v_xor3_b32 v7, v7, v8, v19
	s_delay_alu instid0(VALU_DEP_2) | instskip(SKIP_1) | instid1(VALU_DEP_3)
	v_add_nc_u32_e32 v11, v4, v11
	v_mad_u64_u32 v[4:5], null, 0xd2511f53, v18, 0
	v_mad_u64_u32 v[40:41], null, 0xd2511f53, v7, 0
	s_delay_alu instid0(VALU_DEP_2) | instskip(NEXT) | instid1(VALU_DEP_1)
	v_xor_b32_e32 v5, v5, v9
	v_xor_b32_e32 v5, v11, v5
	s_delay_alu instid0(VALU_DEP_1) | instskip(NEXT) | instid1(VALU_DEP_1)
	v_mad_u64_u32 v[16:17], null, 0xcd9e8d57, v5, 0
	v_xor3_b32 v6, v21, v17, v6
	v_xor3_b32 v17, v20, v41, v4
	s_delay_alu instid0(VALU_DEP_2) | instskip(NEXT) | instid1(VALU_DEP_2)
	v_mad_u64_u32 v[4:5], null, 0xd2511f53, v6, 0
	v_mad_u64_u32 v[6:7], null, 0xcd9e8d57, v17, 0
	s_delay_alu instid0(VALU_DEP_2) | instskip(NEXT) | instid1(VALU_DEP_2)
	v_xor3_b32 v5, v23, v5, v40
	v_xor3_b32 v7, v22, v7, v16
	s_delay_alu instid0(VALU_DEP_2) | instskip(NEXT) | instid1(VALU_DEP_2)
	v_mad_u64_u32 v[16:17], null, 0xcd9e8d57, v5, 0
	v_mad_u64_u32 v[40:41], null, 0xd2511f53, v7, 0
	s_delay_alu instid0(VALU_DEP_2) | instskip(NEXT) | instid1(VALU_DEP_2)
	;; [unrolled: 6-line block ×8, first 2 shown]
	v_xor3_b32 v4, v6, v4, v37
	v_xor3_b32 v6, v17, v41, v38
	v_cmpx_lt_i32_e32 1, v36
	s_xor_b32 s0, exec_lo, s0
	s_cbranch_execz .LBB45_12
; %bb.7:                                ;   in Loop: Header=BB45_6 Depth=1
	s_mov_b32 s1, exec_lo
	v_cmpx_lt_i32_e32 2, v36
	s_xor_b32 s1, exec_lo, s1
; %bb.8:                                ;   in Loop: Header=BB45_6 Depth=1
	v_dual_mov_b32 v0, v3 :: v_dual_mov_b32 v1, v4
; %bb.9:                                ;   in Loop: Header=BB45_6 Depth=1
	s_and_not1_saveexec_b32 s1, s1
; %bb.10:                               ;   in Loop: Header=BB45_6 Depth=1
	v_dual_mov_b32 v0, v2 :: v_dual_mov_b32 v1, v3
; %bb.11:                               ;   in Loop: Header=BB45_6 Depth=1
	s_or_b32 exec_lo, exec_lo, s1
.LBB45_12:                              ;   in Loop: Header=BB45_6 Depth=1
	s_and_not1_saveexec_b32 s0, s0
	s_cbranch_execz .LBB45_5
; %bb.13:                               ;   in Loop: Header=BB45_6 Depth=1
	s_mov_b32 s1, exec_lo
	v_cmpx_eq_u32_e32 1, v36
	s_cbranch_execz .LBB45_4
; %bb.14:                               ;   in Loop: Header=BB45_6 Depth=1
	v_dual_mov_b32 v0, v1 :: v_dual_mov_b32 v1, v2
	s_branch .LBB45_4
.LBB45_15:
	s_endpgm
	.section	.rodata,"a",@progbits
	.p2align	6, 0x0
	.amdhsa_kernel _ZN2at6native12_GLOBAL__N_124fused_dropout_kernel_vecIN3c104HalfEfmLi1ELi2EbEEvNS_4cuda6detail10TensorInfoIKT_T1_EENS7_IS8_SA_EENS7_IT4_SA_EESA_T0_NS_15PhiloxCudaStateE
		.amdhsa_group_segment_fixed_size 0
		.amdhsa_private_segment_fixed_size 0
		.amdhsa_kernarg_size 1552
		.amdhsa_user_sgpr_count 15
		.amdhsa_user_sgpr_dispatch_ptr 0
		.amdhsa_user_sgpr_queue_ptr 0
		.amdhsa_user_sgpr_kernarg_segment_ptr 1
		.amdhsa_user_sgpr_dispatch_id 0
		.amdhsa_user_sgpr_private_segment_size 0
		.amdhsa_wavefront_size32 1
		.amdhsa_uses_dynamic_stack 0
		.amdhsa_enable_private_segment 0
		.amdhsa_system_sgpr_workgroup_id_x 1
		.amdhsa_system_sgpr_workgroup_id_y 0
		.amdhsa_system_sgpr_workgroup_id_z 0
		.amdhsa_system_sgpr_workgroup_info 0
		.amdhsa_system_vgpr_workitem_id 0
		.amdhsa_next_free_vgpr 44
		.amdhsa_next_free_sgpr 16
		.amdhsa_reserve_vcc 1
		.amdhsa_float_round_mode_32 0
		.amdhsa_float_round_mode_16_64 0
		.amdhsa_float_denorm_mode_32 3
		.amdhsa_float_denorm_mode_16_64 3
		.amdhsa_dx10_clamp 1
		.amdhsa_ieee_mode 1
		.amdhsa_fp16_overflow 0
		.amdhsa_workgroup_processor_mode 1
		.amdhsa_memory_ordered 1
		.amdhsa_forward_progress 0
		.amdhsa_shared_vgpr_count 0
		.amdhsa_exception_fp_ieee_invalid_op 0
		.amdhsa_exception_fp_denorm_src 0
		.amdhsa_exception_fp_ieee_div_zero 0
		.amdhsa_exception_fp_ieee_overflow 0
		.amdhsa_exception_fp_ieee_underflow 0
		.amdhsa_exception_fp_ieee_inexact 0
		.amdhsa_exception_int_div_zero 0
	.end_amdhsa_kernel
	.section	.text._ZN2at6native12_GLOBAL__N_124fused_dropout_kernel_vecIN3c104HalfEfmLi1ELi2EbEEvNS_4cuda6detail10TensorInfoIKT_T1_EENS7_IS8_SA_EENS7_IT4_SA_EESA_T0_NS_15PhiloxCudaStateE,"axG",@progbits,_ZN2at6native12_GLOBAL__N_124fused_dropout_kernel_vecIN3c104HalfEfmLi1ELi2EbEEvNS_4cuda6detail10TensorInfoIKT_T1_EENS7_IS8_SA_EENS7_IT4_SA_EESA_T0_NS_15PhiloxCudaStateE,comdat
.Lfunc_end45:
	.size	_ZN2at6native12_GLOBAL__N_124fused_dropout_kernel_vecIN3c104HalfEfmLi1ELi2EbEEvNS_4cuda6detail10TensorInfoIKT_T1_EENS7_IS8_SA_EENS7_IT4_SA_EESA_T0_NS_15PhiloxCudaStateE, .Lfunc_end45-_ZN2at6native12_GLOBAL__N_124fused_dropout_kernel_vecIN3c104HalfEfmLi1ELi2EbEEvNS_4cuda6detail10TensorInfoIKT_T1_EENS7_IS8_SA_EENS7_IT4_SA_EESA_T0_NS_15PhiloxCudaStateE
                                        ; -- End function
	.section	.AMDGPU.csdata,"",@progbits
; Kernel info:
; codeLenInByte = 1960
; NumSgprs: 18
; NumVgprs: 44
; ScratchSize: 0
; MemoryBound: 0
; FloatMode: 240
; IeeeMode: 1
; LDSByteSize: 0 bytes/workgroup (compile time only)
; SGPRBlocks: 2
; VGPRBlocks: 5
; NumSGPRsForWavesPerEU: 18
; NumVGPRsForWavesPerEU: 44
; Occupancy: 16
; WaveLimiterHint : 1
; COMPUTE_PGM_RSRC2:SCRATCH_EN: 0
; COMPUTE_PGM_RSRC2:USER_SGPR: 15
; COMPUTE_PGM_RSRC2:TRAP_HANDLER: 0
; COMPUTE_PGM_RSRC2:TGID_X_EN: 1
; COMPUTE_PGM_RSRC2:TGID_Y_EN: 0
; COMPUTE_PGM_RSRC2:TGID_Z_EN: 0
; COMPUTE_PGM_RSRC2:TIDIG_COMP_CNT: 0
	.section	.text._ZN2at6native12_GLOBAL__N_120fused_dropout_kernelIN3c104HalfEfmLi1ELi1EbEEvNS_4cuda6detail10TensorInfoIKT_T1_EENS7_IS8_SA_EENS7_IT4_SA_EESA_T0_NS_15PhiloxCudaStateE,"axG",@progbits,_ZN2at6native12_GLOBAL__N_120fused_dropout_kernelIN3c104HalfEfmLi1ELi1EbEEvNS_4cuda6detail10TensorInfoIKT_T1_EENS7_IS8_SA_EENS7_IT4_SA_EESA_T0_NS_15PhiloxCudaStateE,comdat
	.globl	_ZN2at6native12_GLOBAL__N_120fused_dropout_kernelIN3c104HalfEfmLi1ELi1EbEEvNS_4cuda6detail10TensorInfoIKT_T1_EENS7_IS8_SA_EENS7_IT4_SA_EESA_T0_NS_15PhiloxCudaStateE ; -- Begin function _ZN2at6native12_GLOBAL__N_120fused_dropout_kernelIN3c104HalfEfmLi1ELi1EbEEvNS_4cuda6detail10TensorInfoIKT_T1_EENS7_IS8_SA_EENS7_IT4_SA_EESA_T0_NS_15PhiloxCudaStateE
	.p2align	8
	.type	_ZN2at6native12_GLOBAL__N_120fused_dropout_kernelIN3c104HalfEfmLi1ELi1EbEEvNS_4cuda6detail10TensorInfoIKT_T1_EENS7_IS8_SA_EENS7_IT4_SA_EESA_T0_NS_15PhiloxCudaStateE,@function
_ZN2at6native12_GLOBAL__N_120fused_dropout_kernelIN3c104HalfEfmLi1ELi1EbEEvNS_4cuda6detail10TensorInfoIKT_T1_EENS7_IS8_SA_EENS7_IT4_SA_EESA_T0_NS_15PhiloxCudaStateE: ; @_ZN2at6native12_GLOBAL__N_120fused_dropout_kernelIN3c104HalfEfmLi1ELi1EbEEvNS_4cuda6detail10TensorInfoIKT_T1_EENS7_IS8_SA_EENS7_IT4_SA_EESA_T0_NS_15PhiloxCudaStateE
; %bb.0:
	s_clause 0x1
	s_load_b128 s[4:7], s[0:1], 0x4f0
	s_load_b32 s2, s[0:1], 0x508
	s_waitcnt lgkmcnt(0)
	v_dual_mov_b32 v1, s6 :: v_dual_mov_b32 v2, s7
	v_dual_mov_b32 v12, s5 :: v_dual_mov_b32 v11, s4
	s_bitcmp0_b32 s2, 0
	s_mov_b32 s2, 0
	s_cbranch_scc1 .LBB46_2
; %bb.1:
	v_dual_mov_b32 v1, s6 :: v_dual_mov_b32 v2, s7
	v_dual_mov_b32 v3, s4 :: v_dual_mov_b32 v4, s5
	s_load_b64 s[4:5], s[0:1], 0x500
	flat_load_b64 v[1:2], v[1:2]
	flat_load_b64 v[11:12], v[3:4]
	s_waitcnt vmcnt(1) lgkmcnt(0)
	v_add_co_u32 v1, vcc_lo, v1, s4
	v_add_co_ci_u32_e32 v2, vcc_lo, s5, v2, vcc_lo
.LBB46_2:
	s_clause 0x2
	s_load_b32 s3, s[0:1], 0x51c
	s_load_b64 s[4:5], s[0:1], 0x4e0
	s_load_b32 s6, s[0:1], 0x510
	s_waitcnt lgkmcnt(0)
	s_and_b32 s7, s3, 0xffff
	s_add_u32 s8, s4, -1
	s_mul_i32 s20, s6, s7
	s_addc_u32 s3, s5, -1
	s_lshl_b32 s21, s20, 2
	s_cmp_lg_u64 s[2:3], 0
	s_cbranch_scc0 .LBB46_35
; %bb.3:
	v_cvt_f32_u32_e32 v3, s21
	s_sub_u32 s10, 0, s21
	s_subb_u32 s11, 0, 0
	s_delay_alu instid0(VALU_DEP_1) | instskip(NEXT) | instid1(VALU_DEP_1)
	v_fmamk_f32 v3, 0, 0x4f800000, v3
	v_rcp_f32_e32 v3, v3
	s_waitcnt_depctr 0xfff
	v_mul_f32_e32 v3, 0x5f7ffffc, v3
	s_delay_alu instid0(VALU_DEP_1) | instskip(NEXT) | instid1(VALU_DEP_1)
	v_mul_f32_e32 v4, 0x2f800000, v3
	v_trunc_f32_e32 v4, v4
	s_delay_alu instid0(VALU_DEP_1) | instskip(SKIP_1) | instid1(VALU_DEP_2)
	v_fmamk_f32 v3, v4, 0xcf800000, v3
	v_cvt_u32_f32_e32 v4, v4
	v_cvt_u32_f32_e32 v3, v3
	s_delay_alu instid0(VALU_DEP_2) | instskip(NEXT) | instid1(VALU_DEP_2)
	v_readfirstlane_b32 s2, v4
	v_readfirstlane_b32 s9, v3
	s_delay_alu instid0(VALU_DEP_2) | instskip(NEXT) | instid1(VALU_DEP_1)
	s_mul_i32 s12, s10, s2
	s_mul_hi_u32 s14, s10, s9
	s_mul_i32 s13, s11, s9
	s_add_i32 s12, s14, s12
	s_mul_i32 s16, s10, s9
	s_add_i32 s12, s12, s13
	s_mul_hi_u32 s14, s9, s16
	s_mul_hi_u32 s17, s2, s16
	s_mul_i32 s13, s2, s16
	s_mul_hi_u32 s16, s9, s12
	s_mul_i32 s9, s9, s12
	s_mul_hi_u32 s18, s2, s12
	s_add_u32 s9, s14, s9
	s_addc_u32 s14, 0, s16
	s_add_u32 s9, s9, s13
	s_mul_i32 s12, s2, s12
	s_addc_u32 s9, s14, s17
	s_addc_u32 s13, s18, 0
	s_add_u32 s9, s9, s12
	s_addc_u32 s12, 0, s13
	v_add_co_u32 v3, s9, v3, s9
	s_delay_alu instid0(VALU_DEP_1) | instskip(SKIP_1) | instid1(VALU_DEP_1)
	s_cmp_lg_u32 s9, 0
	s_addc_u32 s2, s2, s12
	v_readfirstlane_b32 s9, v3
	s_mul_i32 s12, s10, s2
	s_delay_alu instid0(VALU_DEP_1)
	s_mul_hi_u32 s13, s10, s9
	s_mul_i32 s11, s11, s9
	s_add_i32 s12, s13, s12
	s_mul_i32 s10, s10, s9
	s_add_i32 s12, s12, s11
	s_mul_hi_u32 s13, s2, s10
	s_mul_i32 s14, s2, s10
	s_mul_hi_u32 s10, s9, s10
	s_mul_hi_u32 s16, s9, s12
	s_mul_i32 s9, s9, s12
	s_mul_hi_u32 s11, s2, s12
	s_add_u32 s9, s10, s9
	s_addc_u32 s10, 0, s16
	s_add_u32 s9, s9, s14
	s_mul_i32 s12, s2, s12
	s_addc_u32 s9, s10, s13
	s_addc_u32 s10, s11, 0
	s_add_u32 s9, s9, s12
	s_addc_u32 s10, 0, s10
	v_add_co_u32 v3, s9, v3, s9
	s_delay_alu instid0(VALU_DEP_1) | instskip(SKIP_1) | instid1(VALU_DEP_1)
	s_cmp_lg_u32 s9, 0
	s_addc_u32 s2, s2, s10
	v_readfirstlane_b32 s9, v3
	s_mul_i32 s11, s8, s2
	s_mul_hi_u32 s10, s8, s2
	s_mul_hi_u32 s12, s3, s2
	s_mul_i32 s2, s3, s2
	s_mul_hi_u32 s13, s8, s9
	s_mul_hi_u32 s14, s3, s9
	s_mul_i32 s9, s3, s9
	s_add_u32 s11, s13, s11
	s_addc_u32 s10, 0, s10
	s_add_u32 s9, s11, s9
	s_addc_u32 s9, s10, s14
	s_addc_u32 s10, s12, 0
	s_add_u32 s2, s9, s2
	s_addc_u32 s10, 0, s10
	s_mul_i32 s11, s21, s2
	s_add_u32 s9, s2, 1
	v_sub_co_u32 v3, s11, s8, s11
	s_mul_hi_u32 s12, s21, s2
	s_addc_u32 s13, s10, 0
	s_mul_i32 s14, s21, s10
	s_delay_alu instid0(VALU_DEP_1)
	v_sub_co_u32 v4, s16, v3, s21
	s_add_u32 s17, s2, 2
	s_addc_u32 s18, s10, 0
	s_add_i32 s12, s12, s14
	s_cmp_lg_u32 s11, 0
	v_readfirstlane_b32 s11, v4
	s_subb_u32 s3, s3, s12
	s_cmp_lg_u32 s16, 0
	s_subb_u32 s12, s3, 0
	s_delay_alu instid0(VALU_DEP_1) | instskip(SKIP_4) | instid1(SALU_CYCLE_1)
	s_cmp_ge_u32 s11, s21
	s_cselect_b32 s11, -1, 0
	s_cmp_eq_u32 s12, 0
	v_readfirstlane_b32 s12, v3
	s_cselect_b32 s11, s11, -1
	s_cmp_lg_u32 s11, 0
	s_cselect_b32 s11, s17, s9
	s_cselect_b32 s13, s18, s13
	s_cmp_ge_u32 s12, s21
	s_cselect_b32 s9, -1, 0
	s_cmp_eq_u32 s3, 0
	s_cselect_b32 s3, s9, -1
	s_delay_alu instid0(SALU_CYCLE_1)
	s_cmp_lg_u32 s3, 0
	s_cselect_b32 s3, s13, s10
	s_cselect_b32 s2, s11, s2
	s_cbranch_execnz .LBB46_5
.LBB46_4:
	v_cvt_f32_u32_e32 v3, s21
	s_sub_i32 s3, 0, s21
	s_delay_alu instid0(VALU_DEP_1) | instskip(SKIP_2) | instid1(VALU_DEP_1)
	v_rcp_iflag_f32_e32 v3, v3
	s_waitcnt_depctr 0xfff
	v_mul_f32_e32 v3, 0x4f7ffffe, v3
	v_cvt_u32_f32_e32 v3, v3
	s_delay_alu instid0(VALU_DEP_1) | instskip(NEXT) | instid1(VALU_DEP_1)
	v_readfirstlane_b32 s2, v3
	s_mul_i32 s3, s3, s2
	s_delay_alu instid0(SALU_CYCLE_1) | instskip(NEXT) | instid1(SALU_CYCLE_1)
	s_mul_hi_u32 s3, s2, s3
	s_add_i32 s2, s2, s3
	s_delay_alu instid0(SALU_CYCLE_1) | instskip(NEXT) | instid1(SALU_CYCLE_1)
	s_mul_hi_u32 s2, s8, s2
	s_mul_i32 s3, s2, s21
	s_delay_alu instid0(SALU_CYCLE_1)
	s_sub_i32 s3, s8, s3
	s_add_i32 s8, s2, 1
	s_sub_i32 s9, s3, s21
	s_cmp_ge_u32 s3, s21
	s_cselect_b32 s2, s8, s2
	s_cselect_b32 s3, s9, s3
	s_add_i32 s8, s2, 1
	s_cmp_ge_u32 s3, s21
	s_mov_b32 s3, 0
	s_cselect_b32 s2, s8, s2
.LBB46_5:
	s_delay_alu instid0(SALU_CYCLE_1)
	s_add_u32 s2, s2, 1
	s_addc_u32 s3, s3, 0
	v_mad_u64_u32 v[13:14], null, s15, s7, v[0:1]
	s_mul_i32 s3, s20, s3
	s_mul_hi_u32 s8, s20, s2
	s_mul_hi_u32 s6, s6, s7
	s_add_i32 s3, s8, s3
	s_mul_i32 s6, s6, s2
	v_mov_b32_e32 v14, 0
	s_add_i32 s3, s3, s6
	s_mul_i32 s2, s20, s2
	s_delay_alu instid0(SALU_CYCLE_1)
	s_lshl_b64 s[6:7], s[2:3], 2
	s_mov_b32 s2, exec_lo
	v_cmpx_gt_u64_e64 s[6:7], v[13:14]
	s_cbranch_execz .LBB46_34
; %bb.6:
	v_alignbit_b32 v43, v2, v1, 2
	v_mad_u64_u32 v[3:4], null, 0xcd9e8d57, v13, 0
	v_lshrrev_b32_e32 v44, 2, v2
	s_waitcnt vmcnt(0)
	v_dual_mov_b32 v10, v12 :: v_dual_and_b32 v53, 3, v1
	v_mad_u64_u32 v[5:6], null, 0xd2511f53, v43, 0
	v_add_co_u32 v46, null, 0x9e3779b9, v11
	v_xor3_b32 v0, v11, v4, v44
	s_delay_alu instid0(VALU_DEP_4) | instskip(SKIP_2) | instid1(VALU_DEP_4)
	v_add_co_u32 v45, null, 0xbb67ae85, v10
	v_add_co_u32 v47, null, 0x3c6ef372, v11
	v_xor_b32_e32 v2, v6, v12
	v_mad_u64_u32 v[6:7], null, 0xd2511f53, v0, 0
	v_add_co_u32 v48, null, 0x76cf5d0a, v10
	s_delay_alu instid0(VALU_DEP_3) | instskip(SKIP_1) | instid1(VALU_DEP_4)
	v_mad_u64_u32 v[8:9], null, 0xcd9e8d57, v2, 0
	v_add_co_u32 v50, null, 0x32370b8f, v10
	v_xor3_b32 v0, v45, v7, v5
	v_add_co_u32 v49, null, 0xdaa66d2b, v11
	v_add_co_u32 v51, null, 0x78dde6e4, v11
	v_xor3_b32 v7, v9, v46, v3
	s_delay_alu instid0(VALU_DEP_4)
	v_mad_u64_u32 v[2:3], null, 0xcd9e8d57, v0, 0
	s_clause 0x5
	s_load_b64 s[8:9], s[0:1], 0x0
	s_load_b64 s[2:3], s[0:1], 0xd0
	;; [unrolled: 1-line block ×5, first 2 shown]
	s_load_b32 s22, s[0:1], 0x4e8
	v_mad_u64_u32 v[4:5], null, 0xd2511f53, v7, 0
	v_add_co_u32 v52, null, 0xed9eba14, v10
	v_xor3_b32 v0, v47, v3, v8
	v_add_co_u32 v56, null, 0xa9066899, v10
	v_add_co_u32 v57, null, 0x1715609d, v11
	v_xor3_b32 v3, v5, v48, v6
	s_delay_alu instid0(VALU_DEP_4) | instskip(SKIP_1) | instid1(VALU_DEP_3)
	v_mad_u64_u32 v[5:6], null, 0xd2511f53, v0, 0
	v_add_co_u32 v58, null, 0xb54cda56, v11
	v_mad_u64_u32 v[7:8], null, 0xcd9e8d57, v3, 0
	v_add_co_u32 v61, null, 0x646e171e, v10
	s_delay_alu instid0(VALU_DEP_4)
	v_xor3_b32 v0, v50, v6, v4
	s_waitcnt lgkmcnt(0)
	v_div_scale_f32 v17, null, s22, s22, 1.0
	v_add_co_u32 v60, null, 0x1fd5c5a3, v10
	v_xor3_b32 v4, v8, v49, v2
	v_mad_u64_u32 v[2:3], null, 0xcd9e8d57, v0, 0
	s_delay_alu instid0(VALU_DEP_4) | instskip(SKIP_1) | instid1(VALU_DEP_3)
	v_rcp_f32_e32 v19, v17
	v_add_co_u32 v59, null, 0x5384540f, v11
	v_mad_u64_u32 v[8:9], null, 0xd2511f53, v4, 0
	v_mad_u64_u32 v[15:16], null, s16, v13, 0
	s_delay_alu instid0(VALU_DEP_4) | instskip(SKIP_3) | instid1(VALU_DEP_4)
	v_xor3_b32 v3, v51, v3, v7
	v_add_nc_u32_e32 v54, 0x8ff34781, v11
	v_add_co_u32 v62, null, 0xf1bbcdc8, v11
	v_xor3_b32 v5, v9, v52, v5
	v_mad_u64_u32 v[0:1], null, 0xd2511f53, v3, 0
	v_div_scale_f32 v18, vcc_lo, 1.0, s22, 1.0
	s_delay_alu instid0(VALU_DEP_3) | instskip(SKIP_1) | instid1(VALU_DEP_4)
	v_mad_u64_u32 v[3:4], null, 0xcd9e8d57, v5, 0
	v_add_co_u32 v63, null, 0xdb3d7428, v10
	v_xor3_b32 v5, v56, v1, v8
	v_mad_u64_u32 v[8:9], null, s2, v13, 0
	s_mul_i32 s25, s20, 3
	s_delay_alu instid0(VALU_DEP_4) | instskip(NEXT) | instid1(VALU_DEP_3)
	v_xor3_b32 v6, v4, v57, v2
	v_mad_u64_u32 v[1:2], null, 0xcd9e8d57, v5, 0
	s_lshl_b32 s24, s20, 1
	s_mul_hi_u32 s1, s16, s21
	s_delay_alu instid0(VALU_DEP_2) | instskip(SKIP_2) | instid1(VALU_DEP_4)
	v_mad_u64_u32 v[4:5], null, 0xd2511f53, v6, 0
	v_fma_f32 v6, -v17, v19, 1.0
	v_add_co_u32 v23, s18, s24, v13
	v_xor3_b32 v7, v58, v2, v3
	s_mul_i32 s14, s16, s21
	s_delay_alu instid0(VALU_DEP_3) | instskip(SKIP_3) | instid1(VALU_DEP_3)
	v_fmac_f32_e32 v19, v6, v19
	v_xor3_b32 v0, v5, v61, v0
	v_mad_u64_u32 v[21:22], null, s16, v23, 0
	v_mad_u64_u32 v[2:3], null, 0xd2511f53, v7, 0
	;; [unrolled: 1-line block ×3, first 2 shown]
	v_mul_lo_u32 v32, s3, v23
	s_mov_b32 s23, 0
                                        ; implicit-def: $vgpr65
                                        ; implicit-def: $vgpr66
                                        ; implicit-def: $vgpr67
                                        ; implicit-def: $vgpr68
	s_delay_alu instid0(VALU_DEP_3) | instskip(NEXT) | instid1(VALU_DEP_3)
	v_xor3_b32 v3, v60, v3, v4
	v_xor3_b32 v4, v6, v59, v1
	s_delay_alu instid0(VALU_DEP_2) | instskip(SKIP_1) | instid1(VALU_DEP_3)
	v_mad_u64_u32 v[0:1], null, 0xcd9e8d57, v3, 0
	v_mov_b32_e32 v3, v16
	v_mad_u64_u32 v[6:7], null, 0xd2511f53, v4, 0
	s_delay_alu instid0(VALU_DEP_3) | instskip(NEXT) | instid1(VALU_DEP_3)
	v_xor3_b32 v1, v62, v1, v5
	v_mad_u64_u32 v[4:5], null, s17, v13, v[3:4]
	s_delay_alu instid0(VALU_DEP_3) | instskip(NEXT) | instid1(VALU_DEP_2)
	v_xor3_b32 v3, v7, v63, v2
	v_dual_mov_b32 v16, v4 :: v_dual_add_nc_u32 v55, 0x96a522ad, v12
	v_mul_f32_e32 v20, v18, v19
	s_delay_alu instid0(VALU_DEP_1) | instskip(NEXT) | instid1(VALU_DEP_1)
	v_fma_f32 v10, -v17, v20, v18
	v_fmac_f32_e32 v20, v10, v19
	v_add_co_u32 v10, s0, s25, v13
	s_delay_alu instid0(VALU_DEP_1) | instskip(NEXT) | instid1(VALU_DEP_3)
	v_add_co_ci_u32_e64 v4, null, 0, 0, s0
	v_fma_f32 v5, -v17, v20, v18
	v_mad_u64_u32 v[17:18], null, 0xd2511f53, v1, 0
	v_mad_u64_u32 v[1:2], null, 0xcd9e8d57, v3, 0
	s_delay_alu instid0(VALU_DEP_3)
	v_div_fmas_f32 v3, v5, v19, v20
	v_mov_b32_e32 v5, v9
	v_mul_lo_u32 v29, s3, v10
	v_mul_lo_u32 v30, s2, v4
	s_mul_i32 s0, s17, s21
	v_div_fixup_f32 v64, v3, s22, 1.0
	v_xor3_b32 v0, v0, v2, v54
	v_xor3_b32 v2, v18, v6, v55
	v_mad_u64_u32 v[6:7], null, s3, v13, v[5:6]
	v_mov_b32_e32 v3, v17
	v_mul_lo_u32 v5, s17, v10
	v_mul_lo_u32 v7, s16, v4
	v_mad_u64_u32 v[17:18], null, s16, v10, 0
	v_lshlrev_b64 v[19:20], 1, v[15:16]
	v_mov_b32_e32 v9, v6
	v_add_co_ci_u32_e64 v6, null, 0, 0, s18
	v_add_co_u32 v25, s18, s20, v13
	s_delay_alu instid0(VALU_DEP_1)
	v_add_co_ci_u32_e64 v26, null, 0, 0, s18
	v_add3_u32 v18, v18, v7, v5
	v_mad_u64_u32 v[4:5], null, s2, v10, 0
	v_mul_lo_u32 v10, s17, v23
	v_mul_lo_u32 v31, s16, v6
	;; [unrolled: 1-line block ×3, first 2 shown]
	v_mad_u64_u32 v[6:7], null, s2, v23, 0
	v_mul_lo_u32 v34, s17, v25
	v_mul_lo_u32 v35, s16, v26
	v_mad_u64_u32 v[23:24], null, s16, v25, 0
	v_mul_lo_u32 v36, s3, v25
	v_mul_lo_u32 v39, s2, v26
	v_mad_u64_u32 v[37:38], null, s2, v25, 0
	v_add3_u32 v5, v5, v30, v29
	v_add3_u32 v22, v22, v31, v10
	;; [unrolled: 1-line block ×4, first 2 shown]
	s_add_i32 s15, s1, s0
	s_mul_i32 s0, s3, s21
	v_add3_u32 v38, v38, v39, v36
	v_mov_b32_e32 v40, v14
	s_mul_hi_u32 s1, s2, s21
	v_lshlrev_b64 v[25:26], 1, v[8:9]
	v_lshlrev_b64 v[27:28], 1, v[17:18]
	;; [unrolled: 1-line block ×7, first 2 shown]
	v_mov_b32_e32 v39, v13
	s_add_i32 s1, s1, s0
	s_mul_i32 s0, s2, s21
	s_lshl_b64 s[16:17], s[14:15], 1
	s_lshl_b64 s[18:19], s[0:1], 1
	s_branch .LBB46_8
.LBB46_7:                               ;   in Loop: Header=BB46_8 Depth=1
	s_or_b32 exec_lo, exec_lo, s1
	v_add_co_u32 v39, vcc_lo, v39, s21
	v_add_co_ci_u32_e32 v40, vcc_lo, 0, v40, vcc_lo
	v_mov_b32_e32 v7, v41
	s_add_u32 s10, s10, s16
	s_addc_u32 s11, s11, s17
	s_delay_alu instid0(VALU_DEP_2)
	v_cmp_le_u64_e32 vcc_lo, s[6:7], v[39:40]
	s_add_u32 s12, s12, s14
	v_dual_mov_b32 v0, v4 :: v_dual_mov_b32 v1, v5
	s_addc_u32 s13, s13, s15
	v_dual_mov_b32 v2, v6 :: v_dual_mov_b32 v3, v7
	s_add_u32 s8, s8, s18
	s_addc_u32 s9, s9, s19
	s_or_b32 s23, vcc_lo, s23
	s_waitcnt vmcnt(0)
	s_waitcnt_vscnt null, 0x0
	s_barrier
	buffer_gl0_inv
	s_and_not1_b32 exec_lo, exec_lo, s23
	s_cbranch_execz .LBB46_34
.LBB46_8:                               ; =>This Inner Loop Header: Depth=1
	v_add_co_u32 v43, vcc_lo, v43, 1
	s_delay_alu instid0(VALU_DEP_1) | instskip(SKIP_2) | instid1(VALU_DEP_1)
	v_cndmask_b32_e64 v4, 0, 1, vcc_lo
	v_add_co_ci_u32_e32 v44, vcc_lo, 0, v44, vcc_lo
	s_mov_b32 s0, exec_lo
	v_cmp_eq_u32_e32 vcc_lo, 0, v44
	s_delay_alu instid0(VALU_DEP_3) | instskip(NEXT) | instid1(VALU_DEP_1)
	v_cndmask_b32_e32 v4, 0, v4, vcc_lo
	v_add_nc_u32_e32 v13, v4, v13
	s_delay_alu instid0(VALU_DEP_1) | instskip(SKIP_2) | instid1(VALU_DEP_2)
	v_cmp_eq_u32_e32 vcc_lo, 0, v13
	v_cndmask_b32_e32 v4, 0, v4, vcc_lo
	v_mad_u64_u32 v[6:7], null, 0xcd9e8d57, v13, 0
	v_add_nc_u32_e32 v14, v4, v14
	v_mad_u64_u32 v[4:5], null, 0xd2511f53, v43, 0
	s_delay_alu instid0(VALU_DEP_3) | instskip(NEXT) | instid1(VALU_DEP_2)
	v_xor3_b32 v9, v7, v11, v44
	v_xor_b32_e32 v5, v5, v12
	s_delay_alu instid0(VALU_DEP_2) | instskip(NEXT) | instid1(VALU_DEP_2)
	v_mad_u64_u32 v[7:8], null, 0xd2511f53, v9, 0
	v_xor_b32_e32 v5, v14, v5
	s_delay_alu instid0(VALU_DEP_2) | instskip(NEXT) | instid1(VALU_DEP_2)
	v_xor3_b32 v8, v45, v8, v4
	v_mad_u64_u32 v[9:10], null, 0xcd9e8d57, v5, 0
	s_delay_alu instid0(VALU_DEP_2) | instskip(NEXT) | instid1(VALU_DEP_2)
	v_mad_u64_u32 v[4:5], null, 0xcd9e8d57, v8, 0
	v_xor3_b32 v6, v46, v10, v6
	s_delay_alu instid0(VALU_DEP_2) | instskip(NEXT) | instid1(VALU_DEP_2)
	v_xor3_b32 v8, v47, v5, v9
	v_mad_u64_u32 v[41:42], null, 0xd2511f53, v6, 0
	s_delay_alu instid0(VALU_DEP_2) | instskip(NEXT) | instid1(VALU_DEP_2)
	v_mad_u64_u32 v[5:6], null, 0xd2511f53, v8, 0
	v_xor3_b32 v9, v48, v42, v7
	s_delay_alu instid0(VALU_DEP_2) | instskip(NEXT) | instid1(VALU_DEP_2)
	v_xor3_b32 v6, v50, v6, v41
	v_mad_u64_u32 v[7:8], null, 0xcd9e8d57, v9, 0
	s_delay_alu instid0(VALU_DEP_1) | instskip(NEXT) | instid1(VALU_DEP_3)
	v_xor3_b32 v4, v49, v8, v4
	v_mad_u64_u32 v[8:9], null, 0xcd9e8d57, v6, 0
	s_delay_alu instid0(VALU_DEP_2) | instskip(NEXT) | instid1(VALU_DEP_2)
	v_mad_u64_u32 v[41:42], null, 0xd2511f53, v4, 0
	v_xor3_b32 v6, v51, v9, v7
	s_delay_alu instid0(VALU_DEP_2) | instskip(NEXT) | instid1(VALU_DEP_2)
	v_xor3_b32 v9, v52, v42, v5
	v_mad_u64_u32 v[4:5], null, 0xd2511f53, v6, 0
	s_delay_alu instid0(VALU_DEP_2) | instskip(NEXT) | instid1(VALU_DEP_2)
	v_mad_u64_u32 v[6:7], null, 0xcd9e8d57, v9, 0
	v_xor3_b32 v5, v56, v5, v41
	s_delay_alu instid0(VALU_DEP_2) | instskip(NEXT) | instid1(VALU_DEP_2)
	;; [unrolled: 6-line block ×6, first 2 shown]
	v_xor3_b32 v4, v6, v7, v54
	v_mov_b32_e32 v6, v10
	v_cmpx_lt_i32_e32 1, v53
	s_xor_b32 s0, exec_lo, s0
	s_cbranch_execnz .LBB46_21
; %bb.9:                                ;   in Loop: Header=BB46_8 Depth=1
	s_and_not1_saveexec_b32 s0, s0
	s_cbranch_execnz .LBB46_26
.LBB46_10:                              ;   in Loop: Header=BB46_8 Depth=1
	s_or_b32 exec_lo, exec_lo, s0
	v_cmp_gt_u64_e64 s2, s[4:5], v[39:40]
	s_delay_alu instid0(VALU_DEP_1)
	s_and_saveexec_b32 s0, s2
	s_cbranch_execz .LBB46_12
.LBB46_11:                              ;   in Loop: Header=BB46_8 Depth=1
	v_add_co_u32 v7, vcc_lo, s8, v25
	v_add_co_ci_u32_e32 v8, vcc_lo, s9, v26, vcc_lo
	global_load_u16 v68, v[7:8], off
.LBB46_12:                              ;   in Loop: Header=BB46_8 Depth=1
	s_or_b32 exec_lo, exec_lo, s0
	v_add_co_u32 v7, vcc_lo, s20, v39
	v_add_co_ci_u32_e32 v8, vcc_lo, 0, v40, vcc_lo
	s_delay_alu instid0(VALU_DEP_1) | instskip(NEXT) | instid1(VALU_DEP_1)
	v_cmp_gt_u64_e64 s1, s[4:5], v[7:8]
	s_and_saveexec_b32 s0, s1
	s_cbranch_execz .LBB46_14
; %bb.13:                               ;   in Loop: Header=BB46_8 Depth=1
	v_add_co_u32 v7, vcc_lo, s8, v37
	v_add_co_ci_u32_e32 v8, vcc_lo, s9, v38, vcc_lo
	global_load_u16 v67, v[7:8], off
.LBB46_14:                              ;   in Loop: Header=BB46_8 Depth=1
	s_or_b32 exec_lo, exec_lo, s0
	v_add_co_u32 v7, vcc_lo, s24, v39
	v_add_co_ci_u32_e32 v8, vcc_lo, 0, v40, vcc_lo
	s_delay_alu instid0(VALU_DEP_1) | instskip(NEXT) | instid1(VALU_DEP_1)
	v_cmp_gt_u64_e64 s0, s[4:5], v[7:8]
	s_and_saveexec_b32 s3, s0
	s_cbranch_execz .LBB46_16
; %bb.15:                               ;   in Loop: Header=BB46_8 Depth=1
	v_add_co_u32 v7, vcc_lo, s8, v33
	v_add_co_ci_u32_e32 v8, vcc_lo, s9, v34, vcc_lo
	global_load_u16 v66, v[7:8], off
.LBB46_16:                              ;   in Loop: Header=BB46_8 Depth=1
	s_or_b32 exec_lo, exec_lo, s3
	v_add_co_u32 v7, vcc_lo, s25, v39
	v_add_co_ci_u32_e32 v8, vcc_lo, 0, v40, vcc_lo
	s_delay_alu instid0(VALU_DEP_1)
	v_cmp_gt_u64_e32 vcc_lo, s[4:5], v[7:8]
	s_and_saveexec_b32 s26, vcc_lo
	s_cbranch_execnz .LBB46_29
; %bb.17:                               ;   in Loop: Header=BB46_8 Depth=1
	s_or_b32 exec_lo, exec_lo, s26
	s_and_saveexec_b32 s26, s2
	s_cbranch_execnz .LBB46_30
.LBB46_18:                              ;   in Loop: Header=BB46_8 Depth=1
	s_or_b32 exec_lo, exec_lo, s26
	s_and_saveexec_b32 s3, s1
	s_cbranch_execnz .LBB46_31
.LBB46_19:                              ;   in Loop: Header=BB46_8 Depth=1
	s_or_b32 exec_lo, exec_lo, s3
	s_and_saveexec_b32 s2, s0
	s_cbranch_execnz .LBB46_32
.LBB46_20:                              ;   in Loop: Header=BB46_8 Depth=1
	s_or_b32 exec_lo, exec_lo, s2
	s_and_saveexec_b32 s1, vcc_lo
	s_cbranch_execz .LBB46_7
	s_branch .LBB46_33
.LBB46_21:                              ;   in Loop: Header=BB46_8 Depth=1
	s_mov_b32 s1, exec_lo
	v_cmpx_lt_i32_e32 2, v53
	s_xor_b32 s1, exec_lo, s1
; %bb.22:                               ;   in Loop: Header=BB46_8 Depth=1
	v_dual_mov_b32 v7, v3 :: v_dual_mov_b32 v8, v4
	v_mov_b32_e32 v9, v5
	s_delay_alu instid0(VALU_DEP_2) | instskip(NEXT) | instid1(VALU_DEP_2)
	v_dual_mov_b32 v0, v7 :: v_dual_mov_b32 v1, v8
	v_dual_mov_b32 v2, v9 :: v_dual_mov_b32 v3, v10
; %bb.23:                               ;   in Loop: Header=BB46_8 Depth=1
	s_and_not1_saveexec_b32 s1, s1
; %bb.24:                               ;   in Loop: Header=BB46_8 Depth=1
	s_delay_alu instid0(VALU_DEP_1)
	v_dual_mov_b32 v0, v2 :: v_dual_mov_b32 v1, v3
	v_dual_mov_b32 v2, v4 :: v_dual_mov_b32 v3, v5
; %bb.25:                               ;   in Loop: Header=BB46_8 Depth=1
	s_or_b32 exec_lo, exec_lo, s1
	s_and_not1_saveexec_b32 s0, s0
	s_cbranch_execz .LBB46_10
.LBB46_26:                              ;   in Loop: Header=BB46_8 Depth=1
	s_mov_b32 s1, exec_lo
	v_cmpx_eq_u32_e32 1, v53
; %bb.27:                               ;   in Loop: Header=BB46_8 Depth=1
	v_dual_mov_b32 v0, v1 :: v_dual_mov_b32 v1, v2
	v_dual_mov_b32 v2, v3 :: v_dual_mov_b32 v3, v4
; %bb.28:                               ;   in Loop: Header=BB46_8 Depth=1
	s_or_b32 exec_lo, exec_lo, s1
	s_delay_alu instid0(SALU_CYCLE_1) | instskip(SKIP_1) | instid1(VALU_DEP_1)
	s_or_b32 exec_lo, exec_lo, s0
	v_cmp_gt_u64_e64 s2, s[4:5], v[39:40]
	s_and_saveexec_b32 s0, s2
	s_cbranch_execnz .LBB46_11
	s_branch .LBB46_12
.LBB46_29:                              ;   in Loop: Header=BB46_8 Depth=1
	v_add_co_u32 v7, s3, s8, v29
	s_delay_alu instid0(VALU_DEP_1)
	v_add_co_ci_u32_e64 v8, s3, s9, v30, s3
	global_load_u16 v65, v[7:8], off
	s_or_b32 exec_lo, exec_lo, s26
	s_and_saveexec_b32 s26, s2
	s_cbranch_execz .LBB46_18
.LBB46_30:                              ;   in Loop: Header=BB46_8 Depth=1
	v_cvt_f32_u32_e32 v0, v0
	s_waitcnt vmcnt(0)
	v_cvt_f32_f16_e32 v9, v68
	v_add_co_u32 v7, s3, s10, v19
	s_delay_alu instid0(VALU_DEP_1) | instskip(SKIP_1) | instid1(VALU_DEP_1)
	v_add_co_ci_u32_e64 v8, s3, s11, v20, s3
	v_fmaak_f32 v0, 0x2f800000, v0, 0x2f800000
	v_cmp_gt_f32_e64 s2, s22, v0
	s_delay_alu instid0(VALU_DEP_1) | instskip(SKIP_1) | instid1(VALU_DEP_2)
	v_cndmask_b32_e64 v0, 0, 1.0, s2
	v_cndmask_b32_e64 v42, 0, 1, s2
	v_mul_f32_e32 v0, v0, v9
	v_add_co_u32 v9, s3, s12, v15
	s_delay_alu instid0(VALU_DEP_1) | instskip(NEXT) | instid1(VALU_DEP_3)
	v_add_co_ci_u32_e64 v10, s3, s13, v16, s3
	v_fma_mixlo_f16 v0, v64, v0, 0
	global_store_b16 v[7:8], v0, off
	global_store_b8 v[9:10], v42, off
	s_or_b32 exec_lo, exec_lo, s26
	s_and_saveexec_b32 s3, s1
	s_cbranch_execz .LBB46_19
.LBB46_31:                              ;   in Loop: Header=BB46_8 Depth=1
	v_cvt_f32_u32_e32 v0, v1
	s_waitcnt vmcnt(0)
	v_cvt_f32_f16_e32 v7, v67
	s_delay_alu instid0(VALU_DEP_2) | instskip(NEXT) | instid1(VALU_DEP_1)
	v_fmaak_f32 v0, 0x2f800000, v0, 0x2f800000
	v_cmp_gt_f32_e64 s1, s22, v0
	v_add_co_u32 v0, s2, s10, v35
	s_delay_alu instid0(VALU_DEP_1) | instskip(NEXT) | instid1(VALU_DEP_3)
	v_add_co_ci_u32_e64 v1, s2, s11, v36, s2
	v_cndmask_b32_e64 v8, 0, 1.0, s1
	v_cndmask_b32_e64 v10, 0, 1, s1
	s_delay_alu instid0(VALU_DEP_2) | instskip(SKIP_1) | instid1(VALU_DEP_1)
	v_mul_f32_e32 v9, v8, v7
	v_add_co_u32 v7, s2, s12, v23
	v_add_co_ci_u32_e64 v8, s2, s13, v24, s2
	s_delay_alu instid0(VALU_DEP_3)
	v_fma_mixlo_f16 v9, v64, v9, 0
	global_store_b16 v[0:1], v9, off
	global_store_b8 v[7:8], v10, off
	s_or_b32 exec_lo, exec_lo, s3
	s_and_saveexec_b32 s2, s0
	s_cbranch_execz .LBB46_20
.LBB46_32:                              ;   in Loop: Header=BB46_8 Depth=1
	v_cvt_f32_u32_e32 v0, v2
	s_waitcnt vmcnt(0)
	v_cvt_f32_f16_e32 v2, v66
	s_delay_alu instid0(VALU_DEP_2) | instskip(NEXT) | instid1(VALU_DEP_1)
	v_fmaak_f32 v0, 0x2f800000, v0, 0x2f800000
	v_cmp_gt_f32_e64 s0, s22, v0
	v_add_co_u32 v0, s1, s10, v31
	s_delay_alu instid0(VALU_DEP_1) | instskip(NEXT) | instid1(VALU_DEP_3)
	v_add_co_ci_u32_e64 v1, s1, s11, v32, s1
	v_cndmask_b32_e64 v7, 0, 1.0, s0
	v_cndmask_b32_e64 v9, 0, 1, s0
	s_delay_alu instid0(VALU_DEP_2) | instskip(SKIP_1) | instid1(VALU_DEP_1)
	v_mul_f32_e32 v2, v7, v2
	v_add_co_u32 v7, s1, s12, v21
	v_add_co_ci_u32_e64 v8, s1, s13, v22, s1
	s_delay_alu instid0(VALU_DEP_3)
	v_fma_mixlo_f16 v2, v64, v2, 0
	global_store_b16 v[0:1], v2, off
	global_store_b8 v[7:8], v9, off
	s_or_b32 exec_lo, exec_lo, s2
	s_and_saveexec_b32 s1, vcc_lo
	s_cbranch_execz .LBB46_7
.LBB46_33:                              ;   in Loop: Header=BB46_8 Depth=1
	v_cvt_f32_u32_e32 v0, v3
	s_waitcnt vmcnt(0)
	v_cvt_f32_f16_e32 v2, v65
	s_delay_alu instid0(VALU_DEP_2) | instskip(NEXT) | instid1(VALU_DEP_1)
	v_fmaak_f32 v0, 0x2f800000, v0, 0x2f800000
	v_cmp_gt_f32_e32 vcc_lo, s22, v0
	v_add_co_u32 v0, s0, s10, v27
	s_delay_alu instid0(VALU_DEP_1) | instskip(SKIP_2) | instid1(VALU_DEP_2)
	v_add_co_ci_u32_e64 v1, s0, s11, v28, s0
	v_cndmask_b32_e64 v3, 0, 1.0, vcc_lo
	v_cndmask_b32_e64 v8, 0, 1, vcc_lo
	v_mul_f32_e32 v7, v3, v2
	v_add_co_u32 v2, s0, s12, v17
	s_delay_alu instid0(VALU_DEP_1) | instskip(NEXT) | instid1(VALU_DEP_3)
	v_add_co_ci_u32_e64 v3, s0, s13, v18, s0
	v_fma_mixlo_f16 v7, v64, v7, 0
	global_store_b16 v[0:1], v7, off
	global_store_b8 v[2:3], v8, off
	s_branch .LBB46_7
.LBB46_34:
	s_endpgm
.LBB46_35:
                                        ; implicit-def: $sgpr2_sgpr3
	s_branch .LBB46_4
	.section	.rodata,"a",@progbits
	.p2align	6, 0x0
	.amdhsa_kernel _ZN2at6native12_GLOBAL__N_120fused_dropout_kernelIN3c104HalfEfmLi1ELi1EbEEvNS_4cuda6detail10TensorInfoIKT_T1_EENS7_IS8_SA_EENS7_IT4_SA_EESA_T0_NS_15PhiloxCudaStateE
		.amdhsa_group_segment_fixed_size 0
		.amdhsa_private_segment_fixed_size 0
		.amdhsa_kernarg_size 1552
		.amdhsa_user_sgpr_count 15
		.amdhsa_user_sgpr_dispatch_ptr 0
		.amdhsa_user_sgpr_queue_ptr 0
		.amdhsa_user_sgpr_kernarg_segment_ptr 1
		.amdhsa_user_sgpr_dispatch_id 0
		.amdhsa_user_sgpr_private_segment_size 0
		.amdhsa_wavefront_size32 1
		.amdhsa_uses_dynamic_stack 0
		.amdhsa_enable_private_segment 0
		.amdhsa_system_sgpr_workgroup_id_x 1
		.amdhsa_system_sgpr_workgroup_id_y 0
		.amdhsa_system_sgpr_workgroup_id_z 0
		.amdhsa_system_sgpr_workgroup_info 0
		.amdhsa_system_vgpr_workitem_id 0
		.amdhsa_next_free_vgpr 69
		.amdhsa_next_free_sgpr 27
		.amdhsa_reserve_vcc 1
		.amdhsa_float_round_mode_32 0
		.amdhsa_float_round_mode_16_64 0
		.amdhsa_float_denorm_mode_32 3
		.amdhsa_float_denorm_mode_16_64 3
		.amdhsa_dx10_clamp 1
		.amdhsa_ieee_mode 1
		.amdhsa_fp16_overflow 0
		.amdhsa_workgroup_processor_mode 1
		.amdhsa_memory_ordered 1
		.amdhsa_forward_progress 0
		.amdhsa_shared_vgpr_count 0
		.amdhsa_exception_fp_ieee_invalid_op 0
		.amdhsa_exception_fp_denorm_src 0
		.amdhsa_exception_fp_ieee_div_zero 0
		.amdhsa_exception_fp_ieee_overflow 0
		.amdhsa_exception_fp_ieee_underflow 0
		.amdhsa_exception_fp_ieee_inexact 0
		.amdhsa_exception_int_div_zero 0
	.end_amdhsa_kernel
	.section	.text._ZN2at6native12_GLOBAL__N_120fused_dropout_kernelIN3c104HalfEfmLi1ELi1EbEEvNS_4cuda6detail10TensorInfoIKT_T1_EENS7_IS8_SA_EENS7_IT4_SA_EESA_T0_NS_15PhiloxCudaStateE,"axG",@progbits,_ZN2at6native12_GLOBAL__N_120fused_dropout_kernelIN3c104HalfEfmLi1ELi1EbEEvNS_4cuda6detail10TensorInfoIKT_T1_EENS7_IS8_SA_EENS7_IT4_SA_EESA_T0_NS_15PhiloxCudaStateE,comdat
.Lfunc_end46:
	.size	_ZN2at6native12_GLOBAL__N_120fused_dropout_kernelIN3c104HalfEfmLi1ELi1EbEEvNS_4cuda6detail10TensorInfoIKT_T1_EENS7_IS8_SA_EENS7_IT4_SA_EESA_T0_NS_15PhiloxCudaStateE, .Lfunc_end46-_ZN2at6native12_GLOBAL__N_120fused_dropout_kernelIN3c104HalfEfmLi1ELi1EbEEvNS_4cuda6detail10TensorInfoIKT_T1_EENS7_IS8_SA_EENS7_IT4_SA_EESA_T0_NS_15PhiloxCudaStateE
                                        ; -- End function
	.section	.AMDGPU.csdata,"",@progbits
; Kernel info:
; codeLenInByte = 3712
; NumSgprs: 29
; NumVgprs: 69
; ScratchSize: 0
; MemoryBound: 0
; FloatMode: 240
; IeeeMode: 1
; LDSByteSize: 0 bytes/workgroup (compile time only)
; SGPRBlocks: 3
; VGPRBlocks: 8
; NumSGPRsForWavesPerEU: 29
; NumVGPRsForWavesPerEU: 69
; Occupancy: 16
; WaveLimiterHint : 1
; COMPUTE_PGM_RSRC2:SCRATCH_EN: 0
; COMPUTE_PGM_RSRC2:USER_SGPR: 15
; COMPUTE_PGM_RSRC2:TRAP_HANDLER: 0
; COMPUTE_PGM_RSRC2:TGID_X_EN: 1
; COMPUTE_PGM_RSRC2:TGID_Y_EN: 0
; COMPUTE_PGM_RSRC2:TGID_Z_EN: 0
; COMPUTE_PGM_RSRC2:TIDIG_COMP_CNT: 0
	.section	.text._ZN2at6native12_GLOBAL__N_120fused_dropout_kernelIN3c104HalfEfmLin1ELi1EbEEvNS_4cuda6detail10TensorInfoIKT_T1_EENS7_IS8_SA_EENS7_IT4_SA_EESA_T0_NS_15PhiloxCudaStateE,"axG",@progbits,_ZN2at6native12_GLOBAL__N_120fused_dropout_kernelIN3c104HalfEfmLin1ELi1EbEEvNS_4cuda6detail10TensorInfoIKT_T1_EENS7_IS8_SA_EENS7_IT4_SA_EESA_T0_NS_15PhiloxCudaStateE,comdat
	.globl	_ZN2at6native12_GLOBAL__N_120fused_dropout_kernelIN3c104HalfEfmLin1ELi1EbEEvNS_4cuda6detail10TensorInfoIKT_T1_EENS7_IS8_SA_EENS7_IT4_SA_EESA_T0_NS_15PhiloxCudaStateE ; -- Begin function _ZN2at6native12_GLOBAL__N_120fused_dropout_kernelIN3c104HalfEfmLin1ELi1EbEEvNS_4cuda6detail10TensorInfoIKT_T1_EENS7_IS8_SA_EENS7_IT4_SA_EESA_T0_NS_15PhiloxCudaStateE
	.p2align	8
	.type	_ZN2at6native12_GLOBAL__N_120fused_dropout_kernelIN3c104HalfEfmLin1ELi1EbEEvNS_4cuda6detail10TensorInfoIKT_T1_EENS7_IS8_SA_EENS7_IT4_SA_EESA_T0_NS_15PhiloxCudaStateE,@function
_ZN2at6native12_GLOBAL__N_120fused_dropout_kernelIN3c104HalfEfmLin1ELi1EbEEvNS_4cuda6detail10TensorInfoIKT_T1_EENS7_IS8_SA_EENS7_IT4_SA_EESA_T0_NS_15PhiloxCudaStateE: ; @_ZN2at6native12_GLOBAL__N_120fused_dropout_kernelIN3c104HalfEfmLin1ELi1EbEEvNS_4cuda6detail10TensorInfoIKT_T1_EENS7_IS8_SA_EENS7_IT4_SA_EESA_T0_NS_15PhiloxCudaStateE
; %bb.0:
	s_clause 0x1
	s_load_b128 s[4:7], s[0:1], 0x4f0
	s_load_b32 s2, s[0:1], 0x508
	s_waitcnt lgkmcnt(0)
	v_dual_mov_b32 v1, s6 :: v_dual_mov_b32 v2, s7
	v_dual_mov_b32 v12, s5 :: v_dual_mov_b32 v11, s4
	s_bitcmp0_b32 s2, 0
	s_mov_b32 s2, 0
	s_cbranch_scc1 .LBB47_2
; %bb.1:
	v_dual_mov_b32 v1, s6 :: v_dual_mov_b32 v2, s7
	v_dual_mov_b32 v3, s4 :: v_dual_mov_b32 v4, s5
	s_load_b64 s[4:5], s[0:1], 0x500
	flat_load_b64 v[1:2], v[1:2]
	flat_load_b64 v[11:12], v[3:4]
	s_waitcnt vmcnt(1) lgkmcnt(0)
	v_add_co_u32 v1, vcc_lo, v1, s4
	v_add_co_ci_u32_e32 v2, vcc_lo, s5, v2, vcc_lo
.LBB47_2:
	s_clause 0x2
	s_load_b32 s3, s[0:1], 0x51c
	s_load_b64 s[6:7], s[0:1], 0x4e0
	s_load_b32 s4, s[0:1], 0x510
	s_waitcnt lgkmcnt(0)
	s_and_b32 s5, s3, 0xffff
	s_add_u32 s8, s6, -1
	s_mul_i32 s26, s4, s5
	s_addc_u32 s3, s7, -1
	s_lshl_b32 s27, s26, 2
	s_cmp_lg_u64 s[2:3], 0
	s_cbranch_scc0 .LBB47_63
; %bb.3:
	v_cvt_f32_u32_e32 v3, s27
	s_sub_u32 s10, 0, s27
	s_subb_u32 s11, 0, 0
	s_delay_alu instid0(VALU_DEP_1) | instskip(NEXT) | instid1(VALU_DEP_1)
	v_fmamk_f32 v3, 0, 0x4f800000, v3
	v_rcp_f32_e32 v3, v3
	s_waitcnt_depctr 0xfff
	v_mul_f32_e32 v3, 0x5f7ffffc, v3
	s_delay_alu instid0(VALU_DEP_1) | instskip(NEXT) | instid1(VALU_DEP_1)
	v_mul_f32_e32 v4, 0x2f800000, v3
	v_trunc_f32_e32 v4, v4
	s_delay_alu instid0(VALU_DEP_1) | instskip(SKIP_1) | instid1(VALU_DEP_2)
	v_fmamk_f32 v3, v4, 0xcf800000, v3
	v_cvt_u32_f32_e32 v4, v4
	v_cvt_u32_f32_e32 v3, v3
	s_delay_alu instid0(VALU_DEP_2) | instskip(NEXT) | instid1(VALU_DEP_2)
	v_readfirstlane_b32 s2, v4
	v_readfirstlane_b32 s9, v3
	s_delay_alu instid0(VALU_DEP_2) | instskip(NEXT) | instid1(VALU_DEP_1)
	s_mul_i32 s12, s10, s2
	s_mul_hi_u32 s14, s10, s9
	s_mul_i32 s13, s11, s9
	s_add_i32 s12, s14, s12
	s_mul_i32 s16, s10, s9
	s_add_i32 s12, s12, s13
	s_mul_hi_u32 s14, s9, s16
	s_mul_hi_u32 s17, s2, s16
	s_mul_i32 s13, s2, s16
	s_mul_hi_u32 s16, s9, s12
	s_mul_i32 s9, s9, s12
	s_mul_hi_u32 s18, s2, s12
	s_add_u32 s9, s14, s9
	s_addc_u32 s14, 0, s16
	s_add_u32 s9, s9, s13
	s_mul_i32 s12, s2, s12
	s_addc_u32 s9, s14, s17
	s_addc_u32 s13, s18, 0
	s_add_u32 s9, s9, s12
	s_addc_u32 s12, 0, s13
	v_add_co_u32 v3, s9, v3, s9
	s_delay_alu instid0(VALU_DEP_1) | instskip(SKIP_1) | instid1(VALU_DEP_1)
	s_cmp_lg_u32 s9, 0
	s_addc_u32 s2, s2, s12
	v_readfirstlane_b32 s9, v3
	s_mul_i32 s12, s10, s2
	s_delay_alu instid0(VALU_DEP_1)
	s_mul_hi_u32 s13, s10, s9
	s_mul_i32 s11, s11, s9
	s_add_i32 s12, s13, s12
	s_mul_i32 s10, s10, s9
	s_add_i32 s12, s12, s11
	s_mul_hi_u32 s13, s2, s10
	s_mul_i32 s14, s2, s10
	s_mul_hi_u32 s10, s9, s10
	s_mul_hi_u32 s16, s9, s12
	s_mul_i32 s9, s9, s12
	s_mul_hi_u32 s11, s2, s12
	s_add_u32 s9, s10, s9
	s_addc_u32 s10, 0, s16
	s_add_u32 s9, s9, s14
	s_mul_i32 s12, s2, s12
	s_addc_u32 s9, s10, s13
	s_addc_u32 s10, s11, 0
	s_add_u32 s9, s9, s12
	s_addc_u32 s10, 0, s10
	v_add_co_u32 v3, s9, v3, s9
	s_delay_alu instid0(VALU_DEP_1) | instskip(SKIP_1) | instid1(VALU_DEP_1)
	s_cmp_lg_u32 s9, 0
	s_addc_u32 s2, s2, s10
	v_readfirstlane_b32 s9, v3
	s_mul_i32 s11, s8, s2
	s_mul_hi_u32 s10, s8, s2
	s_mul_hi_u32 s12, s3, s2
	s_mul_i32 s2, s3, s2
	s_mul_hi_u32 s13, s8, s9
	s_mul_hi_u32 s14, s3, s9
	s_mul_i32 s9, s3, s9
	s_add_u32 s11, s13, s11
	s_addc_u32 s10, 0, s10
	s_add_u32 s9, s11, s9
	s_addc_u32 s9, s10, s14
	s_addc_u32 s10, s12, 0
	s_add_u32 s2, s9, s2
	s_addc_u32 s10, 0, s10
	s_mul_i32 s11, s27, s2
	s_add_u32 s9, s2, 1
	v_sub_co_u32 v3, s11, s8, s11
	s_mul_hi_u32 s12, s27, s2
	s_addc_u32 s13, s10, 0
	s_mul_i32 s14, s27, s10
	s_delay_alu instid0(VALU_DEP_1)
	v_sub_co_u32 v4, s16, v3, s27
	s_add_u32 s17, s2, 2
	s_addc_u32 s18, s10, 0
	s_add_i32 s12, s12, s14
	s_cmp_lg_u32 s11, 0
	v_readfirstlane_b32 s11, v4
	s_subb_u32 s3, s3, s12
	s_cmp_lg_u32 s16, 0
	s_subb_u32 s12, s3, 0
	s_delay_alu instid0(VALU_DEP_1) | instskip(SKIP_4) | instid1(SALU_CYCLE_1)
	s_cmp_ge_u32 s11, s27
	s_cselect_b32 s11, -1, 0
	s_cmp_eq_u32 s12, 0
	v_readfirstlane_b32 s12, v3
	s_cselect_b32 s11, s11, -1
	s_cmp_lg_u32 s11, 0
	s_cselect_b32 s11, s17, s9
	s_cselect_b32 s13, s18, s13
	s_cmp_ge_u32 s12, s27
	s_cselect_b32 s9, -1, 0
	s_cmp_eq_u32 s3, 0
	s_cselect_b32 s3, s9, -1
	s_delay_alu instid0(SALU_CYCLE_1)
	s_cmp_lg_u32 s3, 0
	s_cselect_b32 s3, s13, s10
	s_cselect_b32 s2, s11, s2
	s_cbranch_execnz .LBB47_5
.LBB47_4:
	v_cvt_f32_u32_e32 v3, s27
	s_sub_i32 s3, 0, s27
	s_delay_alu instid0(VALU_DEP_1) | instskip(SKIP_2) | instid1(VALU_DEP_1)
	v_rcp_iflag_f32_e32 v3, v3
	s_waitcnt_depctr 0xfff
	v_mul_f32_e32 v3, 0x4f7ffffe, v3
	v_cvt_u32_f32_e32 v3, v3
	s_delay_alu instid0(VALU_DEP_1) | instskip(NEXT) | instid1(VALU_DEP_1)
	v_readfirstlane_b32 s2, v3
	s_mul_i32 s3, s3, s2
	s_delay_alu instid0(SALU_CYCLE_1) | instskip(NEXT) | instid1(SALU_CYCLE_1)
	s_mul_hi_u32 s3, s2, s3
	s_add_i32 s2, s2, s3
	s_delay_alu instid0(SALU_CYCLE_1) | instskip(NEXT) | instid1(SALU_CYCLE_1)
	s_mul_hi_u32 s2, s8, s2
	s_mul_i32 s3, s2, s27
	s_delay_alu instid0(SALU_CYCLE_1)
	s_sub_i32 s3, s8, s3
	s_add_i32 s8, s2, 1
	s_sub_i32 s9, s3, s27
	s_cmp_ge_u32 s3, s27
	s_cselect_b32 s2, s8, s2
	s_cselect_b32 s3, s9, s3
	s_add_i32 s8, s2, 1
	s_cmp_ge_u32 s3, s27
	s_mov_b32 s3, 0
	s_cselect_b32 s2, s8, s2
.LBB47_5:
	s_delay_alu instid0(SALU_CYCLE_1)
	s_add_u32 s2, s2, 1
	s_addc_u32 s3, s3, 0
	v_mov_b32_e32 v15, 0
	v_mad_u64_u32 v[13:14], null, s15, s5, v[0:1]
	s_mul_i32 s3, s26, s3
	s_mul_hi_u32 s8, s26, s2
	s_mul_hi_u32 s4, s4, s5
	s_add_i32 s3, s8, s3
	s_mul_i32 s4, s4, s2
	v_mov_b32_e32 v14, v15
	s_add_i32 s3, s3, s4
	s_mul_i32 s2, s26, s2
	s_delay_alu instid0(SALU_CYCLE_1)
	s_lshl_b64 s[8:9], s[2:3], 2
	s_mov_b32 s2, exec_lo
	v_cmpx_gt_u64_e64 s[8:9], v[13:14]
	s_cbranch_execz .LBB47_62
; %bb.6:
	v_alignbit_b32 v28, v2, v1, 2
	v_mad_u64_u32 v[3:4], null, 0xcd9e8d57, v13, 0
	v_lshrrev_b32_e32 v29, 2, v2
	s_waitcnt vmcnt(0)
	v_dual_mov_b32 v10, v12 :: v_dual_add_nc_u32 v37, 0x8ff34781, v11
	v_mad_u64_u32 v[5:6], null, 0xd2511f53, v28, 0
	v_add_co_u32 v31, null, 0x9e3779b9, v11
	v_xor3_b32 v0, v11, v4, v29
	s_delay_alu instid0(VALU_DEP_4) | instskip(SKIP_2) | instid1(VALU_DEP_4)
	v_add_co_u32 v30, null, 0xbb67ae85, v10
	v_add_co_u32 v32, null, 0x3c6ef372, v11
	v_xor_b32_e32 v2, v6, v12
	v_mad_u64_u32 v[6:7], null, 0xd2511f53, v0, 0
	v_add_co_u32 v33, null, 0x76cf5d0a, v10
	s_delay_alu instid0(VALU_DEP_3) | instskip(SKIP_1) | instid1(VALU_DEP_4)
	v_mad_u64_u32 v[8:9], null, 0xcd9e8d57, v2, 0
	v_add_co_u32 v34, null, 0xdaa66d2b, v11
	v_xor3_b32 v0, v30, v7, v5
	v_add_co_u32 v35, null, 0x32370b8f, v10
	s_clause 0x2
	s_load_b64 s[10:11], s[0:1], 0x270
	s_load_b64 s[12:13], s[0:1], 0x340
	s_load_b32 s28, s[0:1], 0x4e8
	v_xor3_b32 v7, v9, v31, v3
	v_mad_u64_u32 v[2:3], null, 0xcd9e8d57, v0, 0
	v_and_b32_e32 v36, 3, v1
	v_add_co_u32 v38, null, 0x78dde6e4, v11
	s_delay_alu instid0(VALU_DEP_4)
	v_mad_u64_u32 v[4:5], null, 0xd2511f53, v7, 0
	v_add_co_u32 v39, null, 0xed9eba14, v10
	v_xor3_b32 v0, v32, v3, v8
	v_add_co_u32 v42, null, 0xa9066899, v10
	v_add_co_u32 v43, null, 0x1715609d, v11
	v_xor3_b32 v3, v5, v33, v6
	s_delay_alu instid0(VALU_DEP_4) | instskip(SKIP_1) | instid1(VALU_DEP_3)
	v_mad_u64_u32 v[5:6], null, 0xd2511f53, v0, 0
	v_add_co_u32 v41, null, 0xb54cda56, v11
	v_mad_u64_u32 v[7:8], null, 0xcd9e8d57, v3, 0
	v_add_co_u32 v46, null, 0x646e171e, v10
	s_delay_alu instid0(VALU_DEP_4) | instskip(SKIP_3) | instid1(VALU_DEP_4)
	v_xor3_b32 v3, v35, v6, v4
	v_add_co_u32 v44, null, 0x5384540f, v11
	v_add_co_u32 v47, null, 0x1fd5c5a3, v10
	v_xor3_b32 v4, v8, v34, v2
	v_mad_u64_u32 v[0:1], null, 0xcd9e8d57, v3, 0
	s_waitcnt lgkmcnt(0)
	v_div_scale_f32 v8, null, s28, s28, 1.0
	s_delay_alu instid0(VALU_DEP_3) | instskip(SKIP_1) | instid1(VALU_DEP_4)
	v_mad_u64_u32 v[2:3], null, 0xd2511f53, v4, 0
	v_div_scale_f32 v16, vcc_lo, 1.0, s28, 1.0
	v_xor3_b32 v1, v38, v1, v7
	s_delay_alu instid0(VALU_DEP_4)
	v_rcp_f32_e32 v9, v8
	s_clause 0x1
	s_load_b64 s[14:15], s[0:1], 0x1a0
	s_load_b32 s20, s[0:1], 0x198
	v_add_co_u32 v45, null, 0xf1bbcdc8, v11
	v_xor3_b32 v7, v3, v39, v5
	v_mad_u64_u32 v[3:4], null, 0xd2511f53, v1, 0
	s_clause 0x1
	s_load_b64 s[16:17], s[0:1], 0xd0
	s_load_b64 s[18:19], s[0:1], 0x0
	s_mov_b32 s5, 0
	v_mad_u64_u32 v[5:6], null, 0xcd9e8d57, v7, 0
	v_mov_b32_e32 v49, 0
	s_mul_i32 s29, s26, 3
	v_xor3_b32 v2, v42, v4, v2
                                        ; implicit-def: $vgpr26
                                        ; implicit-def: $vgpr50
                                        ; implicit-def: $vgpr51
                                        ; implicit-def: $vgpr52
	v_dual_mov_b32 v18, v14 :: v_dual_mov_b32 v17, v13
	v_add_co_u32 v14, null, 0xdb3d7428, v10
	v_xor3_b32 v4, v6, v43, v0
	s_delay_alu instid0(VALU_DEP_4) | instskip(SKIP_2) | instid1(VALU_DEP_4)
	v_mad_u64_u32 v[0:1], null, 0xcd9e8d57, v2, 0
	v_fma_f32 v2, -v8, v9, 1.0
	v_add_nc_u32_e32 v40, 0x96a522ad, v12
	v_mad_u64_u32 v[6:7], null, 0xd2511f53, v4, 0
	s_waitcnt lgkmcnt(0)
	s_cmp_gt_i32 s20, 1
	v_fmac_f32_e32 v9, v2, v9
	v_xor3_b32 v4, v41, v1, v5
	s_cselect_b32 s30, -1, 0
	s_add_i32 s4, s20, -1
	s_lshl_b32 s31, s26, 1
	v_xor3_b32 v5, v7, v46, v3
	v_mad_u64_u32 v[1:2], null, 0xd2511f53, v4, 0
	v_mul_f32_e32 v19, v16, v9
	s_lshl_b64 s[2:3], s[4:5], 3
	s_delay_alu instid0(VALU_DEP_3) | instskip(SKIP_1) | instid1(VALU_DEP_2)
	v_mad_u64_u32 v[3:4], null, 0xcd9e8d57, v5, 0
	s_add_i32 s33, s20, 1
	v_fma_f32 v20, -v8, v19, v16
	s_delay_alu instid0(VALU_DEP_4) | instskip(SKIP_3) | instid1(VALU_DEP_3)
	v_xor3_b32 v2, v47, v2, v6
	s_add_u32 s0, s2, s0
	s_addc_u32 s1, s3, s1
	s_add_u32 s20, s0, 8
	v_xor3_b32 v0, v4, v44, v0
	v_mad_u64_u32 v[4:5], null, 0xcd9e8d57, v2, 0
	v_fmac_f32_e32 v19, v20, v9
	s_addc_u32 s21, s1, 0
	s_delay_alu instid0(VALU_DEP_3) | instskip(NEXT) | instid1(VALU_DEP_3)
	v_mad_u64_u32 v[6:7], null, 0xd2511f53, v0, 0
	v_xor3_b32 v0, v45, v5, v3
	s_delay_alu instid0(VALU_DEP_3) | instskip(NEXT) | instid1(VALU_DEP_3)
	v_fma_f32 v5, -v8, v19, v16
	v_xor3_b32 v3, v7, v14, v1
	s_delay_alu instid0(VALU_DEP_3) | instskip(NEXT) | instid1(VALU_DEP_3)
	v_mad_u64_u32 v[7:8], null, 0xd2511f53, v0, 0
	v_div_fmas_f32 v0, v5, v9, v19
	s_delay_alu instid0(VALU_DEP_3) | instskip(NEXT) | instid1(VALU_DEP_2)
	v_mad_u64_u32 v[1:2], null, 0xcd9e8d57, v3, 0
	v_div_fixup_f32 v48, v0, s28, 1.0
	s_delay_alu instid0(VALU_DEP_4) | instskip(NEXT) | instid1(VALU_DEP_3)
	v_mov_b32_e32 v3, v7
	v_xor3_b32 v0, v4, v2, v37
	v_xor3_b32 v2, v8, v6, v40
	s_branch .LBB47_8
.LBB47_7:                               ;   in Loop: Header=BB47_8 Depth=1
	s_or_b32 exec_lo, exec_lo, s1
	v_add_co_u32 v17, vcc_lo, v17, s27
	v_add_co_ci_u32_e32 v18, vcc_lo, 0, v18, vcc_lo
	v_mov_b32_e32 v7, v19
	v_dual_mov_b32 v0, v4 :: v_dual_mov_b32 v1, v5
	s_delay_alu instid0(VALU_DEP_3) | instskip(NEXT) | instid1(VALU_DEP_3)
	v_cmp_le_u64_e32 vcc_lo, s[8:9], v[17:18]
	v_dual_mov_b32 v2, v6 :: v_dual_mov_b32 v3, v7
	s_waitcnt vmcnt(0)
	s_waitcnt_vscnt null, 0x0
	s_barrier
	buffer_gl0_inv
	s_or_b32 s5, vcc_lo, s5
	s_delay_alu instid0(SALU_CYCLE_1)
	s_and_not1_b32 exec_lo, exec_lo, s5
	s_cbranch_execz .LBB47_62
.LBB47_8:                               ; =>This Loop Header: Depth=1
                                        ;     Child Loop BB47_20 Depth 2
                                        ;     Child Loop BB47_29 Depth 2
	;; [unrolled: 1-line block ×4, first 2 shown]
	v_add_co_u32 v28, vcc_lo, v28, 1
	s_delay_alu instid0(VALU_DEP_1) | instskip(SKIP_2) | instid1(VALU_DEP_1)
	v_cndmask_b32_e64 v4, 0, 1, vcc_lo
	v_add_co_ci_u32_e32 v29, vcc_lo, 0, v29, vcc_lo
	s_mov_b32 s0, exec_lo
	v_cmp_eq_u32_e32 vcc_lo, 0, v29
	s_delay_alu instid0(VALU_DEP_3) | instskip(NEXT) | instid1(VALU_DEP_1)
	v_cndmask_b32_e32 v4, 0, v4, vcc_lo
	v_add_nc_u32_e32 v13, v4, v13
	s_delay_alu instid0(VALU_DEP_1) | instskip(SKIP_2) | instid1(VALU_DEP_2)
	v_cmp_eq_u32_e32 vcc_lo, 0, v13
	v_cndmask_b32_e32 v4, 0, v4, vcc_lo
	v_mad_u64_u32 v[6:7], null, 0xcd9e8d57, v13, 0
	v_add_nc_u32_e32 v49, v4, v49
	v_mad_u64_u32 v[4:5], null, 0xd2511f53, v28, 0
	s_delay_alu instid0(VALU_DEP_3) | instskip(NEXT) | instid1(VALU_DEP_2)
	v_xor3_b32 v9, v7, v11, v29
	v_xor_b32_e32 v5, v5, v12
	s_delay_alu instid0(VALU_DEP_2) | instskip(NEXT) | instid1(VALU_DEP_2)
	v_mad_u64_u32 v[7:8], null, 0xd2511f53, v9, 0
	v_xor_b32_e32 v5, v49, v5
	s_delay_alu instid0(VALU_DEP_2) | instskip(NEXT) | instid1(VALU_DEP_2)
	v_xor3_b32 v8, v30, v8, v4
	v_mad_u64_u32 v[9:10], null, 0xcd9e8d57, v5, 0
	s_delay_alu instid0(VALU_DEP_2) | instskip(NEXT) | instid1(VALU_DEP_2)
	v_mad_u64_u32 v[4:5], null, 0xcd9e8d57, v8, 0
	v_xor3_b32 v6, v31, v10, v6
	s_delay_alu instid0(VALU_DEP_2) | instskip(NEXT) | instid1(VALU_DEP_2)
	v_xor3_b32 v8, v32, v5, v9
	v_mad_u64_u32 v[19:20], null, 0xd2511f53, v6, 0
	s_delay_alu instid0(VALU_DEP_2) | instskip(NEXT) | instid1(VALU_DEP_2)
	v_mad_u64_u32 v[5:6], null, 0xd2511f53, v8, 0
	v_xor3_b32 v9, v33, v20, v7
	s_delay_alu instid0(VALU_DEP_2) | instskip(NEXT) | instid1(VALU_DEP_2)
	v_xor3_b32 v6, v35, v6, v19
	v_mad_u64_u32 v[7:8], null, 0xcd9e8d57, v9, 0
	s_delay_alu instid0(VALU_DEP_1) | instskip(NEXT) | instid1(VALU_DEP_3)
	v_xor3_b32 v4, v34, v8, v4
	v_mad_u64_u32 v[8:9], null, 0xcd9e8d57, v6, 0
	s_delay_alu instid0(VALU_DEP_2) | instskip(NEXT) | instid1(VALU_DEP_2)
	v_mad_u64_u32 v[19:20], null, 0xd2511f53, v4, 0
	v_xor3_b32 v6, v38, v9, v7
	s_delay_alu instid0(VALU_DEP_2) | instskip(NEXT) | instid1(VALU_DEP_2)
	v_xor3_b32 v9, v39, v20, v5
	v_mad_u64_u32 v[4:5], null, 0xd2511f53, v6, 0
	s_delay_alu instid0(VALU_DEP_2) | instskip(NEXT) | instid1(VALU_DEP_2)
	v_mad_u64_u32 v[6:7], null, 0xcd9e8d57, v9, 0
	v_xor3_b32 v5, v42, v5, v19
	s_delay_alu instid0(VALU_DEP_2) | instskip(NEXT) | instid1(VALU_DEP_2)
	;; [unrolled: 6-line block ×6, first 2 shown]
	v_xor3_b32 v4, v6, v7, v37
	v_mov_b32_e32 v6, v10
	v_cmpx_lt_i32_e32 1, v36
	s_xor_b32 s0, exec_lo, s0
	s_cbranch_execnz .LBB47_11
; %bb.9:                                ;   in Loop: Header=BB47_8 Depth=1
	s_and_not1_saveexec_b32 s0, s0
	s_cbranch_execnz .LBB47_16
.LBB47_10:                              ;   in Loop: Header=BB47_8 Depth=1
	s_or_b32 exec_lo, exec_lo, s0
	v_cmp_gt_u64_e64 s0, s[6:7], v[17:18]
	s_delay_alu instid0(VALU_DEP_1)
	s_and_saveexec_b32 s4, s0
	s_cbranch_execnz .LBB47_19
	s_branch .LBB47_27
.LBB47_11:                              ;   in Loop: Header=BB47_8 Depth=1
	s_mov_b32 s1, exec_lo
	v_cmpx_lt_i32_e32 2, v36
	s_xor_b32 s1, exec_lo, s1
; %bb.12:                               ;   in Loop: Header=BB47_8 Depth=1
	v_dual_mov_b32 v7, v3 :: v_dual_mov_b32 v8, v4
	v_mov_b32_e32 v9, v5
	s_delay_alu instid0(VALU_DEP_2) | instskip(NEXT) | instid1(VALU_DEP_2)
	v_dual_mov_b32 v0, v7 :: v_dual_mov_b32 v1, v8
	v_dual_mov_b32 v2, v9 :: v_dual_mov_b32 v3, v10
; %bb.13:                               ;   in Loop: Header=BB47_8 Depth=1
	s_and_not1_saveexec_b32 s1, s1
; %bb.14:                               ;   in Loop: Header=BB47_8 Depth=1
	s_delay_alu instid0(VALU_DEP_1)
	v_dual_mov_b32 v0, v2 :: v_dual_mov_b32 v1, v3
	v_dual_mov_b32 v2, v4 :: v_dual_mov_b32 v3, v5
; %bb.15:                               ;   in Loop: Header=BB47_8 Depth=1
	s_or_b32 exec_lo, exec_lo, s1
	s_and_not1_saveexec_b32 s0, s0
	s_cbranch_execz .LBB47_10
.LBB47_16:                              ;   in Loop: Header=BB47_8 Depth=1
	s_mov_b32 s1, exec_lo
	v_cmpx_eq_u32_e32 1, v36
; %bb.17:                               ;   in Loop: Header=BB47_8 Depth=1
	v_dual_mov_b32 v0, v1 :: v_dual_mov_b32 v1, v2
	v_dual_mov_b32 v2, v3 :: v_dual_mov_b32 v3, v4
; %bb.18:                               ;   in Loop: Header=BB47_8 Depth=1
	s_or_b32 exec_lo, exec_lo, s1
	s_delay_alu instid0(SALU_CYCLE_1) | instskip(SKIP_1) | instid1(VALU_DEP_1)
	s_or_b32 exec_lo, exec_lo, s0
	v_cmp_gt_u64_e64 s0, s[6:7], v[17:18]
	s_and_saveexec_b32 s4, s0
	s_cbranch_execz .LBB47_27
.LBB47_19:                              ;   in Loop: Header=BB47_8 Depth=1
	v_mov_b32_e32 v7, 0
	v_dual_mov_b32 v8, 0 :: v_dual_mov_b32 v9, v17
	v_mov_b32_e32 v10, v18
	v_dual_mov_b32 v21, v18 :: v_dual_mov_b32 v20, v17
	s_and_not1_b32 vcc_lo, exec_lo, s30
	s_mov_b64 s[2:3], s[20:21]
	s_mov_b32 s24, s33
	s_cbranch_vccnz .LBB47_26
.LBB47_20:                              ;   Parent Loop BB47_8 Depth=1
                                        ; =>  This Inner Loop Header: Depth=2
	s_load_b64 s[22:23], s[2:3], 0x0
                                        ; implicit-def: $vgpr20_vgpr21
	s_mov_b32 s1, exec_lo
	s_waitcnt lgkmcnt(0)
	v_or_b32_e32 v16, s23, v10
	s_delay_alu instid0(VALU_DEP_1)
	v_cmpx_ne_u64_e32 0, v[15:16]
	s_xor_b32 s25, exec_lo, s1
	s_cbranch_execz .LBB47_22
; %bb.21:                               ;   in Loop: Header=BB47_20 Depth=2
	v_cvt_f32_u32_e32 v16, s22
	v_cvt_f32_u32_e32 v20, s23
	s_sub_u32 s1, 0, s22
	s_subb_u32 s34, 0, s23
	s_delay_alu instid0(VALU_DEP_1) | instskip(NEXT) | instid1(VALU_DEP_1)
	v_fmac_f32_e32 v16, 0x4f800000, v20
	v_rcp_f32_e32 v16, v16
	s_waitcnt_depctr 0xfff
	v_mul_f32_e32 v16, 0x5f7ffffc, v16
	s_delay_alu instid0(VALU_DEP_1) | instskip(NEXT) | instid1(VALU_DEP_1)
	v_mul_f32_e32 v20, 0x2f800000, v16
	v_trunc_f32_e32 v20, v20
	s_delay_alu instid0(VALU_DEP_1) | instskip(SKIP_1) | instid1(VALU_DEP_2)
	v_fmac_f32_e32 v16, 0xcf800000, v20
	v_cvt_u32_f32_e32 v20, v20
	v_cvt_u32_f32_e32 v16, v16
	s_delay_alu instid0(VALU_DEP_2) | instskip(NEXT) | instid1(VALU_DEP_2)
	v_mul_lo_u32 v21, s1, v20
	v_mul_hi_u32 v22, s1, v16
	v_mul_lo_u32 v23, s34, v16
	s_delay_alu instid0(VALU_DEP_2) | instskip(SKIP_1) | instid1(VALU_DEP_2)
	v_add_nc_u32_e32 v21, v22, v21
	v_mul_lo_u32 v22, s1, v16
	v_add_nc_u32_e32 v21, v21, v23
	s_delay_alu instid0(VALU_DEP_2) | instskip(NEXT) | instid1(VALU_DEP_2)
	v_mul_hi_u32 v23, v16, v22
	v_mul_lo_u32 v24, v16, v21
	v_mul_hi_u32 v25, v16, v21
	v_mul_hi_u32 v27, v20, v22
	v_mul_lo_u32 v22, v20, v22
	v_mul_hi_u32 v52, v20, v21
	v_mul_lo_u32 v21, v20, v21
	v_add_co_u32 v23, vcc_lo, v23, v24
	v_add_co_ci_u32_e32 v24, vcc_lo, 0, v25, vcc_lo
	s_delay_alu instid0(VALU_DEP_2) | instskip(NEXT) | instid1(VALU_DEP_2)
	v_add_co_u32 v22, vcc_lo, v23, v22
	v_add_co_ci_u32_e32 v22, vcc_lo, v24, v27, vcc_lo
	v_add_co_ci_u32_e32 v23, vcc_lo, 0, v52, vcc_lo
	s_delay_alu instid0(VALU_DEP_2) | instskip(NEXT) | instid1(VALU_DEP_2)
	v_add_co_u32 v21, vcc_lo, v22, v21
	v_add_co_ci_u32_e32 v22, vcc_lo, 0, v23, vcc_lo
	s_delay_alu instid0(VALU_DEP_2) | instskip(NEXT) | instid1(VALU_DEP_2)
	v_add_co_u32 v16, vcc_lo, v16, v21
	v_add_co_ci_u32_e32 v20, vcc_lo, v20, v22, vcc_lo
	s_delay_alu instid0(VALU_DEP_2) | instskip(SKIP_1) | instid1(VALU_DEP_3)
	v_mul_hi_u32 v21, s1, v16
	v_mul_lo_u32 v23, s34, v16
	v_mul_lo_u32 v22, s1, v20
	s_delay_alu instid0(VALU_DEP_1) | instskip(SKIP_1) | instid1(VALU_DEP_2)
	v_add_nc_u32_e32 v21, v21, v22
	v_mul_lo_u32 v22, s1, v16
	v_add_nc_u32_e32 v21, v21, v23
	s_delay_alu instid0(VALU_DEP_2) | instskip(NEXT) | instid1(VALU_DEP_2)
	v_mul_hi_u32 v23, v16, v22
	v_mul_lo_u32 v24, v16, v21
	v_mul_hi_u32 v25, v16, v21
	v_mul_hi_u32 v27, v20, v22
	v_mul_lo_u32 v22, v20, v22
	v_mul_hi_u32 v52, v20, v21
	v_mul_lo_u32 v21, v20, v21
	v_add_co_u32 v23, vcc_lo, v23, v24
	v_add_co_ci_u32_e32 v24, vcc_lo, 0, v25, vcc_lo
	s_delay_alu instid0(VALU_DEP_2) | instskip(NEXT) | instid1(VALU_DEP_2)
	v_add_co_u32 v22, vcc_lo, v23, v22
	v_add_co_ci_u32_e32 v22, vcc_lo, v24, v27, vcc_lo
	v_add_co_ci_u32_e32 v23, vcc_lo, 0, v52, vcc_lo
	s_delay_alu instid0(VALU_DEP_2) | instskip(NEXT) | instid1(VALU_DEP_2)
	v_add_co_u32 v21, vcc_lo, v22, v21
	v_add_co_ci_u32_e32 v22, vcc_lo, 0, v23, vcc_lo
	s_delay_alu instid0(VALU_DEP_2) | instskip(NEXT) | instid1(VALU_DEP_2)
	v_add_co_u32 v16, vcc_lo, v16, v21
	v_add_co_ci_u32_e32 v27, vcc_lo, v20, v22, vcc_lo
	s_delay_alu instid0(VALU_DEP_2) | instskip(SKIP_1) | instid1(VALU_DEP_3)
	v_mul_hi_u32 v52, v9, v16
	v_mad_u64_u32 v[22:23], null, v10, v16, 0
	v_mad_u64_u32 v[20:21], null, v9, v27, 0
	;; [unrolled: 1-line block ×3, first 2 shown]
	s_delay_alu instid0(VALU_DEP_2) | instskip(NEXT) | instid1(VALU_DEP_3)
	v_add_co_u32 v16, vcc_lo, v52, v20
	v_add_co_ci_u32_e32 v20, vcc_lo, 0, v21, vcc_lo
	s_delay_alu instid0(VALU_DEP_2) | instskip(NEXT) | instid1(VALU_DEP_2)
	v_add_co_u32 v16, vcc_lo, v16, v22
	v_add_co_ci_u32_e32 v16, vcc_lo, v20, v23, vcc_lo
	v_add_co_ci_u32_e32 v20, vcc_lo, 0, v25, vcc_lo
	s_delay_alu instid0(VALU_DEP_2) | instskip(NEXT) | instid1(VALU_DEP_2)
	v_add_co_u32 v16, vcc_lo, v16, v24
	v_add_co_ci_u32_e32 v22, vcc_lo, 0, v20, vcc_lo
	s_delay_alu instid0(VALU_DEP_2) | instskip(SKIP_1) | instid1(VALU_DEP_3)
	v_mul_lo_u32 v23, s23, v16
	v_mad_u64_u32 v[20:21], null, s22, v16, 0
	v_mul_lo_u32 v24, s22, v22
	s_delay_alu instid0(VALU_DEP_2) | instskip(NEXT) | instid1(VALU_DEP_2)
	v_sub_co_u32 v20, vcc_lo, v9, v20
	v_add3_u32 v21, v21, v24, v23
	s_delay_alu instid0(VALU_DEP_1) | instskip(NEXT) | instid1(VALU_DEP_1)
	v_sub_nc_u32_e32 v23, v10, v21
	v_subrev_co_ci_u32_e64 v23, s1, s23, v23, vcc_lo
	v_add_co_u32 v24, s1, v16, 2
	s_delay_alu instid0(VALU_DEP_1) | instskip(SKIP_3) | instid1(VALU_DEP_3)
	v_add_co_ci_u32_e64 v25, s1, 0, v22, s1
	v_sub_co_u32 v27, s1, v20, s22
	v_sub_co_ci_u32_e32 v21, vcc_lo, v10, v21, vcc_lo
	v_subrev_co_ci_u32_e64 v23, s1, 0, v23, s1
	v_cmp_le_u32_e32 vcc_lo, s22, v27
	s_delay_alu instid0(VALU_DEP_3) | instskip(SKIP_1) | instid1(VALU_DEP_4)
	v_cmp_eq_u32_e64 s1, s23, v21
	v_cndmask_b32_e64 v27, 0, -1, vcc_lo
	v_cmp_le_u32_e32 vcc_lo, s23, v23
	v_cndmask_b32_e64 v52, 0, -1, vcc_lo
	v_cmp_le_u32_e32 vcc_lo, s22, v20
	;; [unrolled: 2-line block ×3, first 2 shown]
	v_cndmask_b32_e64 v53, 0, -1, vcc_lo
	v_cmp_eq_u32_e32 vcc_lo, s23, v23
	s_delay_alu instid0(VALU_DEP_2) | instskip(SKIP_3) | instid1(VALU_DEP_3)
	v_cndmask_b32_e64 v20, v53, v20, s1
	v_cndmask_b32_e32 v23, v52, v27, vcc_lo
	v_add_co_u32 v27, vcc_lo, v16, 1
	v_add_co_ci_u32_e32 v52, vcc_lo, 0, v22, vcc_lo
	v_cmp_ne_u32_e32 vcc_lo, 0, v23
	s_delay_alu instid0(VALU_DEP_2) | instskip(NEXT) | instid1(VALU_DEP_4)
	v_cndmask_b32_e32 v21, v52, v25, vcc_lo
	v_cndmask_b32_e32 v23, v27, v24, vcc_lo
	v_cmp_ne_u32_e32 vcc_lo, 0, v20
	s_delay_alu instid0(VALU_DEP_2)
	v_dual_cndmask_b32 v21, v22, v21 :: v_dual_cndmask_b32 v20, v16, v23
.LBB47_22:                              ;   in Loop: Header=BB47_20 Depth=2
	s_and_not1_saveexec_b32 s1, s25
	s_cbranch_execz .LBB47_24
; %bb.23:                               ;   in Loop: Header=BB47_20 Depth=2
	v_cvt_f32_u32_e32 v16, s22
	s_sub_i32 s25, 0, s22
	s_delay_alu instid0(VALU_DEP_1) | instskip(SKIP_2) | instid1(VALU_DEP_1)
	v_rcp_iflag_f32_e32 v16, v16
	s_waitcnt_depctr 0xfff
	v_mul_f32_e32 v16, 0x4f7ffffe, v16
	v_cvt_u32_f32_e32 v16, v16
	s_delay_alu instid0(VALU_DEP_1) | instskip(NEXT) | instid1(VALU_DEP_1)
	v_mul_lo_u32 v20, s25, v16
	v_mul_hi_u32 v20, v16, v20
	s_delay_alu instid0(VALU_DEP_1) | instskip(NEXT) | instid1(VALU_DEP_1)
	v_add_nc_u32_e32 v16, v16, v20
	v_mul_hi_u32 v16, v9, v16
	s_delay_alu instid0(VALU_DEP_1) | instskip(NEXT) | instid1(VALU_DEP_1)
	v_mul_lo_u32 v20, v16, s22
	v_sub_nc_u32_e32 v20, v9, v20
	s_delay_alu instid0(VALU_DEP_1) | instskip(SKIP_1) | instid1(VALU_DEP_2)
	v_subrev_nc_u32_e32 v22, s22, v20
	v_cmp_le_u32_e32 vcc_lo, s22, v20
	v_dual_cndmask_b32 v20, v20, v22 :: v_dual_add_nc_u32 v21, 1, v16
	s_delay_alu instid0(VALU_DEP_1) | instskip(NEXT) | instid1(VALU_DEP_2)
	v_cndmask_b32_e32 v16, v16, v21, vcc_lo
	v_cmp_le_u32_e32 vcc_lo, s22, v20
	s_delay_alu instid0(VALU_DEP_2) | instskip(NEXT) | instid1(VALU_DEP_1)
	v_add_nc_u32_e32 v21, 1, v16
	v_dual_cndmask_b32 v20, v16, v21 :: v_dual_mov_b32 v21, v15
.LBB47_24:                              ;   in Loop: Header=BB47_20 Depth=2
	s_or_b32 exec_lo, exec_lo, s1
	s_load_b64 s[34:35], s[2:3], 0xc8
	s_delay_alu instid0(VALU_DEP_1) | instskip(NEXT) | instid1(VALU_DEP_2)
	v_mul_lo_u32 v16, v21, s22
	v_mul_lo_u32 v24, v20, s23
	v_mad_u64_u32 v[22:23], null, v20, s22, 0
	s_add_i32 s24, s24, -1
	s_add_u32 s2, s2, -8
	s_addc_u32 s3, s3, -1
	s_cmp_gt_u32 s24, 2
	s_delay_alu instid0(VALU_DEP_1) | instskip(NEXT) | instid1(VALU_DEP_2)
	v_add3_u32 v16, v23, v24, v16
	v_sub_co_u32 v22, vcc_lo, v9, v22
	s_delay_alu instid0(VALU_DEP_2) | instskip(SKIP_1) | instid1(VALU_DEP_2)
	v_sub_co_ci_u32_e32 v9, vcc_lo, v10, v16, vcc_lo
	s_waitcnt lgkmcnt(0)
	v_mul_lo_u32 v23, s35, v22
	s_delay_alu instid0(VALU_DEP_2) | instskip(SKIP_1) | instid1(VALU_DEP_1)
	v_mul_lo_u32 v16, s34, v9
	v_mad_u64_u32 v[9:10], null, s34, v22, v[7:8]
	v_add3_u32 v8, v23, v10, v16
	s_delay_alu instid0(VALU_DEP_2)
	v_mov_b32_e32 v7, v9
	s_cbranch_scc0 .LBB47_26
; %bb.25:                               ;   in Loop: Header=BB47_20 Depth=2
	v_dual_mov_b32 v9, v20 :: v_dual_mov_b32 v10, v21
	s_branch .LBB47_20
.LBB47_26:                              ;   in Loop: Header=BB47_8 Depth=1
	v_mul_lo_u32 v16, s17, v20
	v_mul_lo_u32 v21, s16, v21
	v_mad_u64_u32 v[9:10], null, s16, v20, 0
	v_lshlrev_b64 v[7:8], 1, v[7:8]
	s_delay_alu instid0(VALU_DEP_2) | instskip(NEXT) | instid1(VALU_DEP_1)
	v_add3_u32 v10, v10, v21, v16
	v_lshlrev_b64 v[9:10], 1, v[9:10]
	s_delay_alu instid0(VALU_DEP_1) | instskip(NEXT) | instid1(VALU_DEP_2)
	v_add_co_u32 v9, vcc_lo, s18, v9
	v_add_co_ci_u32_e32 v10, vcc_lo, s19, v10, vcc_lo
	s_delay_alu instid0(VALU_DEP_2) | instskip(NEXT) | instid1(VALU_DEP_2)
	v_add_co_u32 v7, vcc_lo, v9, v7
	v_add_co_ci_u32_e32 v8, vcc_lo, v10, v8, vcc_lo
	global_load_u16 v52, v[7:8], off
.LBB47_27:                              ;   in Loop: Header=BB47_8 Depth=1
	s_or_b32 exec_lo, exec_lo, s4
	v_add_co_u32 v7, vcc_lo, v17, s26
	v_add_co_ci_u32_e32 v8, vcc_lo, 0, v18, vcc_lo
	s_delay_alu instid0(VALU_DEP_1) | instskip(NEXT) | instid1(VALU_DEP_1)
	v_cmp_gt_u64_e64 s1, s[6:7], v[7:8]
	s_and_saveexec_b32 s3, s1
	s_cbranch_execz .LBB47_36
; %bb.28:                               ;   in Loop: Header=BB47_8 Depth=1
	v_mov_b32_e32 v9, 0
	v_dual_mov_b32 v10, 0 :: v_dual_mov_b32 v21, v8
	v_dual_mov_b32 v20, v7 :: v_dual_mov_b32 v23, v8
	v_mov_b32_e32 v22, v7
	s_and_not1_b32 vcc_lo, exec_lo, s30
	s_mov_b64 s[22:23], s[20:21]
	s_mov_b32 s4, s33
	s_cbranch_vccnz .LBB47_35
.LBB47_29:                              ;   Parent Loop BB47_8 Depth=1
                                        ; =>  This Inner Loop Header: Depth=2
	s_load_b64 s[24:25], s[22:23], 0x0
                                        ; implicit-def: $vgpr22_vgpr23
	s_mov_b32 s2, exec_lo
	s_waitcnt lgkmcnt(0)
	v_or_b32_e32 v16, s25, v21
	s_delay_alu instid0(VALU_DEP_1)
	v_cmpx_ne_u64_e32 0, v[15:16]
	s_xor_b32 s34, exec_lo, s2
	s_cbranch_execz .LBB47_31
; %bb.30:                               ;   in Loop: Header=BB47_29 Depth=2
	v_cvt_f32_u32_e32 v16, s24
	v_cvt_f32_u32_e32 v22, s25
	s_sub_u32 s2, 0, s24
	s_subb_u32 s35, 0, s25
	s_delay_alu instid0(VALU_DEP_1) | instskip(NEXT) | instid1(VALU_DEP_1)
	v_fmac_f32_e32 v16, 0x4f800000, v22
	v_rcp_f32_e32 v16, v16
	s_waitcnt_depctr 0xfff
	v_mul_f32_e32 v16, 0x5f7ffffc, v16
	s_delay_alu instid0(VALU_DEP_1) | instskip(NEXT) | instid1(VALU_DEP_1)
	v_mul_f32_e32 v22, 0x2f800000, v16
	v_trunc_f32_e32 v22, v22
	s_delay_alu instid0(VALU_DEP_1) | instskip(SKIP_1) | instid1(VALU_DEP_2)
	v_fmac_f32_e32 v16, 0xcf800000, v22
	v_cvt_u32_f32_e32 v22, v22
	v_cvt_u32_f32_e32 v16, v16
	s_delay_alu instid0(VALU_DEP_2) | instskip(NEXT) | instid1(VALU_DEP_2)
	v_mul_lo_u32 v23, s2, v22
	v_mul_hi_u32 v24, s2, v16
	v_mul_lo_u32 v25, s35, v16
	s_delay_alu instid0(VALU_DEP_2) | instskip(SKIP_1) | instid1(VALU_DEP_2)
	v_add_nc_u32_e32 v23, v24, v23
	v_mul_lo_u32 v24, s2, v16
	v_add_nc_u32_e32 v23, v23, v25
	s_delay_alu instid0(VALU_DEP_2) | instskip(NEXT) | instid1(VALU_DEP_2)
	v_mul_hi_u32 v25, v16, v24
	v_mul_lo_u32 v27, v16, v23
	v_mul_hi_u32 v51, v16, v23
	v_mul_hi_u32 v53, v22, v24
	v_mul_lo_u32 v24, v22, v24
	v_mul_hi_u32 v54, v22, v23
	v_mul_lo_u32 v23, v22, v23
	v_add_co_u32 v25, vcc_lo, v25, v27
	v_add_co_ci_u32_e32 v27, vcc_lo, 0, v51, vcc_lo
	s_delay_alu instid0(VALU_DEP_2) | instskip(NEXT) | instid1(VALU_DEP_2)
	v_add_co_u32 v24, vcc_lo, v25, v24
	v_add_co_ci_u32_e32 v24, vcc_lo, v27, v53, vcc_lo
	v_add_co_ci_u32_e32 v25, vcc_lo, 0, v54, vcc_lo
	s_delay_alu instid0(VALU_DEP_2) | instskip(NEXT) | instid1(VALU_DEP_2)
	v_add_co_u32 v23, vcc_lo, v24, v23
	v_add_co_ci_u32_e32 v24, vcc_lo, 0, v25, vcc_lo
	s_delay_alu instid0(VALU_DEP_2) | instskip(NEXT) | instid1(VALU_DEP_2)
	v_add_co_u32 v16, vcc_lo, v16, v23
	v_add_co_ci_u32_e32 v22, vcc_lo, v22, v24, vcc_lo
	s_delay_alu instid0(VALU_DEP_2) | instskip(SKIP_1) | instid1(VALU_DEP_3)
	v_mul_hi_u32 v23, s2, v16
	v_mul_lo_u32 v25, s35, v16
	v_mul_lo_u32 v24, s2, v22
	s_delay_alu instid0(VALU_DEP_1) | instskip(SKIP_1) | instid1(VALU_DEP_2)
	v_add_nc_u32_e32 v23, v23, v24
	v_mul_lo_u32 v24, s2, v16
	v_add_nc_u32_e32 v23, v23, v25
	s_delay_alu instid0(VALU_DEP_2) | instskip(NEXT) | instid1(VALU_DEP_2)
	v_mul_hi_u32 v25, v16, v24
	v_mul_lo_u32 v27, v16, v23
	v_mul_hi_u32 v51, v16, v23
	v_mul_hi_u32 v53, v22, v24
	v_mul_lo_u32 v24, v22, v24
	v_mul_hi_u32 v54, v22, v23
	v_mul_lo_u32 v23, v22, v23
	v_add_co_u32 v25, vcc_lo, v25, v27
	v_add_co_ci_u32_e32 v27, vcc_lo, 0, v51, vcc_lo
	s_delay_alu instid0(VALU_DEP_2) | instskip(NEXT) | instid1(VALU_DEP_2)
	v_add_co_u32 v24, vcc_lo, v25, v24
	v_add_co_ci_u32_e32 v24, vcc_lo, v27, v53, vcc_lo
	v_add_co_ci_u32_e32 v25, vcc_lo, 0, v54, vcc_lo
	s_delay_alu instid0(VALU_DEP_2) | instskip(NEXT) | instid1(VALU_DEP_2)
	v_add_co_u32 v23, vcc_lo, v24, v23
	v_add_co_ci_u32_e32 v24, vcc_lo, 0, v25, vcc_lo
	s_delay_alu instid0(VALU_DEP_2) | instskip(NEXT) | instid1(VALU_DEP_2)
	v_add_co_u32 v16, vcc_lo, v16, v23
	v_add_co_ci_u32_e32 v27, vcc_lo, v22, v24, vcc_lo
	s_delay_alu instid0(VALU_DEP_2) | instskip(SKIP_1) | instid1(VALU_DEP_3)
	v_mul_hi_u32 v51, v20, v16
	v_mad_u64_u32 v[24:25], null, v21, v16, 0
	v_mad_u64_u32 v[22:23], null, v20, v27, 0
	;; [unrolled: 1-line block ×3, first 2 shown]
	s_delay_alu instid0(VALU_DEP_2) | instskip(NEXT) | instid1(VALU_DEP_3)
	v_add_co_u32 v16, vcc_lo, v51, v22
	v_add_co_ci_u32_e32 v22, vcc_lo, 0, v23, vcc_lo
	s_delay_alu instid0(VALU_DEP_2) | instskip(NEXT) | instid1(VALU_DEP_2)
	v_add_co_u32 v16, vcc_lo, v16, v24
	v_add_co_ci_u32_e32 v16, vcc_lo, v22, v25, vcc_lo
	v_add_co_ci_u32_e32 v22, vcc_lo, 0, v54, vcc_lo
	s_delay_alu instid0(VALU_DEP_2) | instskip(NEXT) | instid1(VALU_DEP_2)
	v_add_co_u32 v16, vcc_lo, v16, v53
	v_add_co_ci_u32_e32 v24, vcc_lo, 0, v22, vcc_lo
	s_delay_alu instid0(VALU_DEP_2) | instskip(SKIP_1) | instid1(VALU_DEP_3)
	v_mul_lo_u32 v25, s25, v16
	v_mad_u64_u32 v[22:23], null, s24, v16, 0
	v_mul_lo_u32 v27, s24, v24
	s_delay_alu instid0(VALU_DEP_2) | instskip(NEXT) | instid1(VALU_DEP_2)
	v_sub_co_u32 v22, vcc_lo, v20, v22
	v_add3_u32 v23, v23, v27, v25
	s_delay_alu instid0(VALU_DEP_1) | instskip(NEXT) | instid1(VALU_DEP_1)
	v_sub_nc_u32_e32 v25, v21, v23
	v_subrev_co_ci_u32_e64 v25, s2, s25, v25, vcc_lo
	v_add_co_u32 v27, s2, v16, 2
	s_delay_alu instid0(VALU_DEP_1) | instskip(SKIP_3) | instid1(VALU_DEP_3)
	v_add_co_ci_u32_e64 v51, s2, 0, v24, s2
	v_sub_co_u32 v53, s2, v22, s24
	v_sub_co_ci_u32_e32 v23, vcc_lo, v21, v23, vcc_lo
	v_subrev_co_ci_u32_e64 v25, s2, 0, v25, s2
	v_cmp_le_u32_e32 vcc_lo, s24, v53
	s_delay_alu instid0(VALU_DEP_3) | instskip(SKIP_1) | instid1(VALU_DEP_4)
	v_cmp_eq_u32_e64 s2, s25, v23
	v_cndmask_b32_e64 v53, 0, -1, vcc_lo
	v_cmp_le_u32_e32 vcc_lo, s25, v25
	v_cndmask_b32_e64 v54, 0, -1, vcc_lo
	v_cmp_le_u32_e32 vcc_lo, s24, v22
	;; [unrolled: 2-line block ×3, first 2 shown]
	v_cndmask_b32_e64 v55, 0, -1, vcc_lo
	v_cmp_eq_u32_e32 vcc_lo, s25, v25
	s_delay_alu instid0(VALU_DEP_2) | instskip(SKIP_3) | instid1(VALU_DEP_3)
	v_cndmask_b32_e64 v22, v55, v22, s2
	v_cndmask_b32_e32 v25, v54, v53, vcc_lo
	v_add_co_u32 v53, vcc_lo, v16, 1
	v_add_co_ci_u32_e32 v54, vcc_lo, 0, v24, vcc_lo
	v_cmp_ne_u32_e32 vcc_lo, 0, v25
	s_delay_alu instid0(VALU_DEP_3) | instskip(NEXT) | instid1(VALU_DEP_3)
	v_cndmask_b32_e32 v25, v53, v27, vcc_lo
	v_cndmask_b32_e32 v23, v54, v51, vcc_lo
	v_cmp_ne_u32_e32 vcc_lo, 0, v22
	s_delay_alu instid0(VALU_DEP_3) | instskip(NEXT) | instid1(VALU_DEP_3)
	v_cndmask_b32_e32 v22, v16, v25, vcc_lo
	v_cndmask_b32_e32 v23, v24, v23, vcc_lo
.LBB47_31:                              ;   in Loop: Header=BB47_29 Depth=2
	s_and_not1_saveexec_b32 s2, s34
	s_cbranch_execz .LBB47_33
; %bb.32:                               ;   in Loop: Header=BB47_29 Depth=2
	v_cvt_f32_u32_e32 v16, s24
	s_sub_i32 s34, 0, s24
	s_delay_alu instid0(VALU_DEP_1) | instskip(SKIP_2) | instid1(VALU_DEP_1)
	v_rcp_iflag_f32_e32 v16, v16
	s_waitcnt_depctr 0xfff
	v_mul_f32_e32 v16, 0x4f7ffffe, v16
	v_cvt_u32_f32_e32 v16, v16
	s_delay_alu instid0(VALU_DEP_1) | instskip(NEXT) | instid1(VALU_DEP_1)
	v_mul_lo_u32 v22, s34, v16
	v_mul_hi_u32 v22, v16, v22
	s_delay_alu instid0(VALU_DEP_1) | instskip(NEXT) | instid1(VALU_DEP_1)
	v_add_nc_u32_e32 v16, v16, v22
	v_mul_hi_u32 v16, v20, v16
	s_delay_alu instid0(VALU_DEP_1) | instskip(SKIP_1) | instid1(VALU_DEP_2)
	v_mul_lo_u32 v22, v16, s24
	v_add_nc_u32_e32 v23, 1, v16
	v_sub_nc_u32_e32 v22, v20, v22
	s_delay_alu instid0(VALU_DEP_1) | instskip(SKIP_1) | instid1(VALU_DEP_2)
	v_subrev_nc_u32_e32 v24, s24, v22
	v_cmp_le_u32_e32 vcc_lo, s24, v22
	v_cndmask_b32_e32 v22, v22, v24, vcc_lo
	v_cndmask_b32_e32 v16, v16, v23, vcc_lo
	s_delay_alu instid0(VALU_DEP_2) | instskip(NEXT) | instid1(VALU_DEP_2)
	v_cmp_le_u32_e32 vcc_lo, s24, v22
	v_add_nc_u32_e32 v23, 1, v16
	s_delay_alu instid0(VALU_DEP_1)
	v_dual_cndmask_b32 v22, v16, v23 :: v_dual_mov_b32 v23, v15
.LBB47_33:                              ;   in Loop: Header=BB47_29 Depth=2
	s_or_b32 exec_lo, exec_lo, s2
	s_load_b64 s[34:35], s[22:23], 0xc8
	s_delay_alu instid0(VALU_DEP_1) | instskip(NEXT) | instid1(VALU_DEP_2)
	v_mul_lo_u32 v16, v23, s24
	v_mul_lo_u32 v27, v22, s25
	v_mad_u64_u32 v[24:25], null, v22, s24, 0
	s_add_i32 s4, s4, -1
	s_add_u32 s22, s22, -8
	s_addc_u32 s23, s23, -1
	s_cmp_gt_u32 s4, 2
	s_delay_alu instid0(VALU_DEP_1) | instskip(NEXT) | instid1(VALU_DEP_2)
	v_add3_u32 v16, v25, v27, v16
	v_sub_co_u32 v24, vcc_lo, v20, v24
	s_delay_alu instid0(VALU_DEP_2) | instskip(SKIP_1) | instid1(VALU_DEP_2)
	v_sub_co_ci_u32_e32 v16, vcc_lo, v21, v16, vcc_lo
	s_waitcnt lgkmcnt(0)
	v_mul_lo_u32 v25, s35, v24
	s_delay_alu instid0(VALU_DEP_2) | instskip(SKIP_1) | instid1(VALU_DEP_1)
	v_mul_lo_u32 v16, s34, v16
	v_mad_u64_u32 v[20:21], null, s34, v24, v[9:10]
	v_add3_u32 v10, v25, v21, v16
	s_delay_alu instid0(VALU_DEP_2)
	v_mov_b32_e32 v9, v20
	s_cbranch_scc0 .LBB47_35
; %bb.34:                               ;   in Loop: Header=BB47_29 Depth=2
	v_dual_mov_b32 v20, v22 :: v_dual_mov_b32 v21, v23
	s_branch .LBB47_29
.LBB47_35:                              ;   in Loop: Header=BB47_8 Depth=1
	v_mul_lo_u32 v16, s17, v22
	v_mul_lo_u32 v23, s16, v23
	v_mad_u64_u32 v[20:21], null, s16, v22, 0
	v_lshlrev_b64 v[9:10], 1, v[9:10]
	s_delay_alu instid0(VALU_DEP_2) | instskip(NEXT) | instid1(VALU_DEP_1)
	v_add3_u32 v21, v21, v23, v16
	v_lshlrev_b64 v[20:21], 1, v[20:21]
	s_delay_alu instid0(VALU_DEP_1) | instskip(NEXT) | instid1(VALU_DEP_2)
	v_add_co_u32 v16, vcc_lo, s18, v20
	v_add_co_ci_u32_e32 v20, vcc_lo, s19, v21, vcc_lo
	s_delay_alu instid0(VALU_DEP_2) | instskip(NEXT) | instid1(VALU_DEP_2)
	v_add_co_u32 v9, vcc_lo, v16, v9
	v_add_co_ci_u32_e32 v10, vcc_lo, v20, v10, vcc_lo
	global_load_u16 v51, v[9:10], off
.LBB47_36:                              ;   in Loop: Header=BB47_8 Depth=1
	s_or_b32 exec_lo, exec_lo, s3
	v_add_co_u32 v9, vcc_lo, v17, s31
	v_add_co_ci_u32_e32 v10, vcc_lo, 0, v18, vcc_lo
	s_delay_alu instid0(VALU_DEP_1) | instskip(NEXT) | instid1(VALU_DEP_1)
	v_cmp_gt_u64_e64 s2, s[6:7], v[9:10]
	s_and_saveexec_b32 s4, s2
	s_cbranch_execz .LBB47_45
; %bb.37:                               ;   in Loop: Header=BB47_8 Depth=1
	v_dual_mov_b32 v20, 0 :: v_dual_mov_b32 v23, v10
	v_dual_mov_b32 v21, 0 :: v_dual_mov_b32 v22, v9
	;; [unrolled: 1-line block ×3, first 2 shown]
	s_and_not1_b32 vcc_lo, exec_lo, s30
	s_mov_b64 s[22:23], s[20:21]
	s_mov_b32 s34, s33
	s_cbranch_vccnz .LBB47_44
.LBB47_38:                              ;   Parent Loop BB47_8 Depth=1
                                        ; =>  This Inner Loop Header: Depth=2
	s_load_b64 s[24:25], s[22:23], 0x0
                                        ; implicit-def: $vgpr24_vgpr25
	s_mov_b32 s3, exec_lo
	s_waitcnt lgkmcnt(0)
	v_or_b32_e32 v16, s25, v23
	s_delay_alu instid0(VALU_DEP_1)
	v_cmpx_ne_u64_e32 0, v[15:16]
	s_xor_b32 s35, exec_lo, s3
	s_cbranch_execz .LBB47_40
; %bb.39:                               ;   in Loop: Header=BB47_38 Depth=2
	v_cvt_f32_u32_e32 v16, s24
	v_cvt_f32_u32_e32 v24, s25
	s_sub_u32 s3, 0, s24
	s_subb_u32 s36, 0, s25
	s_delay_alu instid0(VALU_DEP_1) | instskip(NEXT) | instid1(VALU_DEP_1)
	v_fmac_f32_e32 v16, 0x4f800000, v24
	v_rcp_f32_e32 v16, v16
	s_waitcnt_depctr 0xfff
	v_mul_f32_e32 v16, 0x5f7ffffc, v16
	s_delay_alu instid0(VALU_DEP_1) | instskip(NEXT) | instid1(VALU_DEP_1)
	v_mul_f32_e32 v24, 0x2f800000, v16
	v_trunc_f32_e32 v24, v24
	s_delay_alu instid0(VALU_DEP_1) | instskip(SKIP_1) | instid1(VALU_DEP_2)
	v_fmac_f32_e32 v16, 0xcf800000, v24
	v_cvt_u32_f32_e32 v24, v24
	v_cvt_u32_f32_e32 v16, v16
	s_delay_alu instid0(VALU_DEP_2) | instskip(NEXT) | instid1(VALU_DEP_2)
	v_mul_lo_u32 v25, s3, v24
	v_mul_hi_u32 v27, s3, v16
	v_mul_lo_u32 v50, s36, v16
	s_delay_alu instid0(VALU_DEP_2) | instskip(SKIP_1) | instid1(VALU_DEP_2)
	v_add_nc_u32_e32 v25, v27, v25
	v_mul_lo_u32 v27, s3, v16
	v_add_nc_u32_e32 v25, v25, v50
	s_delay_alu instid0(VALU_DEP_2) | instskip(NEXT) | instid1(VALU_DEP_2)
	v_mul_hi_u32 v50, v16, v27
	v_mul_lo_u32 v53, v16, v25
	v_mul_hi_u32 v54, v16, v25
	v_mul_hi_u32 v55, v24, v27
	v_mul_lo_u32 v27, v24, v27
	v_mul_hi_u32 v56, v24, v25
	v_mul_lo_u32 v25, v24, v25
	v_add_co_u32 v50, vcc_lo, v50, v53
	v_add_co_ci_u32_e32 v53, vcc_lo, 0, v54, vcc_lo
	s_delay_alu instid0(VALU_DEP_2) | instskip(NEXT) | instid1(VALU_DEP_2)
	v_add_co_u32 v27, vcc_lo, v50, v27
	v_add_co_ci_u32_e32 v27, vcc_lo, v53, v55, vcc_lo
	v_add_co_ci_u32_e32 v50, vcc_lo, 0, v56, vcc_lo
	s_delay_alu instid0(VALU_DEP_2) | instskip(NEXT) | instid1(VALU_DEP_2)
	v_add_co_u32 v25, vcc_lo, v27, v25
	v_add_co_ci_u32_e32 v27, vcc_lo, 0, v50, vcc_lo
	s_delay_alu instid0(VALU_DEP_2) | instskip(NEXT) | instid1(VALU_DEP_2)
	v_add_co_u32 v16, vcc_lo, v16, v25
	v_add_co_ci_u32_e32 v24, vcc_lo, v24, v27, vcc_lo
	s_delay_alu instid0(VALU_DEP_2) | instskip(SKIP_1) | instid1(VALU_DEP_3)
	v_mul_hi_u32 v25, s3, v16
	v_mul_lo_u32 v50, s36, v16
	v_mul_lo_u32 v27, s3, v24
	s_delay_alu instid0(VALU_DEP_1) | instskip(SKIP_1) | instid1(VALU_DEP_2)
	v_add_nc_u32_e32 v25, v25, v27
	v_mul_lo_u32 v27, s3, v16
	v_add_nc_u32_e32 v25, v25, v50
	s_delay_alu instid0(VALU_DEP_2) | instskip(NEXT) | instid1(VALU_DEP_2)
	v_mul_hi_u32 v50, v16, v27
	v_mul_lo_u32 v53, v16, v25
	v_mul_hi_u32 v54, v16, v25
	v_mul_hi_u32 v55, v24, v27
	v_mul_lo_u32 v27, v24, v27
	v_mul_hi_u32 v56, v24, v25
	v_mul_lo_u32 v25, v24, v25
	v_add_co_u32 v50, vcc_lo, v50, v53
	v_add_co_ci_u32_e32 v53, vcc_lo, 0, v54, vcc_lo
	s_delay_alu instid0(VALU_DEP_2) | instskip(NEXT) | instid1(VALU_DEP_2)
	v_add_co_u32 v27, vcc_lo, v50, v27
	v_add_co_ci_u32_e32 v27, vcc_lo, v53, v55, vcc_lo
	v_add_co_ci_u32_e32 v50, vcc_lo, 0, v56, vcc_lo
	s_delay_alu instid0(VALU_DEP_2) | instskip(NEXT) | instid1(VALU_DEP_2)
	v_add_co_u32 v25, vcc_lo, v27, v25
	v_add_co_ci_u32_e32 v27, vcc_lo, 0, v50, vcc_lo
	s_delay_alu instid0(VALU_DEP_2) | instskip(NEXT) | instid1(VALU_DEP_2)
	v_add_co_u32 v16, vcc_lo, v16, v25
	v_add_co_ci_u32_e32 v27, vcc_lo, v24, v27, vcc_lo
	s_delay_alu instid0(VALU_DEP_2) | instskip(SKIP_1) | instid1(VALU_DEP_3)
	v_mul_hi_u32 v50, v22, v16
	v_mad_u64_u32 v[53:54], null, v23, v16, 0
	v_mad_u64_u32 v[24:25], null, v22, v27, 0
	;; [unrolled: 1-line block ×3, first 2 shown]
	s_delay_alu instid0(VALU_DEP_2) | instskip(NEXT) | instid1(VALU_DEP_3)
	v_add_co_u32 v16, vcc_lo, v50, v24
	v_add_co_ci_u32_e32 v24, vcc_lo, 0, v25, vcc_lo
	s_delay_alu instid0(VALU_DEP_2) | instskip(NEXT) | instid1(VALU_DEP_2)
	v_add_co_u32 v16, vcc_lo, v16, v53
	v_add_co_ci_u32_e32 v16, vcc_lo, v24, v54, vcc_lo
	v_add_co_ci_u32_e32 v24, vcc_lo, 0, v56, vcc_lo
	s_delay_alu instid0(VALU_DEP_2) | instskip(NEXT) | instid1(VALU_DEP_2)
	v_add_co_u32 v16, vcc_lo, v16, v55
	v_add_co_ci_u32_e32 v27, vcc_lo, 0, v24, vcc_lo
	s_delay_alu instid0(VALU_DEP_2) | instskip(SKIP_1) | instid1(VALU_DEP_3)
	v_mul_lo_u32 v50, s25, v16
	v_mad_u64_u32 v[24:25], null, s24, v16, 0
	v_mul_lo_u32 v53, s24, v27
	s_delay_alu instid0(VALU_DEP_2) | instskip(NEXT) | instid1(VALU_DEP_2)
	v_sub_co_u32 v24, vcc_lo, v22, v24
	v_add3_u32 v25, v25, v53, v50
	s_delay_alu instid0(VALU_DEP_1) | instskip(NEXT) | instid1(VALU_DEP_1)
	v_sub_nc_u32_e32 v50, v23, v25
	v_subrev_co_ci_u32_e64 v50, s3, s25, v50, vcc_lo
	v_add_co_u32 v53, s3, v16, 2
	s_delay_alu instid0(VALU_DEP_1) | instskip(SKIP_3) | instid1(VALU_DEP_3)
	v_add_co_ci_u32_e64 v54, s3, 0, v27, s3
	v_sub_co_u32 v55, s3, v24, s24
	v_sub_co_ci_u32_e32 v25, vcc_lo, v23, v25, vcc_lo
	v_subrev_co_ci_u32_e64 v50, s3, 0, v50, s3
	v_cmp_le_u32_e32 vcc_lo, s24, v55
	s_delay_alu instid0(VALU_DEP_3) | instskip(SKIP_1) | instid1(VALU_DEP_4)
	v_cmp_eq_u32_e64 s3, s25, v25
	v_cndmask_b32_e64 v55, 0, -1, vcc_lo
	v_cmp_le_u32_e32 vcc_lo, s25, v50
	v_cndmask_b32_e64 v56, 0, -1, vcc_lo
	v_cmp_le_u32_e32 vcc_lo, s24, v24
	;; [unrolled: 2-line block ×3, first 2 shown]
	v_cndmask_b32_e64 v57, 0, -1, vcc_lo
	v_cmp_eq_u32_e32 vcc_lo, s25, v50
	s_delay_alu instid0(VALU_DEP_2) | instskip(SKIP_3) | instid1(VALU_DEP_3)
	v_cndmask_b32_e64 v24, v57, v24, s3
	v_cndmask_b32_e32 v50, v56, v55, vcc_lo
	v_add_co_u32 v55, vcc_lo, v16, 1
	v_add_co_ci_u32_e32 v56, vcc_lo, 0, v27, vcc_lo
	v_cmp_ne_u32_e32 vcc_lo, 0, v50
	s_delay_alu instid0(VALU_DEP_2) | instskip(SKIP_1) | instid1(VALU_DEP_2)
	v_dual_cndmask_b32 v25, v56, v54 :: v_dual_cndmask_b32 v50, v55, v53
	v_cmp_ne_u32_e32 vcc_lo, 0, v24
	v_dual_cndmask_b32 v25, v27, v25 :: v_dual_cndmask_b32 v24, v16, v50
.LBB47_40:                              ;   in Loop: Header=BB47_38 Depth=2
	s_and_not1_saveexec_b32 s3, s35
	s_cbranch_execz .LBB47_42
; %bb.41:                               ;   in Loop: Header=BB47_38 Depth=2
	v_cvt_f32_u32_e32 v16, s24
	s_sub_i32 s35, 0, s24
	s_delay_alu instid0(VALU_DEP_1) | instskip(SKIP_2) | instid1(VALU_DEP_1)
	v_rcp_iflag_f32_e32 v16, v16
	s_waitcnt_depctr 0xfff
	v_mul_f32_e32 v16, 0x4f7ffffe, v16
	v_cvt_u32_f32_e32 v16, v16
	s_delay_alu instid0(VALU_DEP_1) | instskip(NEXT) | instid1(VALU_DEP_1)
	v_mul_lo_u32 v24, s35, v16
	v_mul_hi_u32 v24, v16, v24
	s_delay_alu instid0(VALU_DEP_1) | instskip(NEXT) | instid1(VALU_DEP_1)
	v_add_nc_u32_e32 v16, v16, v24
	v_mul_hi_u32 v16, v22, v16
	s_delay_alu instid0(VALU_DEP_1) | instskip(NEXT) | instid1(VALU_DEP_1)
	v_mul_lo_u32 v24, v16, s24
	v_sub_nc_u32_e32 v24, v22, v24
	s_delay_alu instid0(VALU_DEP_1) | instskip(SKIP_1) | instid1(VALU_DEP_2)
	v_subrev_nc_u32_e32 v27, s24, v24
	v_cmp_le_u32_e32 vcc_lo, s24, v24
	v_dual_cndmask_b32 v24, v24, v27 :: v_dual_add_nc_u32 v25, 1, v16
	s_delay_alu instid0(VALU_DEP_1) | instskip(NEXT) | instid1(VALU_DEP_2)
	v_cndmask_b32_e32 v16, v16, v25, vcc_lo
	v_cmp_le_u32_e32 vcc_lo, s24, v24
	s_delay_alu instid0(VALU_DEP_2) | instskip(NEXT) | instid1(VALU_DEP_1)
	v_add_nc_u32_e32 v25, 1, v16
	v_dual_cndmask_b32 v24, v16, v25 :: v_dual_mov_b32 v25, v15
.LBB47_42:                              ;   in Loop: Header=BB47_38 Depth=2
	s_or_b32 exec_lo, exec_lo, s3
	s_load_b64 s[36:37], s[22:23], 0xc8
	s_delay_alu instid0(VALU_DEP_1) | instskip(NEXT) | instid1(VALU_DEP_2)
	v_mul_lo_u32 v16, v25, s24
	v_mul_lo_u32 v27, v24, s25
	v_mad_u64_u32 v[53:54], null, v24, s24, 0
	s_add_i32 s34, s34, -1
	s_add_u32 s22, s22, -8
	s_addc_u32 s23, s23, -1
	s_cmp_gt_u32 s34, 2
	s_delay_alu instid0(VALU_DEP_1) | instskip(NEXT) | instid1(VALU_DEP_2)
	v_add3_u32 v16, v54, v27, v16
	v_sub_co_u32 v27, vcc_lo, v22, v53
	s_delay_alu instid0(VALU_DEP_2) | instskip(SKIP_1) | instid1(VALU_DEP_2)
	v_sub_co_ci_u32_e32 v16, vcc_lo, v23, v16, vcc_lo
	s_waitcnt lgkmcnt(0)
	v_mul_lo_u32 v50, s37, v27
	s_delay_alu instid0(VALU_DEP_2) | instskip(SKIP_1) | instid1(VALU_DEP_1)
	v_mul_lo_u32 v16, s36, v16
	v_mad_u64_u32 v[22:23], null, s36, v27, v[20:21]
	v_add3_u32 v21, v50, v23, v16
	s_delay_alu instid0(VALU_DEP_2)
	v_mov_b32_e32 v20, v22
	s_cbranch_scc0 .LBB47_44
; %bb.43:                               ;   in Loop: Header=BB47_38 Depth=2
	v_dual_mov_b32 v22, v24 :: v_dual_mov_b32 v23, v25
	s_branch .LBB47_38
.LBB47_44:                              ;   in Loop: Header=BB47_8 Depth=1
	v_mul_lo_u32 v16, s17, v24
	v_mul_lo_u32 v25, s16, v25
	v_mad_u64_u32 v[22:23], null, s16, v24, 0
	v_lshlrev_b64 v[20:21], 1, v[20:21]
	s_delay_alu instid0(VALU_DEP_2) | instskip(NEXT) | instid1(VALU_DEP_1)
	v_add3_u32 v23, v23, v25, v16
	v_lshlrev_b64 v[22:23], 1, v[22:23]
	s_delay_alu instid0(VALU_DEP_1) | instskip(NEXT) | instid1(VALU_DEP_2)
	v_add_co_u32 v16, vcc_lo, s18, v22
	v_add_co_ci_u32_e32 v22, vcc_lo, s19, v23, vcc_lo
	s_delay_alu instid0(VALU_DEP_2) | instskip(NEXT) | instid1(VALU_DEP_2)
	v_add_co_u32 v20, vcc_lo, v16, v20
	v_add_co_ci_u32_e32 v21, vcc_lo, v22, v21, vcc_lo
	global_load_u16 v50, v[20:21], off
.LBB47_45:                              ;   in Loop: Header=BB47_8 Depth=1
	s_or_b32 exec_lo, exec_lo, s4
	v_add_co_u32 v20, vcc_lo, v17, s29
	v_add_co_ci_u32_e32 v21, vcc_lo, 0, v18, vcc_lo
	s_delay_alu instid0(VALU_DEP_1) | instskip(NEXT) | instid1(VALU_DEP_1)
	v_cmp_gt_u64_e64 s3, s[6:7], v[20:21]
	s_and_saveexec_b32 s34, s3
	s_cbranch_execnz .LBB47_50
; %bb.46:                               ;   in Loop: Header=BB47_8 Depth=1
	s_or_b32 exec_lo, exec_lo, s34
	s_and_saveexec_b32 s4, s0
	s_cbranch_execnz .LBB47_58
.LBB47_47:                              ;   in Loop: Header=BB47_8 Depth=1
	s_or_b32 exec_lo, exec_lo, s4
	s_and_saveexec_b32 s4, s1
	s_cbranch_execnz .LBB47_59
.LBB47_48:                              ;   in Loop: Header=BB47_8 Depth=1
	s_or_b32 exec_lo, exec_lo, s4
	s_and_saveexec_b32 s1, s2
	s_cbranch_execnz .LBB47_60
.LBB47_49:                              ;   in Loop: Header=BB47_8 Depth=1
	s_or_b32 exec_lo, exec_lo, s1
	s_and_saveexec_b32 s1, s3
	s_cbranch_execz .LBB47_7
	s_branch .LBB47_61
.LBB47_50:                              ;   in Loop: Header=BB47_8 Depth=1
	v_dual_mov_b32 v22, 0 :: v_dual_mov_b32 v25, v21
	v_dual_mov_b32 v23, 0 :: v_dual_mov_b32 v24, v20
	;; [unrolled: 1-line block ×3, first 2 shown]
	s_and_not1_b32 vcc_lo, exec_lo, s30
	s_mov_b64 s[22:23], s[20:21]
	s_mov_b32 s35, s33
	s_cbranch_vccnz .LBB47_57
.LBB47_51:                              ;   Parent Loop BB47_8 Depth=1
                                        ; =>  This Inner Loop Header: Depth=2
	s_load_b64 s[24:25], s[22:23], 0x0
                                        ; implicit-def: $vgpr26_vgpr27
	s_mov_b32 s4, exec_lo
	s_waitcnt lgkmcnt(0)
	v_or_b32_e32 v16, s25, v25
	s_delay_alu instid0(VALU_DEP_1)
	v_cmpx_ne_u64_e32 0, v[15:16]
	s_xor_b32 s36, exec_lo, s4
	s_cbranch_execz .LBB47_53
; %bb.52:                               ;   in Loop: Header=BB47_51 Depth=2
	v_cvt_f32_u32_e32 v16, s24
	v_cvt_f32_u32_e32 v26, s25
	s_sub_u32 s4, 0, s24
	s_subb_u32 s37, 0, s25
	s_delay_alu instid0(VALU_DEP_1) | instskip(NEXT) | instid1(VALU_DEP_1)
	v_fmac_f32_e32 v16, 0x4f800000, v26
	v_rcp_f32_e32 v16, v16
	s_waitcnt_depctr 0xfff
	v_mul_f32_e32 v16, 0x5f7ffffc, v16
	s_delay_alu instid0(VALU_DEP_1) | instskip(NEXT) | instid1(VALU_DEP_1)
	v_mul_f32_e32 v26, 0x2f800000, v16
	v_trunc_f32_e32 v26, v26
	s_delay_alu instid0(VALU_DEP_1) | instskip(SKIP_1) | instid1(VALU_DEP_2)
	v_fmac_f32_e32 v16, 0xcf800000, v26
	v_cvt_u32_f32_e32 v26, v26
	v_cvt_u32_f32_e32 v16, v16
	s_delay_alu instid0(VALU_DEP_2) | instskip(NEXT) | instid1(VALU_DEP_2)
	v_mul_lo_u32 v27, s4, v26
	v_mul_hi_u32 v53, s4, v16
	v_mul_lo_u32 v54, s37, v16
	s_delay_alu instid0(VALU_DEP_2) | instskip(SKIP_1) | instid1(VALU_DEP_2)
	v_add_nc_u32_e32 v27, v53, v27
	v_mul_lo_u32 v53, s4, v16
	v_add_nc_u32_e32 v27, v27, v54
	s_delay_alu instid0(VALU_DEP_2) | instskip(NEXT) | instid1(VALU_DEP_2)
	v_mul_hi_u32 v54, v16, v53
	v_mul_lo_u32 v55, v16, v27
	v_mul_hi_u32 v56, v16, v27
	v_mul_hi_u32 v57, v26, v53
	v_mul_lo_u32 v53, v26, v53
	v_mul_hi_u32 v58, v26, v27
	v_mul_lo_u32 v27, v26, v27
	v_add_co_u32 v54, vcc_lo, v54, v55
	v_add_co_ci_u32_e32 v55, vcc_lo, 0, v56, vcc_lo
	s_delay_alu instid0(VALU_DEP_2) | instskip(NEXT) | instid1(VALU_DEP_2)
	v_add_co_u32 v53, vcc_lo, v54, v53
	v_add_co_ci_u32_e32 v53, vcc_lo, v55, v57, vcc_lo
	v_add_co_ci_u32_e32 v54, vcc_lo, 0, v58, vcc_lo
	s_delay_alu instid0(VALU_DEP_2) | instskip(NEXT) | instid1(VALU_DEP_2)
	v_add_co_u32 v27, vcc_lo, v53, v27
	v_add_co_ci_u32_e32 v53, vcc_lo, 0, v54, vcc_lo
	s_delay_alu instid0(VALU_DEP_2) | instskip(NEXT) | instid1(VALU_DEP_2)
	v_add_co_u32 v16, vcc_lo, v16, v27
	v_add_co_ci_u32_e32 v26, vcc_lo, v26, v53, vcc_lo
	s_delay_alu instid0(VALU_DEP_2) | instskip(SKIP_1) | instid1(VALU_DEP_3)
	v_mul_hi_u32 v27, s4, v16
	v_mul_lo_u32 v54, s37, v16
	v_mul_lo_u32 v53, s4, v26
	s_delay_alu instid0(VALU_DEP_1) | instskip(SKIP_1) | instid1(VALU_DEP_2)
	v_add_nc_u32_e32 v27, v27, v53
	v_mul_lo_u32 v53, s4, v16
	v_add_nc_u32_e32 v27, v27, v54
	s_delay_alu instid0(VALU_DEP_2) | instskip(NEXT) | instid1(VALU_DEP_2)
	v_mul_hi_u32 v54, v16, v53
	v_mul_lo_u32 v55, v16, v27
	v_mul_hi_u32 v56, v16, v27
	v_mul_hi_u32 v57, v26, v53
	v_mul_lo_u32 v53, v26, v53
	v_mul_hi_u32 v58, v26, v27
	v_mul_lo_u32 v27, v26, v27
	v_add_co_u32 v54, vcc_lo, v54, v55
	v_add_co_ci_u32_e32 v55, vcc_lo, 0, v56, vcc_lo
	s_delay_alu instid0(VALU_DEP_2) | instskip(NEXT) | instid1(VALU_DEP_2)
	v_add_co_u32 v53, vcc_lo, v54, v53
	v_add_co_ci_u32_e32 v53, vcc_lo, v55, v57, vcc_lo
	v_add_co_ci_u32_e32 v54, vcc_lo, 0, v58, vcc_lo
	s_delay_alu instid0(VALU_DEP_2) | instskip(NEXT) | instid1(VALU_DEP_2)
	v_add_co_u32 v27, vcc_lo, v53, v27
	v_add_co_ci_u32_e32 v53, vcc_lo, 0, v54, vcc_lo
	s_delay_alu instid0(VALU_DEP_2) | instskip(NEXT) | instid1(VALU_DEP_2)
	v_add_co_u32 v16, vcc_lo, v16, v27
	v_add_co_ci_u32_e32 v57, vcc_lo, v26, v53, vcc_lo
	s_delay_alu instid0(VALU_DEP_2) | instskip(SKIP_1) | instid1(VALU_DEP_3)
	v_mul_hi_u32 v58, v24, v16
	v_mad_u64_u32 v[53:54], null, v25, v16, 0
	v_mad_u64_u32 v[26:27], null, v24, v57, 0
	v_mad_u64_u32 v[55:56], null, v25, v57, 0
	s_delay_alu instid0(VALU_DEP_2) | instskip(NEXT) | instid1(VALU_DEP_3)
	v_add_co_u32 v16, vcc_lo, v58, v26
	v_add_co_ci_u32_e32 v26, vcc_lo, 0, v27, vcc_lo
	s_delay_alu instid0(VALU_DEP_2) | instskip(NEXT) | instid1(VALU_DEP_2)
	v_add_co_u32 v16, vcc_lo, v16, v53
	v_add_co_ci_u32_e32 v16, vcc_lo, v26, v54, vcc_lo
	v_add_co_ci_u32_e32 v26, vcc_lo, 0, v56, vcc_lo
	s_delay_alu instid0(VALU_DEP_2) | instskip(NEXT) | instid1(VALU_DEP_2)
	v_add_co_u32 v16, vcc_lo, v16, v55
	v_add_co_ci_u32_e32 v53, vcc_lo, 0, v26, vcc_lo
	s_delay_alu instid0(VALU_DEP_2) | instskip(SKIP_1) | instid1(VALU_DEP_3)
	v_mul_lo_u32 v54, s25, v16
	v_mad_u64_u32 v[26:27], null, s24, v16, 0
	v_mul_lo_u32 v55, s24, v53
	s_delay_alu instid0(VALU_DEP_2) | instskip(NEXT) | instid1(VALU_DEP_2)
	v_sub_co_u32 v26, vcc_lo, v24, v26
	v_add3_u32 v27, v27, v55, v54
	s_delay_alu instid0(VALU_DEP_1) | instskip(NEXT) | instid1(VALU_DEP_1)
	v_sub_nc_u32_e32 v54, v25, v27
	v_subrev_co_ci_u32_e64 v54, s4, s25, v54, vcc_lo
	v_add_co_u32 v55, s4, v16, 2
	s_delay_alu instid0(VALU_DEP_1) | instskip(SKIP_3) | instid1(VALU_DEP_3)
	v_add_co_ci_u32_e64 v56, s4, 0, v53, s4
	v_sub_co_u32 v57, s4, v26, s24
	v_sub_co_ci_u32_e32 v27, vcc_lo, v25, v27, vcc_lo
	v_subrev_co_ci_u32_e64 v54, s4, 0, v54, s4
	v_cmp_le_u32_e32 vcc_lo, s24, v57
	s_delay_alu instid0(VALU_DEP_3) | instskip(SKIP_1) | instid1(VALU_DEP_4)
	v_cmp_eq_u32_e64 s4, s25, v27
	v_cndmask_b32_e64 v57, 0, -1, vcc_lo
	v_cmp_le_u32_e32 vcc_lo, s25, v54
	v_cndmask_b32_e64 v58, 0, -1, vcc_lo
	v_cmp_le_u32_e32 vcc_lo, s24, v26
	v_cndmask_b32_e64 v26, 0, -1, vcc_lo
	v_cmp_le_u32_e32 vcc_lo, s25, v27
	v_cndmask_b32_e64 v59, 0, -1, vcc_lo
	v_cmp_eq_u32_e32 vcc_lo, s25, v54
	s_delay_alu instid0(VALU_DEP_2) | instskip(SKIP_3) | instid1(VALU_DEP_3)
	v_cndmask_b32_e64 v26, v59, v26, s4
	v_cndmask_b32_e32 v54, v58, v57, vcc_lo
	v_add_co_u32 v57, vcc_lo, v16, 1
	v_add_co_ci_u32_e32 v58, vcc_lo, 0, v53, vcc_lo
	v_cmp_ne_u32_e32 vcc_lo, 0, v54
	s_delay_alu instid0(VALU_DEP_2) | instskip(SKIP_1) | instid1(VALU_DEP_2)
	v_dual_cndmask_b32 v27, v58, v56 :: v_dual_cndmask_b32 v54, v57, v55
	v_cmp_ne_u32_e32 vcc_lo, 0, v26
	v_dual_cndmask_b32 v27, v53, v27 :: v_dual_cndmask_b32 v26, v16, v54
.LBB47_53:                              ;   in Loop: Header=BB47_51 Depth=2
	s_and_not1_saveexec_b32 s4, s36
	s_cbranch_execz .LBB47_55
; %bb.54:                               ;   in Loop: Header=BB47_51 Depth=2
	v_cvt_f32_u32_e32 v16, s24
	s_sub_i32 s36, 0, s24
	s_delay_alu instid0(VALU_DEP_1) | instskip(SKIP_2) | instid1(VALU_DEP_1)
	v_rcp_iflag_f32_e32 v16, v16
	s_waitcnt_depctr 0xfff
	v_mul_f32_e32 v16, 0x4f7ffffe, v16
	v_cvt_u32_f32_e32 v16, v16
	s_delay_alu instid0(VALU_DEP_1) | instskip(NEXT) | instid1(VALU_DEP_1)
	v_mul_lo_u32 v26, s36, v16
	v_mul_hi_u32 v26, v16, v26
	s_delay_alu instid0(VALU_DEP_1) | instskip(NEXT) | instid1(VALU_DEP_1)
	v_add_nc_u32_e32 v16, v16, v26
	v_mul_hi_u32 v16, v24, v16
	s_delay_alu instid0(VALU_DEP_1) | instskip(NEXT) | instid1(VALU_DEP_1)
	v_mul_lo_u32 v26, v16, s24
	v_sub_nc_u32_e32 v26, v24, v26
	s_delay_alu instid0(VALU_DEP_1) | instskip(SKIP_1) | instid1(VALU_DEP_2)
	v_subrev_nc_u32_e32 v53, s24, v26
	v_cmp_le_u32_e32 vcc_lo, s24, v26
	v_dual_cndmask_b32 v26, v26, v53 :: v_dual_add_nc_u32 v27, 1, v16
	s_delay_alu instid0(VALU_DEP_1) | instskip(NEXT) | instid1(VALU_DEP_2)
	v_cndmask_b32_e32 v16, v16, v27, vcc_lo
	v_cmp_le_u32_e32 vcc_lo, s24, v26
	s_delay_alu instid0(VALU_DEP_2) | instskip(NEXT) | instid1(VALU_DEP_1)
	v_add_nc_u32_e32 v27, 1, v16
	v_dual_cndmask_b32 v26, v16, v27 :: v_dual_mov_b32 v27, v15
.LBB47_55:                              ;   in Loop: Header=BB47_51 Depth=2
	s_or_b32 exec_lo, exec_lo, s4
	s_load_b64 s[36:37], s[22:23], 0xc8
	s_delay_alu instid0(VALU_DEP_1) | instskip(NEXT) | instid1(VALU_DEP_2)
	v_mul_lo_u32 v16, v27, s24
	v_mul_lo_u32 v55, v26, s25
	v_mad_u64_u32 v[53:54], null, v26, s24, 0
	s_add_i32 s35, s35, -1
	s_add_u32 s22, s22, -8
	s_addc_u32 s23, s23, -1
	s_cmp_gt_u32 s35, 2
	s_delay_alu instid0(VALU_DEP_1) | instskip(NEXT) | instid1(VALU_DEP_2)
	v_add3_u32 v16, v54, v55, v16
	v_sub_co_u32 v53, vcc_lo, v24, v53
	s_delay_alu instid0(VALU_DEP_2) | instskip(SKIP_1) | instid1(VALU_DEP_2)
	v_sub_co_ci_u32_e32 v16, vcc_lo, v25, v16, vcc_lo
	s_waitcnt lgkmcnt(0)
	v_mul_lo_u32 v54, s37, v53
	s_delay_alu instid0(VALU_DEP_2) | instskip(SKIP_1) | instid1(VALU_DEP_1)
	v_mul_lo_u32 v16, s36, v16
	v_mad_u64_u32 v[24:25], null, s36, v53, v[22:23]
	v_add3_u32 v23, v54, v25, v16
	s_delay_alu instid0(VALU_DEP_2)
	v_mov_b32_e32 v22, v24
	s_cbranch_scc0 .LBB47_57
; %bb.56:                               ;   in Loop: Header=BB47_51 Depth=2
	v_dual_mov_b32 v24, v26 :: v_dual_mov_b32 v25, v27
	s_branch .LBB47_51
.LBB47_57:                              ;   in Loop: Header=BB47_8 Depth=1
	v_mul_lo_u32 v16, s17, v26
	v_mul_lo_u32 v27, s16, v27
	v_mad_u64_u32 v[24:25], null, s16, v26, 0
	v_lshlrev_b64 v[22:23], 1, v[22:23]
	s_delay_alu instid0(VALU_DEP_2) | instskip(NEXT) | instid1(VALU_DEP_1)
	v_add3_u32 v25, v25, v27, v16
	v_lshlrev_b64 v[24:25], 1, v[24:25]
	s_delay_alu instid0(VALU_DEP_1) | instskip(NEXT) | instid1(VALU_DEP_2)
	v_add_co_u32 v16, vcc_lo, s18, v24
	v_add_co_ci_u32_e32 v24, vcc_lo, s19, v25, vcc_lo
	s_delay_alu instid0(VALU_DEP_2) | instskip(NEXT) | instid1(VALU_DEP_2)
	v_add_co_u32 v22, vcc_lo, v16, v22
	v_add_co_ci_u32_e32 v23, vcc_lo, v24, v23, vcc_lo
	global_load_u16 v26, v[22:23], off
	s_or_b32 exec_lo, exec_lo, s34
	s_and_saveexec_b32 s4, s0
	s_cbranch_execz .LBB47_47
.LBB47_58:                              ;   in Loop: Header=BB47_8 Depth=1
	v_cvt_f32_u32_e32 v0, v0
	v_mul_lo_u32 v16, v18, s10
	v_mul_lo_u32 v24, v17, s11
	v_mad_u64_u32 v[22:23], null, v17, s10, 0
	s_delay_alu instid0(VALU_DEP_4) | instskip(NEXT) | instid1(VALU_DEP_1)
	v_fmaak_f32 v0, 0x2f800000, v0, 0x2f800000
	v_cmp_gt_f32_e32 vcc_lo, s28, v0
	s_delay_alu instid0(VALU_DEP_3) | instskip(SKIP_3) | instid1(VALU_DEP_3)
	v_add3_u32 v23, v23, v24, v16
	s_waitcnt vmcnt(0)
	v_cvt_f32_f16_e32 v16, v52
	v_cndmask_b32_e64 v0, 0, 1.0, vcc_lo
	v_lshlrev_b64 v[24:25], 1, v[22:23]
	v_add_co_u32 v22, s0, s12, v22
	s_delay_alu instid0(VALU_DEP_1) | instskip(NEXT) | instid1(VALU_DEP_4)
	v_add_co_ci_u32_e64 v23, s0, s13, v23, s0
	v_mul_f32_e32 v0, v0, v16
	s_delay_alu instid0(VALU_DEP_4) | instskip(NEXT) | instid1(VALU_DEP_1)
	v_add_co_u32 v24, s0, s14, v24
	v_add_co_ci_u32_e64 v25, s0, s15, v25, s0
	s_delay_alu instid0(VALU_DEP_3)
	v_fma_mixlo_f16 v0, v48, v0, 0
	v_cndmask_b32_e64 v16, 0, 1, vcc_lo
	global_store_b16 v[24:25], v0, off
	global_store_b8 v[22:23], v16, off
	s_or_b32 exec_lo, exec_lo, s4
	s_and_saveexec_b32 s4, s1
	s_cbranch_execz .LBB47_48
.LBB47_59:                              ;   in Loop: Header=BB47_8 Depth=1
	v_cvt_f32_u32_e32 v1, v1
	v_mul_lo_u32 v0, v8, s10
	v_mul_lo_u32 v8, v7, s11
	v_mad_u64_u32 v[22:23], null, v7, s10, 0
	s_waitcnt vmcnt(0)
	v_cvt_f32_f16_e32 v16, v51
	v_fmaak_f32 v1, 0x2f800000, v1, 0x2f800000
	s_delay_alu instid0(VALU_DEP_3) | instskip(NEXT) | instid1(VALU_DEP_2)
	v_add3_u32 v23, v23, v8, v0
	v_cmp_gt_f32_e32 vcc_lo, s28, v1
	v_add_co_u32 v7, s0, s12, v22
	s_delay_alu instid0(VALU_DEP_3) | instskip(SKIP_3) | instid1(VALU_DEP_3)
	v_lshlrev_b64 v[0:1], 1, v[22:23]
	v_cndmask_b32_e64 v24, 0, 1.0, vcc_lo
	v_add_co_ci_u32_e64 v8, s0, s13, v23, s0
	v_cndmask_b32_e64 v22, 0, 1, vcc_lo
	v_mul_f32_e32 v16, v24, v16
	v_add_co_u32 v0, s0, s14, v0
	s_delay_alu instid0(VALU_DEP_1) | instskip(NEXT) | instid1(VALU_DEP_3)
	v_add_co_ci_u32_e64 v1, s0, s15, v1, s0
	v_fma_mixlo_f16 v16, v48, v16, 0
	global_store_b16 v[0:1], v16, off
	global_store_b8 v[7:8], v22, off
	s_or_b32 exec_lo, exec_lo, s4
	s_and_saveexec_b32 s1, s2
	s_cbranch_execz .LBB47_49
.LBB47_60:                              ;   in Loop: Header=BB47_8 Depth=1
	v_cvt_f32_u32_e32 v2, v2
	v_mul_lo_u32 v7, v10, s10
	v_mul_lo_u32 v8, v9, s11
	v_mad_u64_u32 v[0:1], null, v9, s10, 0
	s_delay_alu instid0(VALU_DEP_4) | instskip(SKIP_2) | instid1(VALU_DEP_2)
	v_fmaak_f32 v2, 0x2f800000, v2, 0x2f800000
	s_waitcnt vmcnt(0)
	v_cvt_f32_f16_e32 v9, v50
	v_cmp_gt_f32_e32 vcc_lo, s28, v2
	s_delay_alu instid0(VALU_DEP_4) | instskip(SKIP_1) | instid1(VALU_DEP_2)
	v_add3_u32 v1, v1, v8, v7
	v_cndmask_b32_e64 v2, 0, 1.0, vcc_lo
	v_lshlrev_b64 v[7:8], 1, v[0:1]
	v_add_co_u32 v0, s0, s12, v0
	s_delay_alu instid0(VALU_DEP_1) | instskip(NEXT) | instid1(VALU_DEP_4)
	v_add_co_ci_u32_e64 v1, s0, s13, v1, s0
	v_mul_f32_e32 v2, v2, v9
	s_delay_alu instid0(VALU_DEP_4) | instskip(NEXT) | instid1(VALU_DEP_1)
	v_add_co_u32 v7, s0, s14, v7
	v_add_co_ci_u32_e64 v8, s0, s15, v8, s0
	s_delay_alu instid0(VALU_DEP_3)
	v_fma_mixlo_f16 v2, v48, v2, 0
	v_cndmask_b32_e64 v9, 0, 1, vcc_lo
	global_store_b16 v[7:8], v2, off
	global_store_b8 v[0:1], v9, off
	s_or_b32 exec_lo, exec_lo, s1
	s_and_saveexec_b32 s1, s3
	s_cbranch_execz .LBB47_7
.LBB47_61:                              ;   in Loop: Header=BB47_8 Depth=1
	v_cvt_f32_u32_e32 v3, v3
	v_mul_lo_u32 v2, v21, s10
	v_mul_lo_u32 v7, v20, s11
	v_mad_u64_u32 v[0:1], null, v20, s10, 0
	s_delay_alu instid0(VALU_DEP_4) | instskip(NEXT) | instid1(VALU_DEP_1)
	v_fmaak_f32 v3, 0x2f800000, v3, 0x2f800000
	v_cmp_gt_f32_e32 vcc_lo, s28, v3
	s_delay_alu instid0(VALU_DEP_3) | instskip(SKIP_3) | instid1(VALU_DEP_3)
	v_add3_u32 v1, v1, v7, v2
	s_waitcnt vmcnt(0)
	v_cvt_f32_f16_e32 v7, v26
	v_cndmask_b32_e64 v8, 0, 1.0, vcc_lo
	v_lshlrev_b64 v[2:3], 1, v[0:1]
	v_add_co_u32 v0, s0, s12, v0
	s_delay_alu instid0(VALU_DEP_1) | instskip(NEXT) | instid1(VALU_DEP_4)
	v_add_co_ci_u32_e64 v1, s0, s13, v1, s0
	v_mul_f32_e32 v7, v8, v7
	s_delay_alu instid0(VALU_DEP_4) | instskip(NEXT) | instid1(VALU_DEP_1)
	v_add_co_u32 v2, s0, s14, v2
	v_add_co_ci_u32_e64 v3, s0, s15, v3, s0
	s_delay_alu instid0(VALU_DEP_3)
	v_fma_mixlo_f16 v7, v48, v7, 0
	v_cndmask_b32_e64 v8, 0, 1, vcc_lo
	global_store_b16 v[2:3], v7, off
	global_store_b8 v[0:1], v8, off
	s_branch .LBB47_7
.LBB47_62:
	s_endpgm
.LBB47_63:
                                        ; implicit-def: $sgpr2_sgpr3
	s_branch .LBB47_4
	.section	.rodata,"a",@progbits
	.p2align	6, 0x0
	.amdhsa_kernel _ZN2at6native12_GLOBAL__N_120fused_dropout_kernelIN3c104HalfEfmLin1ELi1EbEEvNS_4cuda6detail10TensorInfoIKT_T1_EENS7_IS8_SA_EENS7_IT4_SA_EESA_T0_NS_15PhiloxCudaStateE
		.amdhsa_group_segment_fixed_size 0
		.amdhsa_private_segment_fixed_size 0
		.amdhsa_kernarg_size 1552
		.amdhsa_user_sgpr_count 15
		.amdhsa_user_sgpr_dispatch_ptr 0
		.amdhsa_user_sgpr_queue_ptr 0
		.amdhsa_user_sgpr_kernarg_segment_ptr 1
		.amdhsa_user_sgpr_dispatch_id 0
		.amdhsa_user_sgpr_private_segment_size 0
		.amdhsa_wavefront_size32 1
		.amdhsa_uses_dynamic_stack 0
		.amdhsa_enable_private_segment 0
		.amdhsa_system_sgpr_workgroup_id_x 1
		.amdhsa_system_sgpr_workgroup_id_y 0
		.amdhsa_system_sgpr_workgroup_id_z 0
		.amdhsa_system_sgpr_workgroup_info 0
		.amdhsa_system_vgpr_workitem_id 0
		.amdhsa_next_free_vgpr 60
		.amdhsa_next_free_sgpr 38
		.amdhsa_reserve_vcc 1
		.amdhsa_float_round_mode_32 0
		.amdhsa_float_round_mode_16_64 0
		.amdhsa_float_denorm_mode_32 3
		.amdhsa_float_denorm_mode_16_64 3
		.amdhsa_dx10_clamp 1
		.amdhsa_ieee_mode 1
		.amdhsa_fp16_overflow 0
		.amdhsa_workgroup_processor_mode 1
		.amdhsa_memory_ordered 1
		.amdhsa_forward_progress 0
		.amdhsa_shared_vgpr_count 0
		.amdhsa_exception_fp_ieee_invalid_op 0
		.amdhsa_exception_fp_denorm_src 0
		.amdhsa_exception_fp_ieee_div_zero 0
		.amdhsa_exception_fp_ieee_overflow 0
		.amdhsa_exception_fp_ieee_underflow 0
		.amdhsa_exception_fp_ieee_inexact 0
		.amdhsa_exception_int_div_zero 0
	.end_amdhsa_kernel
	.section	.text._ZN2at6native12_GLOBAL__N_120fused_dropout_kernelIN3c104HalfEfmLin1ELi1EbEEvNS_4cuda6detail10TensorInfoIKT_T1_EENS7_IS8_SA_EENS7_IT4_SA_EESA_T0_NS_15PhiloxCudaStateE,"axG",@progbits,_ZN2at6native12_GLOBAL__N_120fused_dropout_kernelIN3c104HalfEfmLin1ELi1EbEEvNS_4cuda6detail10TensorInfoIKT_T1_EENS7_IS8_SA_EENS7_IT4_SA_EESA_T0_NS_15PhiloxCudaStateE,comdat
.Lfunc_end47:
	.size	_ZN2at6native12_GLOBAL__N_120fused_dropout_kernelIN3c104HalfEfmLin1ELi1EbEEvNS_4cuda6detail10TensorInfoIKT_T1_EENS7_IS8_SA_EENS7_IT4_SA_EESA_T0_NS_15PhiloxCudaStateE, .Lfunc_end47-_ZN2at6native12_GLOBAL__N_120fused_dropout_kernelIN3c104HalfEfmLin1ELi1EbEEvNS_4cuda6detail10TensorInfoIKT_T1_EENS7_IS8_SA_EENS7_IT4_SA_EESA_T0_NS_15PhiloxCudaStateE
                                        ; -- End function
	.section	.AMDGPU.csdata,"",@progbits
; Kernel info:
; codeLenInByte = 8204
; NumSgprs: 40
; NumVgprs: 60
; ScratchSize: 0
; MemoryBound: 0
; FloatMode: 240
; IeeeMode: 1
; LDSByteSize: 0 bytes/workgroup (compile time only)
; SGPRBlocks: 4
; VGPRBlocks: 7
; NumSGPRsForWavesPerEU: 40
; NumVGPRsForWavesPerEU: 60
; Occupancy: 16
; WaveLimiterHint : 1
; COMPUTE_PGM_RSRC2:SCRATCH_EN: 0
; COMPUTE_PGM_RSRC2:USER_SGPR: 15
; COMPUTE_PGM_RSRC2:TRAP_HANDLER: 0
; COMPUTE_PGM_RSRC2:TGID_X_EN: 1
; COMPUTE_PGM_RSRC2:TGID_Y_EN: 0
; COMPUTE_PGM_RSRC2:TGID_Z_EN: 0
; COMPUTE_PGM_RSRC2:TIDIG_COMP_CNT: 0
	.section	.text._ZN2at6native12_GLOBAL__N_120fused_dropout_kernelIN3c104HalfEfmLin1ELin1EbEEvNS_4cuda6detail10TensorInfoIKT_T1_EENS7_IS8_SA_EENS7_IT4_SA_EESA_T0_NS_15PhiloxCudaStateE,"axG",@progbits,_ZN2at6native12_GLOBAL__N_120fused_dropout_kernelIN3c104HalfEfmLin1ELin1EbEEvNS_4cuda6detail10TensorInfoIKT_T1_EENS7_IS8_SA_EENS7_IT4_SA_EESA_T0_NS_15PhiloxCudaStateE,comdat
	.globl	_ZN2at6native12_GLOBAL__N_120fused_dropout_kernelIN3c104HalfEfmLin1ELin1EbEEvNS_4cuda6detail10TensorInfoIKT_T1_EENS7_IS8_SA_EENS7_IT4_SA_EESA_T0_NS_15PhiloxCudaStateE ; -- Begin function _ZN2at6native12_GLOBAL__N_120fused_dropout_kernelIN3c104HalfEfmLin1ELin1EbEEvNS_4cuda6detail10TensorInfoIKT_T1_EENS7_IS8_SA_EENS7_IT4_SA_EESA_T0_NS_15PhiloxCudaStateE
	.p2align	8
	.type	_ZN2at6native12_GLOBAL__N_120fused_dropout_kernelIN3c104HalfEfmLin1ELin1EbEEvNS_4cuda6detail10TensorInfoIKT_T1_EENS7_IS8_SA_EENS7_IT4_SA_EESA_T0_NS_15PhiloxCudaStateE,@function
_ZN2at6native12_GLOBAL__N_120fused_dropout_kernelIN3c104HalfEfmLin1ELin1EbEEvNS_4cuda6detail10TensorInfoIKT_T1_EENS7_IS8_SA_EENS7_IT4_SA_EESA_T0_NS_15PhiloxCudaStateE: ; @_ZN2at6native12_GLOBAL__N_120fused_dropout_kernelIN3c104HalfEfmLin1ELin1EbEEvNS_4cuda6detail10TensorInfoIKT_T1_EENS7_IS8_SA_EENS7_IT4_SA_EESA_T0_NS_15PhiloxCudaStateE
; %bb.0:
	s_clause 0x1
	s_load_b128 s[4:7], s[0:1], 0x4f0
	s_load_b32 s2, s[0:1], 0x508
	s_waitcnt lgkmcnt(0)
	v_dual_mov_b32 v1, s6 :: v_dual_mov_b32 v2, s7
	v_dual_mov_b32 v12, s5 :: v_dual_mov_b32 v11, s4
	s_bitcmp0_b32 s2, 0
	s_mov_b32 s2, 0
	s_cbranch_scc1 .LBB48_2
; %bb.1:
	v_dual_mov_b32 v1, s6 :: v_dual_mov_b32 v2, s7
	v_dual_mov_b32 v3, s4 :: v_dual_mov_b32 v4, s5
	s_load_b64 s[4:5], s[0:1], 0x500
	flat_load_b64 v[1:2], v[1:2]
	flat_load_b64 v[11:12], v[3:4]
	s_waitcnt vmcnt(1) lgkmcnt(0)
	v_add_co_u32 v1, vcc_lo, v1, s4
	v_add_co_ci_u32_e32 v2, vcc_lo, s5, v2, vcc_lo
.LBB48_2:
	s_clause 0x2
	s_load_b32 s3, s[0:1], 0x51c
	s_load_b64 s[6:7], s[0:1], 0x4e0
	s_load_b32 s4, s[0:1], 0x510
	s_waitcnt lgkmcnt(0)
	s_and_b32 s5, s3, 0xffff
	s_add_u32 s8, s6, -1
	s_mul_i32 s28, s4, s5
	s_addc_u32 s3, s7, -1
	s_lshl_b32 s29, s28, 2
	s_cmp_lg_u64 s[2:3], 0
	s_cbranch_scc0 .LBB48_88
; %bb.3:
	v_cvt_f32_u32_e32 v3, s29
	s_sub_u32 s10, 0, s29
	s_subb_u32 s11, 0, 0
	s_delay_alu instid0(VALU_DEP_1) | instskip(NEXT) | instid1(VALU_DEP_1)
	v_fmamk_f32 v3, 0, 0x4f800000, v3
	v_rcp_f32_e32 v3, v3
	s_waitcnt_depctr 0xfff
	v_mul_f32_e32 v3, 0x5f7ffffc, v3
	s_delay_alu instid0(VALU_DEP_1) | instskip(NEXT) | instid1(VALU_DEP_1)
	v_mul_f32_e32 v4, 0x2f800000, v3
	v_trunc_f32_e32 v4, v4
	s_delay_alu instid0(VALU_DEP_1) | instskip(SKIP_1) | instid1(VALU_DEP_2)
	v_fmamk_f32 v3, v4, 0xcf800000, v3
	v_cvt_u32_f32_e32 v4, v4
	v_cvt_u32_f32_e32 v3, v3
	s_delay_alu instid0(VALU_DEP_2) | instskip(NEXT) | instid1(VALU_DEP_2)
	v_readfirstlane_b32 s2, v4
	v_readfirstlane_b32 s9, v3
	s_delay_alu instid0(VALU_DEP_2) | instskip(NEXT) | instid1(VALU_DEP_1)
	s_mul_i32 s12, s10, s2
	s_mul_hi_u32 s14, s10, s9
	s_mul_i32 s13, s11, s9
	s_add_i32 s12, s14, s12
	s_mul_i32 s16, s10, s9
	s_add_i32 s12, s12, s13
	s_mul_hi_u32 s14, s9, s16
	s_mul_hi_u32 s17, s2, s16
	s_mul_i32 s13, s2, s16
	s_mul_hi_u32 s16, s9, s12
	s_mul_i32 s9, s9, s12
	s_mul_hi_u32 s18, s2, s12
	s_add_u32 s9, s14, s9
	s_addc_u32 s14, 0, s16
	s_add_u32 s9, s9, s13
	s_mul_i32 s12, s2, s12
	s_addc_u32 s9, s14, s17
	s_addc_u32 s13, s18, 0
	s_add_u32 s9, s9, s12
	s_addc_u32 s12, 0, s13
	v_add_co_u32 v3, s9, v3, s9
	s_delay_alu instid0(VALU_DEP_1) | instskip(SKIP_1) | instid1(VALU_DEP_1)
	s_cmp_lg_u32 s9, 0
	s_addc_u32 s2, s2, s12
	v_readfirstlane_b32 s9, v3
	s_mul_i32 s12, s10, s2
	s_delay_alu instid0(VALU_DEP_1)
	s_mul_hi_u32 s13, s10, s9
	s_mul_i32 s11, s11, s9
	s_add_i32 s12, s13, s12
	s_mul_i32 s10, s10, s9
	s_add_i32 s12, s12, s11
	s_mul_hi_u32 s13, s2, s10
	s_mul_i32 s14, s2, s10
	s_mul_hi_u32 s10, s9, s10
	s_mul_hi_u32 s16, s9, s12
	s_mul_i32 s9, s9, s12
	s_mul_hi_u32 s11, s2, s12
	s_add_u32 s9, s10, s9
	s_addc_u32 s10, 0, s16
	s_add_u32 s9, s9, s14
	s_mul_i32 s12, s2, s12
	s_addc_u32 s9, s10, s13
	s_addc_u32 s10, s11, 0
	s_add_u32 s9, s9, s12
	s_addc_u32 s10, 0, s10
	v_add_co_u32 v3, s9, v3, s9
	s_delay_alu instid0(VALU_DEP_1) | instskip(SKIP_1) | instid1(VALU_DEP_1)
	s_cmp_lg_u32 s9, 0
	s_addc_u32 s2, s2, s10
	v_readfirstlane_b32 s9, v3
	s_mul_i32 s11, s8, s2
	s_mul_hi_u32 s10, s8, s2
	s_mul_hi_u32 s12, s3, s2
	s_mul_i32 s2, s3, s2
	s_mul_hi_u32 s13, s8, s9
	s_mul_hi_u32 s14, s3, s9
	s_mul_i32 s9, s3, s9
	s_add_u32 s11, s13, s11
	s_addc_u32 s10, 0, s10
	s_add_u32 s9, s11, s9
	s_addc_u32 s9, s10, s14
	s_addc_u32 s10, s12, 0
	s_add_u32 s2, s9, s2
	s_addc_u32 s10, 0, s10
	s_mul_i32 s11, s29, s2
	s_add_u32 s9, s2, 1
	v_sub_co_u32 v3, s11, s8, s11
	s_mul_hi_u32 s12, s29, s2
	s_addc_u32 s13, s10, 0
	s_mul_i32 s14, s29, s10
	s_delay_alu instid0(VALU_DEP_1)
	v_sub_co_u32 v4, s16, v3, s29
	s_add_u32 s17, s2, 2
	s_addc_u32 s18, s10, 0
	s_add_i32 s12, s12, s14
	s_cmp_lg_u32 s11, 0
	v_readfirstlane_b32 s11, v4
	s_subb_u32 s3, s3, s12
	s_cmp_lg_u32 s16, 0
	s_subb_u32 s12, s3, 0
	s_delay_alu instid0(VALU_DEP_1) | instskip(SKIP_4) | instid1(SALU_CYCLE_1)
	s_cmp_ge_u32 s11, s29
	s_cselect_b32 s11, -1, 0
	s_cmp_eq_u32 s12, 0
	v_readfirstlane_b32 s12, v3
	s_cselect_b32 s11, s11, -1
	s_cmp_lg_u32 s11, 0
	s_cselect_b32 s11, s17, s9
	s_cselect_b32 s13, s18, s13
	s_cmp_ge_u32 s12, s29
	s_cselect_b32 s9, -1, 0
	s_cmp_eq_u32 s3, 0
	s_cselect_b32 s3, s9, -1
	s_delay_alu instid0(SALU_CYCLE_1)
	s_cmp_lg_u32 s3, 0
	s_cselect_b32 s3, s13, s10
	s_cselect_b32 s2, s11, s2
	s_cbranch_execnz .LBB48_5
.LBB48_4:
	v_cvt_f32_u32_e32 v3, s29
	s_sub_i32 s3, 0, s29
	s_delay_alu instid0(VALU_DEP_1) | instskip(SKIP_2) | instid1(VALU_DEP_1)
	v_rcp_iflag_f32_e32 v3, v3
	s_waitcnt_depctr 0xfff
	v_mul_f32_e32 v3, 0x4f7ffffe, v3
	v_cvt_u32_f32_e32 v3, v3
	s_delay_alu instid0(VALU_DEP_1) | instskip(NEXT) | instid1(VALU_DEP_1)
	v_readfirstlane_b32 s2, v3
	s_mul_i32 s3, s3, s2
	s_delay_alu instid0(SALU_CYCLE_1) | instskip(NEXT) | instid1(SALU_CYCLE_1)
	s_mul_hi_u32 s3, s2, s3
	s_add_i32 s2, s2, s3
	s_delay_alu instid0(SALU_CYCLE_1) | instskip(NEXT) | instid1(SALU_CYCLE_1)
	s_mul_hi_u32 s2, s8, s2
	s_mul_i32 s3, s2, s29
	s_delay_alu instid0(SALU_CYCLE_1)
	s_sub_i32 s3, s8, s3
	s_add_i32 s8, s2, 1
	s_sub_i32 s9, s3, s29
	s_cmp_ge_u32 s3, s29
	s_cselect_b32 s2, s8, s2
	s_cselect_b32 s3, s9, s3
	s_add_i32 s8, s2, 1
	s_cmp_ge_u32 s3, s29
	s_mov_b32 s3, 0
	s_cselect_b32 s2, s8, s2
.LBB48_5:
	s_delay_alu instid0(SALU_CYCLE_1)
	s_add_u32 s2, s2, 1
	s_addc_u32 s3, s3, 0
	v_mov_b32_e32 v15, 0
	v_mad_u64_u32 v[13:14], null, s15, s5, v[0:1]
	s_mul_i32 s3, s28, s3
	s_mul_hi_u32 s8, s28, s2
	s_mul_hi_u32 s4, s4, s5
	s_add_i32 s3, s8, s3
	s_mul_i32 s4, s4, s2
	v_mov_b32_e32 v14, v15
	s_add_i32 s3, s3, s4
	s_mul_i32 s2, s28, s2
	s_delay_alu instid0(SALU_CYCLE_1)
	s_lshl_b64 s[8:9], s[2:3], 2
	s_mov_b32 s2, exec_lo
	v_cmpx_gt_u64_e64 s[8:9], v[13:14]
	s_cbranch_execz .LBB48_87
; %bb.6:
	v_alignbit_b32 v28, v2, v1, 2
	v_mad_u64_u32 v[3:4], null, 0xcd9e8d57, v13, 0
	v_lshrrev_b32_e32 v29, 2, v2
	s_waitcnt vmcnt(0)
	v_dual_mov_b32 v10, v12 :: v_dual_add_nc_u32 v35, 0x8ff34781, v11
	v_mad_u64_u32 v[5:6], null, 0xd2511f53, v28, 0
	v_add_co_u32 v31, null, 0x9e3779b9, v11
	v_xor3_b32 v0, v11, v4, v29
	s_delay_alu instid0(VALU_DEP_4) | instskip(SKIP_2) | instid1(VALU_DEP_4)
	v_add_co_u32 v30, null, 0xbb67ae85, v10
	v_add_co_u32 v32, null, 0x3c6ef372, v11
	v_xor_b32_e32 v2, v6, v12
	v_mad_u64_u32 v[6:7], null, 0xd2511f53, v0, 0
	v_add_co_u32 v33, null, 0x76cf5d0a, v10
	s_delay_alu instid0(VALU_DEP_3)
	v_mad_u64_u32 v[8:9], null, 0xcd9e8d57, v2, 0
	v_and_b32_e32 v34, 3, v1
	v_add_co_u32 v37, null, 0x32370b8f, v10
	v_xor3_b32 v0, v30, v7, v5
	v_add_co_u32 v38, null, 0xdaa66d2b, v11
	v_xor3_b32 v7, v9, v31, v3
	s_clause 0x1
	s_load_b32 s30, s[0:1], 0x4e8
	s_load_b64 s[18:19], s[0:1], 0x270
	v_mad_u64_u32 v[2:3], null, 0xcd9e8d57, v0, 0
	v_mad_u64_u32 v[4:5], null, 0xd2511f53, v7, 0
	v_add_co_u32 v40, null, 0x78dde6e4, v11
	v_add_co_u32 v41, null, 0xed9eba14, v10
	s_delay_alu instid0(VALU_DEP_4) | instskip(SKIP_3) | instid1(VALU_DEP_4)
	v_xor3_b32 v3, v32, v3, v8
	v_add_co_u32 v42, null, 0x1715609d, v11
	v_xor3_b32 v7, v5, v33, v6
	v_add_co_u32 v43, null, 0xa9066899, v10
	v_mad_u64_u32 v[0:1], null, 0xd2511f53, v3, 0
	s_delay_alu instid0(VALU_DEP_3) | instskip(SKIP_4) | instid1(VALU_DEP_4)
	v_mad_u64_u32 v[5:6], null, 0xcd9e8d57, v7, 0
	s_waitcnt lgkmcnt(0)
	v_div_scale_f32 v8, null, s30, s30, 1.0
	s_load_b64 s[12:13], s[0:1], 0x1a0
	v_add_co_u32 v39, null, 0xb54cda56, v11
	v_xor3_b32 v3, v37, v1, v4
	s_delay_alu instid0(VALU_DEP_4) | instskip(SKIP_2) | instid1(VALU_DEP_3)
	v_xor3_b32 v6, v6, v38, v2
	v_rcp_f32_e32 v9, v8
	v_add_co_u32 v46, null, 0x646e171e, v10
	v_mad_u64_u32 v[1:2], null, 0xcd9e8d57, v3, 0
	s_delay_alu instid0(VALU_DEP_3)
	v_mad_u64_u32 v[3:4], null, 0xd2511f53, v6, 0
	s_clause 0x2
	s_load_b32 s20, s[0:1], 0x198
	s_load_b64 s[10:11], s[0:1], 0x340
	s_load_b32 s23, s[0:1], 0x338
	v_add_co_u32 v44, null, 0x5384540f, v11
	s_delay_alu instid0(VALU_DEP_3) | instskip(SKIP_3) | instid1(VALU_DEP_4)
	v_xor3_b32 v2, v40, v2, v5
	v_add_co_u32 v47, null, 0x1fd5c5a3, v10
	v_xor3_b32 v0, v4, v41, v0
	v_div_scale_f32 v16, vcc_lo, 1.0, s30, 1.0
	v_mad_u64_u32 v[4:5], null, 0xd2511f53, v2, 0
	s_delay_alu instid0(VALU_DEP_3) | instskip(SKIP_2) | instid1(VALU_DEP_4)
	v_mad_u64_u32 v[6:7], null, 0xcd9e8d57, v0, 0
	v_add_co_u32 v45, null, 0xf1bbcdc8, v11
	v_add_co_u32 v48, null, 0xdb3d7428, v10
	v_xor3_b32 v2, v43, v5, v3
	s_add_u32 s22, s0, 0x1a0
	s_delay_alu instid0(VALU_DEP_4)
	v_xor3_b32 v5, v7, v42, v1
	s_addc_u32 s24, s1, 0
	s_clause 0x1
	s_load_b64 s[14:15], s[0:1], 0xd0
	s_load_b64 s[16:17], s[0:1], 0x0
	v_mad_u64_u32 v[0:1], null, 0xcd9e8d57, v2, 0
	v_mad_u64_u32 v[2:3], null, 0xd2511f53, v5, 0
	v_fma_f32 v5, -v8, v9, 1.0
	v_add_nc_u32_e32 v36, 0x96a522ad, v12
	s_waitcnt lgkmcnt(0)
	s_cmp_gt_i32 s20, 1
	s_mov_b32 s5, 0
	s_delay_alu instid0(VALU_DEP_4)
	v_xor3_b32 v1, v39, v1, v6
	v_fmac_f32_e32 v9, v5, v9
	v_xor3_b32 v7, v3, v46, v4
	s_cselect_b32 s31, -1, 0
	s_cmp_gt_i32 s23, 1
	v_mad_u64_u32 v[3:4], null, 0xd2511f53, v1, 0
	s_delay_alu instid0(VALU_DEP_2) | instskip(SKIP_4) | instid1(VALU_DEP_3)
	v_mad_u64_u32 v[5:6], null, 0xcd9e8d57, v7, 0
	v_mul_f32_e32 v17, v16, v9
	s_cselect_b32 s33, -1, 0
	s_add_i32 s4, s20, -1
	s_lshl_b32 s34, s28, 1
	v_xor3_b32 v2, v47, v4, v2
	v_fma_f32 v18, -v8, v17, v16
	s_delay_alu instid0(VALU_DEP_4) | instskip(SKIP_3) | instid1(VALU_DEP_2)
	v_xor3_b32 v4, v6, v44, v0
	s_lshl_b64 s[2:3], s[4:5], 3
	s_add_i32 s35, s20, 1
	v_mad_u64_u32 v[0:1], null, 0xcd9e8d57, v2, 0
	v_mad_u64_u32 v[6:7], null, 0xd2511f53, v4, 0
	v_fmac_f32_e32 v17, v18, v9
	s_add_u32 s0, s2, s0
	s_addc_u32 s1, s3, s1
	s_add_u32 s20, s0, 8
	s_delay_alu instid0(VALU_DEP_3) | instskip(SKIP_1) | instid1(VALU_DEP_3)
	v_xor3_b32 v1, v45, v1, v5
	s_addc_u32 s21, s1, 0
	v_xor3_b32 v5, v7, v48, v3
	v_fma_f32 v7, -v8, v17, v16
	s_add_i32 s4, s23, -1
	v_mad_u64_u32 v[3:4], null, 0xd2511f53, v1, 0
	s_delay_alu instid0(VALU_DEP_3) | instskip(NEXT) | instid1(VALU_DEP_3)
	v_mad_u64_u32 v[1:2], null, 0xcd9e8d57, v5, 0
	v_div_fmas_f32 v5, v7, v9, v17
	s_lshl_b64 s[0:1], s[4:5], 3
	s_add_i32 s37, s23, 1
	v_mov_b32_e32 v18, v14
	s_add_u32 s0, s0, s22
	v_div_fixup_f32 v49, v5, s30, 1.0
	s_delay_alu instid0(VALU_DEP_4)
	v_xor3_b32 v0, v0, v2, v35
	v_xor3_b32 v2, v4, v6, v36
	v_dual_mov_b32 v17, v13 :: v_dual_mov_b32 v14, 0
	s_addc_u32 s1, s1, s24
	s_add_u32 s22, s0, 8
	s_mul_i32 s36, s28, 3
	s_addc_u32 s23, s1, 0
                                        ; implicit-def: $vgpr50
                                        ; implicit-def: $vgpr51
                                        ; implicit-def: $vgpr52
                                        ; implicit-def: $vgpr53
	s_branch .LBB48_9
.LBB48_7:                               ;   in Loop: Header=BB48_9 Depth=1
	v_cvt_f32_u32_e32 v2, v3
	s_delay_alu instid0(VALU_DEP_3) | instskip(NEXT) | instid1(VALU_DEP_3)
	v_mad_u64_u32 v[9:10], null, s18, v7, v[0:1]
	v_mul_lo_u32 v0, s18, v8
	v_mul_lo_u32 v1, s19, v7
	s_waitcnt vmcnt(0)
	v_cvt_f32_f16_e32 v7, v50
	v_fmaak_f32 v2, 0x2f800000, v2, 0x2f800000
	s_delay_alu instid0(VALU_DEP_1) | instskip(NEXT) | instid1(VALU_DEP_4)
	v_cmp_gt_f32_e32 vcc_lo, s30, v2
	v_add3_u32 v10, v1, v10, v0
	v_add_co_u32 v2, s0, s10, v9
	v_cndmask_b32_e64 v8, 0, 1.0, vcc_lo
	s_delay_alu instid0(VALU_DEP_3) | instskip(SKIP_1) | instid1(VALU_DEP_3)
	v_lshlrev_b64 v[0:1], 1, v[9:10]
	v_add_co_ci_u32_e64 v3, s0, s11, v10, s0
	v_mul_f32_e32 v7, v8, v7
	v_cndmask_b32_e64 v8, 0, 1, vcc_lo
	s_delay_alu instid0(VALU_DEP_4) | instskip(NEXT) | instid1(VALU_DEP_1)
	v_add_co_u32 v0, s0, s12, v0
	v_add_co_ci_u32_e64 v1, s0, s13, v1, s0
	s_delay_alu instid0(VALU_DEP_4)
	v_fma_mixlo_f16 v7, v49, v7, 0
	global_store_b16 v[0:1], v7, off
	global_store_b8 v[2:3], v8, off
.LBB48_8:                               ;   in Loop: Header=BB48_9 Depth=1
	s_or_b32 exec_lo, exec_lo, s1
	v_add_co_u32 v17, vcc_lo, v17, s29
	v_add_co_ci_u32_e32 v18, vcc_lo, 0, v18, vcc_lo
	v_mov_b32_e32 v7, v19
	v_dual_mov_b32 v0, v4 :: v_dual_mov_b32 v1, v5
	s_delay_alu instid0(VALU_DEP_3) | instskip(NEXT) | instid1(VALU_DEP_3)
	v_cmp_le_u64_e32 vcc_lo, s[8:9], v[17:18]
	v_dual_mov_b32 v2, v6 :: v_dual_mov_b32 v3, v7
	s_waitcnt vmcnt(0)
	s_waitcnt_vscnt null, 0x0
	s_barrier
	buffer_gl0_inv
	s_or_b32 s5, vcc_lo, s5
	s_delay_alu instid0(SALU_CYCLE_1)
	s_and_not1_b32 exec_lo, exec_lo, s5
	s_cbranch_execz .LBB48_87
.LBB48_9:                               ; =>This Loop Header: Depth=1
                                        ;     Child Loop BB48_21 Depth 2
                                        ;     Child Loop BB48_30 Depth 2
                                        ;     Child Loop BB48_39 Depth 2
                                        ;     Child Loop BB48_52 Depth 2
                                        ;     Child Loop BB48_60 Depth 2
                                        ;     Child Loop BB48_73 Depth 2
                                        ;     Child Loop BB48_78 Depth 2
                                        ;     Child Loop BB48_83 Depth 2
	v_add_co_u32 v28, vcc_lo, v28, 1
	s_delay_alu instid0(VALU_DEP_1) | instskip(SKIP_2) | instid1(VALU_DEP_1)
	v_cndmask_b32_e64 v4, 0, 1, vcc_lo
	v_add_co_ci_u32_e32 v29, vcc_lo, 0, v29, vcc_lo
	s_mov_b32 s0, exec_lo
	v_cmp_eq_u32_e32 vcc_lo, 0, v29
	s_delay_alu instid0(VALU_DEP_3) | instskip(NEXT) | instid1(VALU_DEP_1)
	v_cndmask_b32_e32 v4, 0, v4, vcc_lo
	v_add_nc_u32_e32 v13, v4, v13
	s_delay_alu instid0(VALU_DEP_1) | instskip(SKIP_2) | instid1(VALU_DEP_2)
	v_cmp_eq_u32_e32 vcc_lo, 0, v13
	v_cndmask_b32_e32 v4, 0, v4, vcc_lo
	v_mad_u64_u32 v[6:7], null, 0xcd9e8d57, v13, 0
	v_add_nc_u32_e32 v14, v4, v14
	v_mad_u64_u32 v[4:5], null, 0xd2511f53, v28, 0
	s_delay_alu instid0(VALU_DEP_3) | instskip(NEXT) | instid1(VALU_DEP_2)
	v_xor3_b32 v9, v7, v11, v29
	v_xor_b32_e32 v5, v5, v12
	s_delay_alu instid0(VALU_DEP_2) | instskip(NEXT) | instid1(VALU_DEP_2)
	v_mad_u64_u32 v[7:8], null, 0xd2511f53, v9, 0
	v_xor_b32_e32 v5, v14, v5
	s_delay_alu instid0(VALU_DEP_2) | instskip(NEXT) | instid1(VALU_DEP_2)
	v_xor3_b32 v8, v30, v8, v4
	v_mad_u64_u32 v[9:10], null, 0xcd9e8d57, v5, 0
	s_delay_alu instid0(VALU_DEP_2) | instskip(NEXT) | instid1(VALU_DEP_2)
	v_mad_u64_u32 v[4:5], null, 0xcd9e8d57, v8, 0
	v_xor3_b32 v6, v31, v10, v6
	s_delay_alu instid0(VALU_DEP_2) | instskip(NEXT) | instid1(VALU_DEP_2)
	v_xor3_b32 v8, v32, v5, v9
	v_mad_u64_u32 v[19:20], null, 0xd2511f53, v6, 0
	s_delay_alu instid0(VALU_DEP_2) | instskip(NEXT) | instid1(VALU_DEP_2)
	v_mad_u64_u32 v[5:6], null, 0xd2511f53, v8, 0
	v_xor3_b32 v9, v33, v20, v7
	s_delay_alu instid0(VALU_DEP_2) | instskip(NEXT) | instid1(VALU_DEP_2)
	v_xor3_b32 v6, v37, v6, v19
	v_mad_u64_u32 v[7:8], null, 0xcd9e8d57, v9, 0
	s_delay_alu instid0(VALU_DEP_1) | instskip(NEXT) | instid1(VALU_DEP_3)
	v_xor3_b32 v4, v38, v8, v4
	v_mad_u64_u32 v[8:9], null, 0xcd9e8d57, v6, 0
	s_delay_alu instid0(VALU_DEP_2) | instskip(NEXT) | instid1(VALU_DEP_2)
	v_mad_u64_u32 v[19:20], null, 0xd2511f53, v4, 0
	v_xor3_b32 v6, v40, v9, v7
	s_delay_alu instid0(VALU_DEP_2) | instskip(NEXT) | instid1(VALU_DEP_2)
	v_xor3_b32 v9, v41, v20, v5
	v_mad_u64_u32 v[4:5], null, 0xd2511f53, v6, 0
	s_delay_alu instid0(VALU_DEP_2) | instskip(NEXT) | instid1(VALU_DEP_2)
	v_mad_u64_u32 v[6:7], null, 0xcd9e8d57, v9, 0
	v_xor3_b32 v5, v43, v5, v19
	s_delay_alu instid0(VALU_DEP_2) | instskip(NEXT) | instid1(VALU_DEP_2)
	;; [unrolled: 6-line block ×6, first 2 shown]
	v_xor3_b32 v4, v6, v7, v35
	v_mov_b32_e32 v6, v10
	v_cmpx_lt_i32_e32 1, v34
	s_xor_b32 s0, exec_lo, s0
	s_cbranch_execnz .LBB48_12
; %bb.10:                               ;   in Loop: Header=BB48_9 Depth=1
	s_and_not1_saveexec_b32 s0, s0
	s_cbranch_execnz .LBB48_17
.LBB48_11:                              ;   in Loop: Header=BB48_9 Depth=1
	s_or_b32 exec_lo, exec_lo, s0
	v_cmp_gt_u64_e64 s3, s[6:7], v[17:18]
	s_delay_alu instid0(VALU_DEP_1)
	s_and_saveexec_b32 s1, s3
	s_cbranch_execnz .LBB48_20
	s_branch .LBB48_28
.LBB48_12:                              ;   in Loop: Header=BB48_9 Depth=1
	s_mov_b32 s1, exec_lo
	v_cmpx_lt_i32_e32 2, v34
	s_xor_b32 s1, exec_lo, s1
; %bb.13:                               ;   in Loop: Header=BB48_9 Depth=1
	v_dual_mov_b32 v7, v3 :: v_dual_mov_b32 v8, v4
	v_mov_b32_e32 v9, v5
	s_delay_alu instid0(VALU_DEP_2) | instskip(NEXT) | instid1(VALU_DEP_2)
	v_dual_mov_b32 v0, v7 :: v_dual_mov_b32 v1, v8
	v_dual_mov_b32 v2, v9 :: v_dual_mov_b32 v3, v10
; %bb.14:                               ;   in Loop: Header=BB48_9 Depth=1
	s_and_not1_saveexec_b32 s1, s1
; %bb.15:                               ;   in Loop: Header=BB48_9 Depth=1
	s_delay_alu instid0(VALU_DEP_1)
	v_dual_mov_b32 v0, v2 :: v_dual_mov_b32 v1, v3
	v_dual_mov_b32 v2, v4 :: v_dual_mov_b32 v3, v5
; %bb.16:                               ;   in Loop: Header=BB48_9 Depth=1
	s_or_b32 exec_lo, exec_lo, s1
	s_and_not1_saveexec_b32 s0, s0
	s_cbranch_execz .LBB48_11
.LBB48_17:                              ;   in Loop: Header=BB48_9 Depth=1
	s_mov_b32 s1, exec_lo
	v_cmpx_eq_u32_e32 1, v34
; %bb.18:                               ;   in Loop: Header=BB48_9 Depth=1
	v_dual_mov_b32 v0, v1 :: v_dual_mov_b32 v1, v2
	v_dual_mov_b32 v2, v3 :: v_dual_mov_b32 v3, v4
; %bb.19:                               ;   in Loop: Header=BB48_9 Depth=1
	s_or_b32 exec_lo, exec_lo, s1
	s_delay_alu instid0(SALU_CYCLE_1) | instskip(SKIP_1) | instid1(VALU_DEP_1)
	s_or_b32 exec_lo, exec_lo, s0
	v_cmp_gt_u64_e64 s3, s[6:7], v[17:18]
	s_and_saveexec_b32 s1, s3
	s_cbranch_execz .LBB48_28
.LBB48_20:                              ;   in Loop: Header=BB48_9 Depth=1
	v_mov_b32_e32 v7, 0
	v_dual_mov_b32 v8, 0 :: v_dual_mov_b32 v9, v17
	v_mov_b32_e32 v10, v18
	v_dual_mov_b32 v21, v18 :: v_dual_mov_b32 v20, v17
	s_and_not1_b32 vcc_lo, exec_lo, s31
	s_mov_b64 s[24:25], s[20:21]
	s_mov_b32 s2, s35
	s_cbranch_vccnz .LBB48_27
.LBB48_21:                              ;   Parent Loop BB48_9 Depth=1
                                        ; =>  This Inner Loop Header: Depth=2
	s_load_b64 s[26:27], s[24:25], 0x0
                                        ; implicit-def: $vgpr20_vgpr21
	s_mov_b32 s0, exec_lo
	s_waitcnt lgkmcnt(0)
	v_or_b32_e32 v16, s27, v10
	s_delay_alu instid0(VALU_DEP_1)
	v_cmpx_ne_u64_e32 0, v[15:16]
	s_xor_b32 s4, exec_lo, s0
	s_cbranch_execz .LBB48_23
; %bb.22:                               ;   in Loop: Header=BB48_21 Depth=2
	v_cvt_f32_u32_e32 v16, s26
	v_cvt_f32_u32_e32 v20, s27
	s_sub_u32 s0, 0, s26
	s_subb_u32 s38, 0, s27
	s_delay_alu instid0(VALU_DEP_1) | instskip(NEXT) | instid1(VALU_DEP_1)
	v_fmac_f32_e32 v16, 0x4f800000, v20
	v_rcp_f32_e32 v16, v16
	s_waitcnt_depctr 0xfff
	v_mul_f32_e32 v16, 0x5f7ffffc, v16
	s_delay_alu instid0(VALU_DEP_1) | instskip(NEXT) | instid1(VALU_DEP_1)
	v_mul_f32_e32 v20, 0x2f800000, v16
	v_trunc_f32_e32 v20, v20
	s_delay_alu instid0(VALU_DEP_1) | instskip(SKIP_1) | instid1(VALU_DEP_2)
	v_fmac_f32_e32 v16, 0xcf800000, v20
	v_cvt_u32_f32_e32 v20, v20
	v_cvt_u32_f32_e32 v16, v16
	s_delay_alu instid0(VALU_DEP_2) | instskip(NEXT) | instid1(VALU_DEP_2)
	v_mul_lo_u32 v21, s0, v20
	v_mul_hi_u32 v22, s0, v16
	v_mul_lo_u32 v23, s38, v16
	s_delay_alu instid0(VALU_DEP_2) | instskip(SKIP_1) | instid1(VALU_DEP_2)
	v_add_nc_u32_e32 v21, v22, v21
	v_mul_lo_u32 v22, s0, v16
	v_add_nc_u32_e32 v21, v21, v23
	s_delay_alu instid0(VALU_DEP_2) | instskip(NEXT) | instid1(VALU_DEP_2)
	v_mul_hi_u32 v23, v16, v22
	v_mul_lo_u32 v24, v16, v21
	v_mul_hi_u32 v25, v16, v21
	v_mul_hi_u32 v26, v20, v22
	v_mul_lo_u32 v22, v20, v22
	v_mul_hi_u32 v27, v20, v21
	v_mul_lo_u32 v21, v20, v21
	v_add_co_u32 v23, vcc_lo, v23, v24
	v_add_co_ci_u32_e32 v24, vcc_lo, 0, v25, vcc_lo
	s_delay_alu instid0(VALU_DEP_2) | instskip(NEXT) | instid1(VALU_DEP_2)
	v_add_co_u32 v22, vcc_lo, v23, v22
	v_add_co_ci_u32_e32 v22, vcc_lo, v24, v26, vcc_lo
	v_add_co_ci_u32_e32 v23, vcc_lo, 0, v27, vcc_lo
	s_delay_alu instid0(VALU_DEP_2) | instskip(NEXT) | instid1(VALU_DEP_2)
	v_add_co_u32 v21, vcc_lo, v22, v21
	v_add_co_ci_u32_e32 v22, vcc_lo, 0, v23, vcc_lo
	s_delay_alu instid0(VALU_DEP_2) | instskip(NEXT) | instid1(VALU_DEP_2)
	v_add_co_u32 v16, vcc_lo, v16, v21
	v_add_co_ci_u32_e32 v20, vcc_lo, v20, v22, vcc_lo
	s_delay_alu instid0(VALU_DEP_2) | instskip(SKIP_1) | instid1(VALU_DEP_3)
	v_mul_hi_u32 v21, s0, v16
	v_mul_lo_u32 v23, s38, v16
	v_mul_lo_u32 v22, s0, v20
	s_delay_alu instid0(VALU_DEP_1) | instskip(SKIP_1) | instid1(VALU_DEP_2)
	v_add_nc_u32_e32 v21, v21, v22
	v_mul_lo_u32 v22, s0, v16
	v_add_nc_u32_e32 v21, v21, v23
	s_delay_alu instid0(VALU_DEP_2) | instskip(NEXT) | instid1(VALU_DEP_2)
	v_mul_hi_u32 v23, v16, v22
	v_mul_lo_u32 v24, v16, v21
	v_mul_hi_u32 v25, v16, v21
	v_mul_hi_u32 v26, v20, v22
	v_mul_lo_u32 v22, v20, v22
	v_mul_hi_u32 v27, v20, v21
	v_mul_lo_u32 v21, v20, v21
	v_add_co_u32 v23, vcc_lo, v23, v24
	v_add_co_ci_u32_e32 v24, vcc_lo, 0, v25, vcc_lo
	s_delay_alu instid0(VALU_DEP_2) | instskip(NEXT) | instid1(VALU_DEP_2)
	v_add_co_u32 v22, vcc_lo, v23, v22
	v_add_co_ci_u32_e32 v22, vcc_lo, v24, v26, vcc_lo
	v_add_co_ci_u32_e32 v23, vcc_lo, 0, v27, vcc_lo
	s_delay_alu instid0(VALU_DEP_2) | instskip(NEXT) | instid1(VALU_DEP_2)
	v_add_co_u32 v21, vcc_lo, v22, v21
	v_add_co_ci_u32_e32 v22, vcc_lo, 0, v23, vcc_lo
	s_delay_alu instid0(VALU_DEP_2) | instskip(NEXT) | instid1(VALU_DEP_2)
	v_add_co_u32 v16, vcc_lo, v16, v21
	v_add_co_ci_u32_e32 v26, vcc_lo, v20, v22, vcc_lo
	s_delay_alu instid0(VALU_DEP_2) | instskip(SKIP_1) | instid1(VALU_DEP_3)
	v_mul_hi_u32 v27, v9, v16
	v_mad_u64_u32 v[22:23], null, v10, v16, 0
	v_mad_u64_u32 v[20:21], null, v9, v26, 0
	;; [unrolled: 1-line block ×3, first 2 shown]
	s_delay_alu instid0(VALU_DEP_2) | instskip(NEXT) | instid1(VALU_DEP_3)
	v_add_co_u32 v16, vcc_lo, v27, v20
	v_add_co_ci_u32_e32 v20, vcc_lo, 0, v21, vcc_lo
	s_delay_alu instid0(VALU_DEP_2) | instskip(NEXT) | instid1(VALU_DEP_2)
	v_add_co_u32 v16, vcc_lo, v16, v22
	v_add_co_ci_u32_e32 v16, vcc_lo, v20, v23, vcc_lo
	v_add_co_ci_u32_e32 v20, vcc_lo, 0, v25, vcc_lo
	s_delay_alu instid0(VALU_DEP_2) | instskip(NEXT) | instid1(VALU_DEP_2)
	v_add_co_u32 v16, vcc_lo, v16, v24
	v_add_co_ci_u32_e32 v22, vcc_lo, 0, v20, vcc_lo
	s_delay_alu instid0(VALU_DEP_2) | instskip(SKIP_1) | instid1(VALU_DEP_3)
	v_mul_lo_u32 v23, s27, v16
	v_mad_u64_u32 v[20:21], null, s26, v16, 0
	v_mul_lo_u32 v24, s26, v22
	s_delay_alu instid0(VALU_DEP_2) | instskip(NEXT) | instid1(VALU_DEP_2)
	v_sub_co_u32 v20, vcc_lo, v9, v20
	v_add3_u32 v21, v21, v24, v23
	s_delay_alu instid0(VALU_DEP_1) | instskip(NEXT) | instid1(VALU_DEP_1)
	v_sub_nc_u32_e32 v23, v10, v21
	v_subrev_co_ci_u32_e64 v23, s0, s27, v23, vcc_lo
	v_add_co_u32 v24, s0, v16, 2
	s_delay_alu instid0(VALU_DEP_1) | instskip(SKIP_3) | instid1(VALU_DEP_3)
	v_add_co_ci_u32_e64 v25, s0, 0, v22, s0
	v_sub_co_u32 v26, s0, v20, s26
	v_sub_co_ci_u32_e32 v21, vcc_lo, v10, v21, vcc_lo
	v_subrev_co_ci_u32_e64 v23, s0, 0, v23, s0
	v_cmp_le_u32_e32 vcc_lo, s26, v26
	s_delay_alu instid0(VALU_DEP_3) | instskip(SKIP_1) | instid1(VALU_DEP_4)
	v_cmp_eq_u32_e64 s0, s27, v21
	v_cndmask_b32_e64 v26, 0, -1, vcc_lo
	v_cmp_le_u32_e32 vcc_lo, s27, v23
	v_cndmask_b32_e64 v27, 0, -1, vcc_lo
	v_cmp_le_u32_e32 vcc_lo, s26, v20
	;; [unrolled: 2-line block ×3, first 2 shown]
	v_cndmask_b32_e64 v53, 0, -1, vcc_lo
	v_cmp_eq_u32_e32 vcc_lo, s27, v23
	s_delay_alu instid0(VALU_DEP_2) | instskip(SKIP_3) | instid1(VALU_DEP_3)
	v_cndmask_b32_e64 v20, v53, v20, s0
	v_cndmask_b32_e32 v23, v27, v26, vcc_lo
	v_add_co_u32 v26, vcc_lo, v16, 1
	v_add_co_ci_u32_e32 v27, vcc_lo, 0, v22, vcc_lo
	v_cmp_ne_u32_e32 vcc_lo, 0, v23
	s_delay_alu instid0(VALU_DEP_3) | instskip(NEXT) | instid1(VALU_DEP_3)
	v_cndmask_b32_e32 v23, v26, v24, vcc_lo
	v_cndmask_b32_e32 v21, v27, v25, vcc_lo
	v_cmp_ne_u32_e32 vcc_lo, 0, v20
	s_delay_alu instid0(VALU_DEP_2)
	v_dual_cndmask_b32 v20, v16, v23 :: v_dual_cndmask_b32 v21, v22, v21
.LBB48_23:                              ;   in Loop: Header=BB48_21 Depth=2
	s_and_not1_saveexec_b32 s0, s4
	s_cbranch_execz .LBB48_25
; %bb.24:                               ;   in Loop: Header=BB48_21 Depth=2
	v_cvt_f32_u32_e32 v16, s26
	s_sub_i32 s4, 0, s26
	s_delay_alu instid0(VALU_DEP_1) | instskip(SKIP_2) | instid1(VALU_DEP_1)
	v_rcp_iflag_f32_e32 v16, v16
	s_waitcnt_depctr 0xfff
	v_mul_f32_e32 v16, 0x4f7ffffe, v16
	v_cvt_u32_f32_e32 v16, v16
	s_delay_alu instid0(VALU_DEP_1) | instskip(NEXT) | instid1(VALU_DEP_1)
	v_mul_lo_u32 v20, s4, v16
	v_mul_hi_u32 v20, v16, v20
	s_delay_alu instid0(VALU_DEP_1) | instskip(NEXT) | instid1(VALU_DEP_1)
	v_add_nc_u32_e32 v16, v16, v20
	v_mul_hi_u32 v16, v9, v16
	s_delay_alu instid0(VALU_DEP_1) | instskip(NEXT) | instid1(VALU_DEP_1)
	v_mul_lo_u32 v20, v16, s26
	v_sub_nc_u32_e32 v20, v9, v20
	s_delay_alu instid0(VALU_DEP_1) | instskip(SKIP_1) | instid1(VALU_DEP_2)
	v_subrev_nc_u32_e32 v22, s26, v20
	v_cmp_le_u32_e32 vcc_lo, s26, v20
	v_dual_cndmask_b32 v20, v20, v22 :: v_dual_add_nc_u32 v21, 1, v16
	s_delay_alu instid0(VALU_DEP_1) | instskip(NEXT) | instid1(VALU_DEP_2)
	v_cndmask_b32_e32 v16, v16, v21, vcc_lo
	v_cmp_le_u32_e32 vcc_lo, s26, v20
	s_delay_alu instid0(VALU_DEP_2) | instskip(NEXT) | instid1(VALU_DEP_1)
	v_add_nc_u32_e32 v21, 1, v16
	v_dual_cndmask_b32 v20, v16, v21 :: v_dual_mov_b32 v21, v15
.LBB48_25:                              ;   in Loop: Header=BB48_21 Depth=2
	s_or_b32 exec_lo, exec_lo, s0
	s_load_b64 s[38:39], s[24:25], 0xc8
	s_delay_alu instid0(VALU_DEP_1) | instskip(NEXT) | instid1(VALU_DEP_2)
	v_mul_lo_u32 v16, v21, s26
	v_mul_lo_u32 v24, v20, s27
	v_mad_u64_u32 v[22:23], null, v20, s26, 0
	s_add_i32 s2, s2, -1
	s_add_u32 s24, s24, -8
	s_addc_u32 s25, s25, -1
	s_cmp_gt_u32 s2, 2
	s_delay_alu instid0(VALU_DEP_1) | instskip(NEXT) | instid1(VALU_DEP_2)
	v_add3_u32 v16, v23, v24, v16
	v_sub_co_u32 v22, vcc_lo, v9, v22
	s_delay_alu instid0(VALU_DEP_2) | instskip(SKIP_1) | instid1(VALU_DEP_2)
	v_sub_co_ci_u32_e32 v9, vcc_lo, v10, v16, vcc_lo
	s_waitcnt lgkmcnt(0)
	v_mul_lo_u32 v23, s39, v22
	s_delay_alu instid0(VALU_DEP_2) | instskip(SKIP_1) | instid1(VALU_DEP_1)
	v_mul_lo_u32 v16, s38, v9
	v_mad_u64_u32 v[9:10], null, s38, v22, v[7:8]
	v_add3_u32 v8, v23, v10, v16
	s_delay_alu instid0(VALU_DEP_2)
	v_mov_b32_e32 v7, v9
	s_cbranch_scc0 .LBB48_27
; %bb.26:                               ;   in Loop: Header=BB48_21 Depth=2
	v_dual_mov_b32 v9, v20 :: v_dual_mov_b32 v10, v21
	s_branch .LBB48_21
.LBB48_27:                              ;   in Loop: Header=BB48_9 Depth=1
	v_mul_lo_u32 v16, s15, v20
	v_mul_lo_u32 v21, s14, v21
	v_mad_u64_u32 v[9:10], null, s14, v20, 0
	v_lshlrev_b64 v[7:8], 1, v[7:8]
	s_delay_alu instid0(VALU_DEP_2) | instskip(NEXT) | instid1(VALU_DEP_1)
	v_add3_u32 v10, v10, v21, v16
	v_lshlrev_b64 v[9:10], 1, v[9:10]
	s_delay_alu instid0(VALU_DEP_1) | instskip(NEXT) | instid1(VALU_DEP_2)
	v_add_co_u32 v9, vcc_lo, s16, v9
	v_add_co_ci_u32_e32 v10, vcc_lo, s17, v10, vcc_lo
	s_delay_alu instid0(VALU_DEP_2) | instskip(NEXT) | instid1(VALU_DEP_2)
	v_add_co_u32 v7, vcc_lo, v9, v7
	v_add_co_ci_u32_e32 v8, vcc_lo, v10, v8, vcc_lo
	global_load_u16 v53, v[7:8], off
.LBB48_28:                              ;   in Loop: Header=BB48_9 Depth=1
	s_or_b32 exec_lo, exec_lo, s1
	v_add_co_u32 v20, vcc_lo, v17, s28
	v_add_co_ci_u32_e32 v21, vcc_lo, 0, v18, vcc_lo
	s_delay_alu instid0(VALU_DEP_1) | instskip(NEXT) | instid1(VALU_DEP_1)
	v_cmp_gt_u64_e64 s2, s[6:7], v[20:21]
	s_and_saveexec_b32 s1, s2
	s_cbranch_execz .LBB48_37
; %bb.29:                               ;   in Loop: Header=BB48_9 Depth=1
	v_mov_b32_e32 v7, 0
	v_dual_mov_b32 v8, 0 :: v_dual_mov_b32 v9, v20
	v_mov_b32_e32 v10, v21
	v_dual_mov_b32 v23, v21 :: v_dual_mov_b32 v22, v20
	s_and_not1_b32 vcc_lo, exec_lo, s31
	s_mov_b64 s[24:25], s[20:21]
	s_mov_b32 s4, s35
	s_cbranch_vccnz .LBB48_36
.LBB48_30:                              ;   Parent Loop BB48_9 Depth=1
                                        ; =>  This Inner Loop Header: Depth=2
	s_load_b64 s[26:27], s[24:25], 0x0
                                        ; implicit-def: $vgpr22_vgpr23
	s_mov_b32 s0, exec_lo
	s_waitcnt lgkmcnt(0)
	v_or_b32_e32 v16, s27, v10
	s_delay_alu instid0(VALU_DEP_1)
	v_cmpx_ne_u64_e32 0, v[15:16]
	s_xor_b32 s38, exec_lo, s0
	s_cbranch_execz .LBB48_32
; %bb.31:                               ;   in Loop: Header=BB48_30 Depth=2
	v_cvt_f32_u32_e32 v16, s26
	v_cvt_f32_u32_e32 v22, s27
	s_sub_u32 s0, 0, s26
	s_subb_u32 s39, 0, s27
	s_delay_alu instid0(VALU_DEP_1) | instskip(NEXT) | instid1(VALU_DEP_1)
	v_fmac_f32_e32 v16, 0x4f800000, v22
	v_rcp_f32_e32 v16, v16
	s_waitcnt_depctr 0xfff
	v_mul_f32_e32 v16, 0x5f7ffffc, v16
	s_delay_alu instid0(VALU_DEP_1) | instskip(NEXT) | instid1(VALU_DEP_1)
	v_mul_f32_e32 v22, 0x2f800000, v16
	v_trunc_f32_e32 v22, v22
	s_delay_alu instid0(VALU_DEP_1) | instskip(SKIP_1) | instid1(VALU_DEP_2)
	v_fmac_f32_e32 v16, 0xcf800000, v22
	v_cvt_u32_f32_e32 v22, v22
	v_cvt_u32_f32_e32 v16, v16
	s_delay_alu instid0(VALU_DEP_2) | instskip(NEXT) | instid1(VALU_DEP_2)
	v_mul_lo_u32 v23, s0, v22
	v_mul_hi_u32 v24, s0, v16
	v_mul_lo_u32 v25, s39, v16
	s_delay_alu instid0(VALU_DEP_2) | instskip(SKIP_1) | instid1(VALU_DEP_2)
	v_add_nc_u32_e32 v23, v24, v23
	v_mul_lo_u32 v24, s0, v16
	v_add_nc_u32_e32 v23, v23, v25
	s_delay_alu instid0(VALU_DEP_2) | instskip(NEXT) | instid1(VALU_DEP_2)
	v_mul_hi_u32 v25, v16, v24
	v_mul_lo_u32 v26, v16, v23
	v_mul_hi_u32 v27, v16, v23
	v_mul_hi_u32 v52, v22, v24
	v_mul_lo_u32 v24, v22, v24
	v_mul_hi_u32 v54, v22, v23
	v_mul_lo_u32 v23, v22, v23
	v_add_co_u32 v25, vcc_lo, v25, v26
	v_add_co_ci_u32_e32 v26, vcc_lo, 0, v27, vcc_lo
	s_delay_alu instid0(VALU_DEP_2) | instskip(NEXT) | instid1(VALU_DEP_2)
	v_add_co_u32 v24, vcc_lo, v25, v24
	v_add_co_ci_u32_e32 v24, vcc_lo, v26, v52, vcc_lo
	v_add_co_ci_u32_e32 v25, vcc_lo, 0, v54, vcc_lo
	s_delay_alu instid0(VALU_DEP_2) | instskip(NEXT) | instid1(VALU_DEP_2)
	v_add_co_u32 v23, vcc_lo, v24, v23
	v_add_co_ci_u32_e32 v24, vcc_lo, 0, v25, vcc_lo
	s_delay_alu instid0(VALU_DEP_2) | instskip(NEXT) | instid1(VALU_DEP_2)
	v_add_co_u32 v16, vcc_lo, v16, v23
	v_add_co_ci_u32_e32 v22, vcc_lo, v22, v24, vcc_lo
	s_delay_alu instid0(VALU_DEP_2) | instskip(SKIP_1) | instid1(VALU_DEP_3)
	v_mul_hi_u32 v23, s0, v16
	v_mul_lo_u32 v25, s39, v16
	v_mul_lo_u32 v24, s0, v22
	s_delay_alu instid0(VALU_DEP_1) | instskip(SKIP_1) | instid1(VALU_DEP_2)
	v_add_nc_u32_e32 v23, v23, v24
	v_mul_lo_u32 v24, s0, v16
	v_add_nc_u32_e32 v23, v23, v25
	s_delay_alu instid0(VALU_DEP_2) | instskip(NEXT) | instid1(VALU_DEP_2)
	v_mul_hi_u32 v25, v16, v24
	v_mul_lo_u32 v26, v16, v23
	v_mul_hi_u32 v27, v16, v23
	v_mul_hi_u32 v52, v22, v24
	v_mul_lo_u32 v24, v22, v24
	v_mul_hi_u32 v54, v22, v23
	v_mul_lo_u32 v23, v22, v23
	v_add_co_u32 v25, vcc_lo, v25, v26
	v_add_co_ci_u32_e32 v26, vcc_lo, 0, v27, vcc_lo
	s_delay_alu instid0(VALU_DEP_2) | instskip(NEXT) | instid1(VALU_DEP_2)
	v_add_co_u32 v24, vcc_lo, v25, v24
	v_add_co_ci_u32_e32 v24, vcc_lo, v26, v52, vcc_lo
	v_add_co_ci_u32_e32 v25, vcc_lo, 0, v54, vcc_lo
	s_delay_alu instid0(VALU_DEP_2) | instskip(NEXT) | instid1(VALU_DEP_2)
	v_add_co_u32 v23, vcc_lo, v24, v23
	v_add_co_ci_u32_e32 v24, vcc_lo, 0, v25, vcc_lo
	s_delay_alu instid0(VALU_DEP_2) | instskip(NEXT) | instid1(VALU_DEP_2)
	v_add_co_u32 v16, vcc_lo, v16, v23
	v_add_co_ci_u32_e32 v52, vcc_lo, v22, v24, vcc_lo
	s_delay_alu instid0(VALU_DEP_2) | instskip(SKIP_1) | instid1(VALU_DEP_3)
	v_mul_hi_u32 v54, v9, v16
	v_mad_u64_u32 v[24:25], null, v10, v16, 0
	v_mad_u64_u32 v[22:23], null, v9, v52, 0
	;; [unrolled: 1-line block ×3, first 2 shown]
	s_delay_alu instid0(VALU_DEP_2) | instskip(NEXT) | instid1(VALU_DEP_3)
	v_add_co_u32 v16, vcc_lo, v54, v22
	v_add_co_ci_u32_e32 v22, vcc_lo, 0, v23, vcc_lo
	s_delay_alu instid0(VALU_DEP_2) | instskip(NEXT) | instid1(VALU_DEP_2)
	v_add_co_u32 v16, vcc_lo, v16, v24
	v_add_co_ci_u32_e32 v16, vcc_lo, v22, v25, vcc_lo
	v_add_co_ci_u32_e32 v22, vcc_lo, 0, v27, vcc_lo
	s_delay_alu instid0(VALU_DEP_2) | instskip(NEXT) | instid1(VALU_DEP_2)
	v_add_co_u32 v16, vcc_lo, v16, v26
	v_add_co_ci_u32_e32 v24, vcc_lo, 0, v22, vcc_lo
	s_delay_alu instid0(VALU_DEP_2) | instskip(SKIP_1) | instid1(VALU_DEP_3)
	v_mul_lo_u32 v25, s27, v16
	v_mad_u64_u32 v[22:23], null, s26, v16, 0
	v_mul_lo_u32 v26, s26, v24
	s_delay_alu instid0(VALU_DEP_2) | instskip(NEXT) | instid1(VALU_DEP_2)
	v_sub_co_u32 v22, vcc_lo, v9, v22
	v_add3_u32 v23, v23, v26, v25
	s_delay_alu instid0(VALU_DEP_1) | instskip(NEXT) | instid1(VALU_DEP_1)
	v_sub_nc_u32_e32 v25, v10, v23
	v_subrev_co_ci_u32_e64 v25, s0, s27, v25, vcc_lo
	v_add_co_u32 v26, s0, v16, 2
	s_delay_alu instid0(VALU_DEP_1) | instskip(SKIP_3) | instid1(VALU_DEP_3)
	v_add_co_ci_u32_e64 v27, s0, 0, v24, s0
	v_sub_co_u32 v52, s0, v22, s26
	v_sub_co_ci_u32_e32 v23, vcc_lo, v10, v23, vcc_lo
	v_subrev_co_ci_u32_e64 v25, s0, 0, v25, s0
	v_cmp_le_u32_e32 vcc_lo, s26, v52
	s_delay_alu instid0(VALU_DEP_3) | instskip(SKIP_1) | instid1(VALU_DEP_4)
	v_cmp_eq_u32_e64 s0, s27, v23
	v_cndmask_b32_e64 v52, 0, -1, vcc_lo
	v_cmp_le_u32_e32 vcc_lo, s27, v25
	v_cndmask_b32_e64 v54, 0, -1, vcc_lo
	v_cmp_le_u32_e32 vcc_lo, s26, v22
	;; [unrolled: 2-line block ×3, first 2 shown]
	v_cndmask_b32_e64 v55, 0, -1, vcc_lo
	v_cmp_eq_u32_e32 vcc_lo, s27, v25
	s_delay_alu instid0(VALU_DEP_2) | instskip(SKIP_3) | instid1(VALU_DEP_3)
	v_cndmask_b32_e64 v22, v55, v22, s0
	v_cndmask_b32_e32 v25, v54, v52, vcc_lo
	v_add_co_u32 v52, vcc_lo, v16, 1
	v_add_co_ci_u32_e32 v54, vcc_lo, 0, v24, vcc_lo
	v_cmp_ne_u32_e32 vcc_lo, 0, v25
	s_delay_alu instid0(VALU_DEP_3) | instskip(NEXT) | instid1(VALU_DEP_3)
	v_cndmask_b32_e32 v25, v52, v26, vcc_lo
	v_cndmask_b32_e32 v23, v54, v27, vcc_lo
	v_cmp_ne_u32_e32 vcc_lo, 0, v22
	s_delay_alu instid0(VALU_DEP_3) | instskip(NEXT) | instid1(VALU_DEP_3)
	v_cndmask_b32_e32 v22, v16, v25, vcc_lo
	v_cndmask_b32_e32 v23, v24, v23, vcc_lo
.LBB48_32:                              ;   in Loop: Header=BB48_30 Depth=2
	s_and_not1_saveexec_b32 s0, s38
	s_cbranch_execz .LBB48_34
; %bb.33:                               ;   in Loop: Header=BB48_30 Depth=2
	v_cvt_f32_u32_e32 v16, s26
	s_sub_i32 s38, 0, s26
	s_delay_alu instid0(VALU_DEP_1) | instskip(SKIP_2) | instid1(VALU_DEP_1)
	v_rcp_iflag_f32_e32 v16, v16
	s_waitcnt_depctr 0xfff
	v_mul_f32_e32 v16, 0x4f7ffffe, v16
	v_cvt_u32_f32_e32 v16, v16
	s_delay_alu instid0(VALU_DEP_1) | instskip(NEXT) | instid1(VALU_DEP_1)
	v_mul_lo_u32 v22, s38, v16
	v_mul_hi_u32 v22, v16, v22
	s_delay_alu instid0(VALU_DEP_1) | instskip(NEXT) | instid1(VALU_DEP_1)
	v_add_nc_u32_e32 v16, v16, v22
	v_mul_hi_u32 v16, v9, v16
	s_delay_alu instid0(VALU_DEP_1) | instskip(SKIP_1) | instid1(VALU_DEP_2)
	v_mul_lo_u32 v22, v16, s26
	v_add_nc_u32_e32 v23, 1, v16
	v_sub_nc_u32_e32 v22, v9, v22
	s_delay_alu instid0(VALU_DEP_1) | instskip(SKIP_1) | instid1(VALU_DEP_2)
	v_subrev_nc_u32_e32 v24, s26, v22
	v_cmp_le_u32_e32 vcc_lo, s26, v22
	v_cndmask_b32_e32 v22, v22, v24, vcc_lo
	v_cndmask_b32_e32 v16, v16, v23, vcc_lo
	s_delay_alu instid0(VALU_DEP_2) | instskip(NEXT) | instid1(VALU_DEP_2)
	v_cmp_le_u32_e32 vcc_lo, s26, v22
	v_add_nc_u32_e32 v23, 1, v16
	s_delay_alu instid0(VALU_DEP_1)
	v_dual_cndmask_b32 v22, v16, v23 :: v_dual_mov_b32 v23, v15
.LBB48_34:                              ;   in Loop: Header=BB48_30 Depth=2
	s_or_b32 exec_lo, exec_lo, s0
	s_load_b64 s[38:39], s[24:25], 0xc8
	s_delay_alu instid0(VALU_DEP_1) | instskip(NEXT) | instid1(VALU_DEP_2)
	v_mul_lo_u32 v16, v23, s26
	v_mul_lo_u32 v26, v22, s27
	v_mad_u64_u32 v[24:25], null, v22, s26, 0
	s_add_i32 s4, s4, -1
	s_add_u32 s24, s24, -8
	s_addc_u32 s25, s25, -1
	s_cmp_gt_u32 s4, 2
	s_delay_alu instid0(VALU_DEP_1) | instskip(NEXT) | instid1(VALU_DEP_2)
	v_add3_u32 v16, v25, v26, v16
	v_sub_co_u32 v24, vcc_lo, v9, v24
	s_delay_alu instid0(VALU_DEP_2) | instskip(SKIP_1) | instid1(VALU_DEP_2)
	v_sub_co_ci_u32_e32 v9, vcc_lo, v10, v16, vcc_lo
	s_waitcnt lgkmcnt(0)
	v_mul_lo_u32 v25, s39, v24
	s_delay_alu instid0(VALU_DEP_2) | instskip(SKIP_1) | instid1(VALU_DEP_1)
	v_mul_lo_u32 v16, s38, v9
	v_mad_u64_u32 v[9:10], null, s38, v24, v[7:8]
	v_add3_u32 v8, v25, v10, v16
	s_delay_alu instid0(VALU_DEP_2)
	v_mov_b32_e32 v7, v9
	s_cbranch_scc0 .LBB48_36
; %bb.35:                               ;   in Loop: Header=BB48_30 Depth=2
	v_dual_mov_b32 v9, v22 :: v_dual_mov_b32 v10, v23
	s_branch .LBB48_30
.LBB48_36:                              ;   in Loop: Header=BB48_9 Depth=1
	v_mul_lo_u32 v16, s15, v22
	v_mul_lo_u32 v23, s14, v23
	v_mad_u64_u32 v[9:10], null, s14, v22, 0
	v_lshlrev_b64 v[7:8], 1, v[7:8]
	s_delay_alu instid0(VALU_DEP_2) | instskip(NEXT) | instid1(VALU_DEP_1)
	v_add3_u32 v10, v10, v23, v16
	v_lshlrev_b64 v[9:10], 1, v[9:10]
	s_delay_alu instid0(VALU_DEP_1) | instskip(NEXT) | instid1(VALU_DEP_2)
	v_add_co_u32 v9, vcc_lo, s16, v9
	v_add_co_ci_u32_e32 v10, vcc_lo, s17, v10, vcc_lo
	s_delay_alu instid0(VALU_DEP_2) | instskip(NEXT) | instid1(VALU_DEP_2)
	v_add_co_u32 v7, vcc_lo, v9, v7
	v_add_co_ci_u32_e32 v8, vcc_lo, v10, v8, vcc_lo
	global_load_u16 v52, v[7:8], off
.LBB48_37:                              ;   in Loop: Header=BB48_9 Depth=1
	s_or_b32 exec_lo, exec_lo, s1
	v_add_co_u32 v9, vcc_lo, v17, s34
	v_add_co_ci_u32_e32 v10, vcc_lo, 0, v18, vcc_lo
	s_delay_alu instid0(VALU_DEP_1) | instskip(NEXT) | instid1(VALU_DEP_1)
	v_cmp_gt_u64_e64 s1, s[6:7], v[9:10]
	s_and_saveexec_b32 s4, s1
	s_cbranch_execz .LBB48_46
; %bb.38:                               ;   in Loop: Header=BB48_9 Depth=1
	v_mov_b32_e32 v7, 0
	v_dual_mov_b32 v8, 0 :: v_dual_mov_b32 v23, v10
	v_dual_mov_b32 v22, v9 :: v_dual_mov_b32 v25, v10
	v_mov_b32_e32 v24, v9
	s_and_not1_b32 vcc_lo, exec_lo, s31
	s_mov_b64 s[24:25], s[20:21]
	s_mov_b32 s38, s35
	s_cbranch_vccnz .LBB48_45
.LBB48_39:                              ;   Parent Loop BB48_9 Depth=1
                                        ; =>  This Inner Loop Header: Depth=2
	s_load_b64 s[26:27], s[24:25], 0x0
                                        ; implicit-def: $vgpr24_vgpr25
	s_mov_b32 s0, exec_lo
	s_waitcnt lgkmcnt(0)
	v_or_b32_e32 v16, s27, v23
	s_delay_alu instid0(VALU_DEP_1)
	v_cmpx_ne_u64_e32 0, v[15:16]
	s_xor_b32 s39, exec_lo, s0
	s_cbranch_execz .LBB48_41
; %bb.40:                               ;   in Loop: Header=BB48_39 Depth=2
	v_cvt_f32_u32_e32 v16, s26
	v_cvt_f32_u32_e32 v24, s27
	s_sub_u32 s0, 0, s26
	s_subb_u32 s40, 0, s27
	s_delay_alu instid0(VALU_DEP_1) | instskip(NEXT) | instid1(VALU_DEP_1)
	v_fmac_f32_e32 v16, 0x4f800000, v24
	v_rcp_f32_e32 v16, v16
	s_waitcnt_depctr 0xfff
	v_mul_f32_e32 v16, 0x5f7ffffc, v16
	s_delay_alu instid0(VALU_DEP_1) | instskip(NEXT) | instid1(VALU_DEP_1)
	v_mul_f32_e32 v24, 0x2f800000, v16
	v_trunc_f32_e32 v24, v24
	s_delay_alu instid0(VALU_DEP_1) | instskip(SKIP_1) | instid1(VALU_DEP_2)
	v_fmac_f32_e32 v16, 0xcf800000, v24
	v_cvt_u32_f32_e32 v24, v24
	v_cvt_u32_f32_e32 v16, v16
	s_delay_alu instid0(VALU_DEP_2) | instskip(NEXT) | instid1(VALU_DEP_2)
	v_mul_lo_u32 v25, s0, v24
	v_mul_hi_u32 v26, s0, v16
	v_mul_lo_u32 v27, s40, v16
	s_delay_alu instid0(VALU_DEP_2) | instskip(SKIP_1) | instid1(VALU_DEP_2)
	v_add_nc_u32_e32 v25, v26, v25
	v_mul_lo_u32 v26, s0, v16
	v_add_nc_u32_e32 v25, v25, v27
	s_delay_alu instid0(VALU_DEP_2) | instskip(NEXT) | instid1(VALU_DEP_2)
	v_mul_hi_u32 v27, v16, v26
	v_mul_lo_u32 v51, v16, v25
	v_mul_hi_u32 v54, v16, v25
	v_mul_hi_u32 v55, v24, v26
	v_mul_lo_u32 v26, v24, v26
	v_mul_hi_u32 v56, v24, v25
	v_mul_lo_u32 v25, v24, v25
	v_add_co_u32 v27, vcc_lo, v27, v51
	v_add_co_ci_u32_e32 v51, vcc_lo, 0, v54, vcc_lo
	s_delay_alu instid0(VALU_DEP_2) | instskip(NEXT) | instid1(VALU_DEP_2)
	v_add_co_u32 v26, vcc_lo, v27, v26
	v_add_co_ci_u32_e32 v26, vcc_lo, v51, v55, vcc_lo
	v_add_co_ci_u32_e32 v27, vcc_lo, 0, v56, vcc_lo
	s_delay_alu instid0(VALU_DEP_2) | instskip(NEXT) | instid1(VALU_DEP_2)
	v_add_co_u32 v25, vcc_lo, v26, v25
	v_add_co_ci_u32_e32 v26, vcc_lo, 0, v27, vcc_lo
	s_delay_alu instid0(VALU_DEP_2) | instskip(NEXT) | instid1(VALU_DEP_2)
	v_add_co_u32 v16, vcc_lo, v16, v25
	v_add_co_ci_u32_e32 v24, vcc_lo, v24, v26, vcc_lo
	s_delay_alu instid0(VALU_DEP_2) | instskip(SKIP_1) | instid1(VALU_DEP_3)
	v_mul_hi_u32 v25, s0, v16
	v_mul_lo_u32 v27, s40, v16
	v_mul_lo_u32 v26, s0, v24
	s_delay_alu instid0(VALU_DEP_1) | instskip(SKIP_1) | instid1(VALU_DEP_2)
	v_add_nc_u32_e32 v25, v25, v26
	v_mul_lo_u32 v26, s0, v16
	v_add_nc_u32_e32 v25, v25, v27
	s_delay_alu instid0(VALU_DEP_2) | instskip(NEXT) | instid1(VALU_DEP_2)
	v_mul_hi_u32 v27, v16, v26
	v_mul_lo_u32 v51, v16, v25
	v_mul_hi_u32 v54, v16, v25
	v_mul_hi_u32 v55, v24, v26
	v_mul_lo_u32 v26, v24, v26
	v_mul_hi_u32 v56, v24, v25
	v_mul_lo_u32 v25, v24, v25
	v_add_co_u32 v27, vcc_lo, v27, v51
	v_add_co_ci_u32_e32 v51, vcc_lo, 0, v54, vcc_lo
	s_delay_alu instid0(VALU_DEP_2) | instskip(NEXT) | instid1(VALU_DEP_2)
	v_add_co_u32 v26, vcc_lo, v27, v26
	v_add_co_ci_u32_e32 v26, vcc_lo, v51, v55, vcc_lo
	v_add_co_ci_u32_e32 v27, vcc_lo, 0, v56, vcc_lo
	s_delay_alu instid0(VALU_DEP_2) | instskip(NEXT) | instid1(VALU_DEP_2)
	v_add_co_u32 v25, vcc_lo, v26, v25
	v_add_co_ci_u32_e32 v26, vcc_lo, 0, v27, vcc_lo
	s_delay_alu instid0(VALU_DEP_2) | instskip(NEXT) | instid1(VALU_DEP_2)
	v_add_co_u32 v16, vcc_lo, v16, v25
	v_add_co_ci_u32_e32 v51, vcc_lo, v24, v26, vcc_lo
	s_delay_alu instid0(VALU_DEP_2) | instskip(SKIP_1) | instid1(VALU_DEP_3)
	v_mul_hi_u32 v56, v22, v16
	v_mad_u64_u32 v[26:27], null, v23, v16, 0
	v_mad_u64_u32 v[24:25], null, v22, v51, 0
	v_mad_u64_u32 v[54:55], null, v23, v51, 0
	s_delay_alu instid0(VALU_DEP_2) | instskip(NEXT) | instid1(VALU_DEP_3)
	v_add_co_u32 v16, vcc_lo, v56, v24
	v_add_co_ci_u32_e32 v24, vcc_lo, 0, v25, vcc_lo
	s_delay_alu instid0(VALU_DEP_2) | instskip(NEXT) | instid1(VALU_DEP_2)
	v_add_co_u32 v16, vcc_lo, v16, v26
	v_add_co_ci_u32_e32 v16, vcc_lo, v24, v27, vcc_lo
	v_add_co_ci_u32_e32 v24, vcc_lo, 0, v55, vcc_lo
	s_delay_alu instid0(VALU_DEP_2) | instskip(NEXT) | instid1(VALU_DEP_2)
	v_add_co_u32 v16, vcc_lo, v16, v54
	v_add_co_ci_u32_e32 v26, vcc_lo, 0, v24, vcc_lo
	s_delay_alu instid0(VALU_DEP_2) | instskip(SKIP_1) | instid1(VALU_DEP_3)
	v_mul_lo_u32 v27, s27, v16
	v_mad_u64_u32 v[24:25], null, s26, v16, 0
	v_mul_lo_u32 v51, s26, v26
	s_delay_alu instid0(VALU_DEP_2) | instskip(NEXT) | instid1(VALU_DEP_2)
	v_sub_co_u32 v24, vcc_lo, v22, v24
	v_add3_u32 v25, v25, v51, v27
	s_delay_alu instid0(VALU_DEP_1) | instskip(NEXT) | instid1(VALU_DEP_1)
	v_sub_nc_u32_e32 v27, v23, v25
	v_subrev_co_ci_u32_e64 v27, s0, s27, v27, vcc_lo
	v_add_co_u32 v51, s0, v16, 2
	s_delay_alu instid0(VALU_DEP_1) | instskip(SKIP_3) | instid1(VALU_DEP_3)
	v_add_co_ci_u32_e64 v54, s0, 0, v26, s0
	v_sub_co_u32 v55, s0, v24, s26
	v_sub_co_ci_u32_e32 v25, vcc_lo, v23, v25, vcc_lo
	v_subrev_co_ci_u32_e64 v27, s0, 0, v27, s0
	v_cmp_le_u32_e32 vcc_lo, s26, v55
	s_delay_alu instid0(VALU_DEP_3) | instskip(SKIP_1) | instid1(VALU_DEP_4)
	v_cmp_eq_u32_e64 s0, s27, v25
	v_cndmask_b32_e64 v55, 0, -1, vcc_lo
	v_cmp_le_u32_e32 vcc_lo, s27, v27
	v_cndmask_b32_e64 v56, 0, -1, vcc_lo
	v_cmp_le_u32_e32 vcc_lo, s26, v24
	;; [unrolled: 2-line block ×3, first 2 shown]
	v_cndmask_b32_e64 v57, 0, -1, vcc_lo
	v_cmp_eq_u32_e32 vcc_lo, s27, v27
	s_delay_alu instid0(VALU_DEP_2) | instskip(SKIP_3) | instid1(VALU_DEP_3)
	v_cndmask_b32_e64 v24, v57, v24, s0
	v_cndmask_b32_e32 v27, v56, v55, vcc_lo
	v_add_co_u32 v55, vcc_lo, v16, 1
	v_add_co_ci_u32_e32 v56, vcc_lo, 0, v26, vcc_lo
	v_cmp_ne_u32_e32 vcc_lo, 0, v27
	s_delay_alu instid0(VALU_DEP_2) | instskip(NEXT) | instid1(VALU_DEP_4)
	v_cndmask_b32_e32 v25, v56, v54, vcc_lo
	v_cndmask_b32_e32 v27, v55, v51, vcc_lo
	v_cmp_ne_u32_e32 vcc_lo, 0, v24
	s_delay_alu instid0(VALU_DEP_2)
	v_dual_cndmask_b32 v25, v26, v25 :: v_dual_cndmask_b32 v24, v16, v27
.LBB48_41:                              ;   in Loop: Header=BB48_39 Depth=2
	s_and_not1_saveexec_b32 s0, s39
	s_cbranch_execz .LBB48_43
; %bb.42:                               ;   in Loop: Header=BB48_39 Depth=2
	v_cvt_f32_u32_e32 v16, s26
	s_sub_i32 s39, 0, s26
	s_delay_alu instid0(VALU_DEP_1) | instskip(SKIP_2) | instid1(VALU_DEP_1)
	v_rcp_iflag_f32_e32 v16, v16
	s_waitcnt_depctr 0xfff
	v_mul_f32_e32 v16, 0x4f7ffffe, v16
	v_cvt_u32_f32_e32 v16, v16
	s_delay_alu instid0(VALU_DEP_1) | instskip(NEXT) | instid1(VALU_DEP_1)
	v_mul_lo_u32 v24, s39, v16
	v_mul_hi_u32 v24, v16, v24
	s_delay_alu instid0(VALU_DEP_1) | instskip(NEXT) | instid1(VALU_DEP_1)
	v_add_nc_u32_e32 v16, v16, v24
	v_mul_hi_u32 v16, v22, v16
	s_delay_alu instid0(VALU_DEP_1) | instskip(NEXT) | instid1(VALU_DEP_1)
	v_mul_lo_u32 v24, v16, s26
	v_sub_nc_u32_e32 v24, v22, v24
	s_delay_alu instid0(VALU_DEP_1) | instskip(SKIP_1) | instid1(VALU_DEP_2)
	v_subrev_nc_u32_e32 v26, s26, v24
	v_cmp_le_u32_e32 vcc_lo, s26, v24
	v_dual_cndmask_b32 v24, v24, v26 :: v_dual_add_nc_u32 v25, 1, v16
	s_delay_alu instid0(VALU_DEP_1) | instskip(NEXT) | instid1(VALU_DEP_2)
	v_cndmask_b32_e32 v16, v16, v25, vcc_lo
	v_cmp_le_u32_e32 vcc_lo, s26, v24
	s_delay_alu instid0(VALU_DEP_2) | instskip(NEXT) | instid1(VALU_DEP_1)
	v_add_nc_u32_e32 v25, 1, v16
	v_dual_cndmask_b32 v24, v16, v25 :: v_dual_mov_b32 v25, v15
.LBB48_43:                              ;   in Loop: Header=BB48_39 Depth=2
	s_or_b32 exec_lo, exec_lo, s0
	s_load_b64 s[40:41], s[24:25], 0xc8
	s_delay_alu instid0(VALU_DEP_1) | instskip(NEXT) | instid1(VALU_DEP_2)
	v_mul_lo_u32 v16, v25, s26
	v_mul_lo_u32 v51, v24, s27
	v_mad_u64_u32 v[26:27], null, v24, s26, 0
	s_add_i32 s38, s38, -1
	s_add_u32 s24, s24, -8
	s_addc_u32 s25, s25, -1
	s_cmp_gt_u32 s38, 2
	s_delay_alu instid0(VALU_DEP_1) | instskip(NEXT) | instid1(VALU_DEP_2)
	v_add3_u32 v16, v27, v51, v16
	v_sub_co_u32 v26, vcc_lo, v22, v26
	s_delay_alu instid0(VALU_DEP_2) | instskip(SKIP_1) | instid1(VALU_DEP_2)
	v_sub_co_ci_u32_e32 v16, vcc_lo, v23, v16, vcc_lo
	s_waitcnt lgkmcnt(0)
	v_mul_lo_u32 v27, s41, v26
	s_delay_alu instid0(VALU_DEP_2) | instskip(SKIP_1) | instid1(VALU_DEP_1)
	v_mul_lo_u32 v16, s40, v16
	v_mad_u64_u32 v[22:23], null, s40, v26, v[7:8]
	v_add3_u32 v8, v27, v23, v16
	s_delay_alu instid0(VALU_DEP_2)
	v_mov_b32_e32 v7, v22
	s_cbranch_scc0 .LBB48_45
; %bb.44:                               ;   in Loop: Header=BB48_39 Depth=2
	v_dual_mov_b32 v22, v24 :: v_dual_mov_b32 v23, v25
	s_branch .LBB48_39
.LBB48_45:                              ;   in Loop: Header=BB48_9 Depth=1
	v_mul_lo_u32 v16, s15, v24
	v_mul_lo_u32 v25, s14, v25
	v_mad_u64_u32 v[22:23], null, s14, v24, 0
	v_lshlrev_b64 v[7:8], 1, v[7:8]
	s_delay_alu instid0(VALU_DEP_2) | instskip(NEXT) | instid1(VALU_DEP_1)
	v_add3_u32 v23, v23, v25, v16
	v_lshlrev_b64 v[22:23], 1, v[22:23]
	s_delay_alu instid0(VALU_DEP_1) | instskip(NEXT) | instid1(VALU_DEP_2)
	v_add_co_u32 v16, vcc_lo, s16, v22
	v_add_co_ci_u32_e32 v22, vcc_lo, s17, v23, vcc_lo
	s_delay_alu instid0(VALU_DEP_2) | instskip(NEXT) | instid1(VALU_DEP_2)
	v_add_co_u32 v7, vcc_lo, v16, v7
	v_add_co_ci_u32_e32 v8, vcc_lo, v22, v8, vcc_lo
	global_load_u16 v51, v[7:8], off
.LBB48_46:                              ;   in Loop: Header=BB48_9 Depth=1
	s_or_b32 exec_lo, exec_lo, s4
	v_add_co_u32 v7, vcc_lo, v17, s36
	v_add_co_ci_u32_e32 v8, vcc_lo, 0, v18, vcc_lo
	s_delay_alu instid0(VALU_DEP_1) | instskip(NEXT) | instid1(VALU_DEP_1)
	v_cmp_gt_u64_e64 s0, s[6:7], v[7:8]
	s_and_saveexec_b32 s38, s0
	s_cbranch_execnz .LBB48_51
; %bb.47:                               ;   in Loop: Header=BB48_9 Depth=1
	s_or_b32 exec_lo, exec_lo, s38
	s_and_saveexec_b32 s4, s3
	s_cbranch_execnz .LBB48_59
.LBB48_48:                              ;   in Loop: Header=BB48_9 Depth=1
	s_or_b32 exec_lo, exec_lo, s4
	s_and_saveexec_b32 s3, s2
	s_cbranch_execnz .LBB48_67
.LBB48_49:                              ;   in Loop: Header=BB48_9 Depth=1
	s_or_b32 exec_lo, exec_lo, s3
	s_and_saveexec_b32 s4, s1
	s_cbranch_execnz .LBB48_69
.LBB48_50:                              ;   in Loop: Header=BB48_9 Depth=1
	s_or_b32 exec_lo, exec_lo, s4
	s_and_saveexec_b32 s1, s0
	s_cbranch_execz .LBB48_8
	s_branch .LBB48_71
.LBB48_51:                              ;   in Loop: Header=BB48_9 Depth=1
	v_dual_mov_b32 v22, 0 :: v_dual_mov_b32 v25, v8
	v_dual_mov_b32 v23, 0 :: v_dual_mov_b32 v24, v7
	;; [unrolled: 1-line block ×3, first 2 shown]
	s_and_not1_b32 vcc_lo, exec_lo, s31
	s_mov_b64 s[24:25], s[20:21]
	s_mov_b32 s39, s35
	s_cbranch_vccnz .LBB48_58
.LBB48_52:                              ;   Parent Loop BB48_9 Depth=1
                                        ; =>  This Inner Loop Header: Depth=2
	s_load_b64 s[26:27], s[24:25], 0x0
                                        ; implicit-def: $vgpr26_vgpr27
	s_mov_b32 s4, exec_lo
	s_waitcnt lgkmcnt(0)
	v_or_b32_e32 v16, s27, v25
	s_delay_alu instid0(VALU_DEP_1)
	v_cmpx_ne_u64_e32 0, v[15:16]
	s_xor_b32 s40, exec_lo, s4
	s_cbranch_execz .LBB48_54
; %bb.53:                               ;   in Loop: Header=BB48_52 Depth=2
	v_cvt_f32_u32_e32 v16, s26
	v_cvt_f32_u32_e32 v26, s27
	s_sub_u32 s4, 0, s26
	s_subb_u32 s41, 0, s27
	s_delay_alu instid0(VALU_DEP_1) | instskip(NEXT) | instid1(VALU_DEP_1)
	v_fmac_f32_e32 v16, 0x4f800000, v26
	v_rcp_f32_e32 v16, v16
	s_waitcnt_depctr 0xfff
	v_mul_f32_e32 v16, 0x5f7ffffc, v16
	s_delay_alu instid0(VALU_DEP_1) | instskip(NEXT) | instid1(VALU_DEP_1)
	v_mul_f32_e32 v26, 0x2f800000, v16
	v_trunc_f32_e32 v26, v26
	s_delay_alu instid0(VALU_DEP_1) | instskip(SKIP_1) | instid1(VALU_DEP_2)
	v_fmac_f32_e32 v16, 0xcf800000, v26
	v_cvt_u32_f32_e32 v26, v26
	v_cvt_u32_f32_e32 v16, v16
	s_delay_alu instid0(VALU_DEP_2) | instskip(NEXT) | instid1(VALU_DEP_2)
	v_mul_lo_u32 v27, s4, v26
	v_mul_hi_u32 v50, s4, v16
	v_mul_lo_u32 v54, s41, v16
	s_delay_alu instid0(VALU_DEP_2) | instskip(SKIP_1) | instid1(VALU_DEP_2)
	v_add_nc_u32_e32 v27, v50, v27
	v_mul_lo_u32 v50, s4, v16
	v_add_nc_u32_e32 v27, v27, v54
	s_delay_alu instid0(VALU_DEP_2) | instskip(NEXT) | instid1(VALU_DEP_2)
	v_mul_hi_u32 v54, v16, v50
	v_mul_lo_u32 v55, v16, v27
	v_mul_hi_u32 v56, v16, v27
	v_mul_hi_u32 v57, v26, v50
	v_mul_lo_u32 v50, v26, v50
	v_mul_hi_u32 v58, v26, v27
	v_mul_lo_u32 v27, v26, v27
	v_add_co_u32 v54, vcc_lo, v54, v55
	v_add_co_ci_u32_e32 v55, vcc_lo, 0, v56, vcc_lo
	s_delay_alu instid0(VALU_DEP_2) | instskip(NEXT) | instid1(VALU_DEP_2)
	v_add_co_u32 v50, vcc_lo, v54, v50
	v_add_co_ci_u32_e32 v50, vcc_lo, v55, v57, vcc_lo
	v_add_co_ci_u32_e32 v54, vcc_lo, 0, v58, vcc_lo
	s_delay_alu instid0(VALU_DEP_2) | instskip(NEXT) | instid1(VALU_DEP_2)
	v_add_co_u32 v27, vcc_lo, v50, v27
	v_add_co_ci_u32_e32 v50, vcc_lo, 0, v54, vcc_lo
	s_delay_alu instid0(VALU_DEP_2) | instskip(NEXT) | instid1(VALU_DEP_2)
	v_add_co_u32 v16, vcc_lo, v16, v27
	v_add_co_ci_u32_e32 v26, vcc_lo, v26, v50, vcc_lo
	s_delay_alu instid0(VALU_DEP_2) | instskip(SKIP_1) | instid1(VALU_DEP_3)
	v_mul_hi_u32 v27, s4, v16
	v_mul_lo_u32 v54, s41, v16
	v_mul_lo_u32 v50, s4, v26
	s_delay_alu instid0(VALU_DEP_1) | instskip(SKIP_1) | instid1(VALU_DEP_2)
	v_add_nc_u32_e32 v27, v27, v50
	v_mul_lo_u32 v50, s4, v16
	v_add_nc_u32_e32 v27, v27, v54
	s_delay_alu instid0(VALU_DEP_2) | instskip(NEXT) | instid1(VALU_DEP_2)
	v_mul_hi_u32 v54, v16, v50
	v_mul_lo_u32 v55, v16, v27
	v_mul_hi_u32 v56, v16, v27
	v_mul_hi_u32 v57, v26, v50
	v_mul_lo_u32 v50, v26, v50
	v_mul_hi_u32 v58, v26, v27
	v_mul_lo_u32 v27, v26, v27
	v_add_co_u32 v54, vcc_lo, v54, v55
	v_add_co_ci_u32_e32 v55, vcc_lo, 0, v56, vcc_lo
	s_delay_alu instid0(VALU_DEP_2) | instskip(NEXT) | instid1(VALU_DEP_2)
	v_add_co_u32 v50, vcc_lo, v54, v50
	v_add_co_ci_u32_e32 v50, vcc_lo, v55, v57, vcc_lo
	v_add_co_ci_u32_e32 v54, vcc_lo, 0, v58, vcc_lo
	s_delay_alu instid0(VALU_DEP_2) | instskip(NEXT) | instid1(VALU_DEP_2)
	v_add_co_u32 v27, vcc_lo, v50, v27
	v_add_co_ci_u32_e32 v50, vcc_lo, 0, v54, vcc_lo
	s_delay_alu instid0(VALU_DEP_2) | instskip(NEXT) | instid1(VALU_DEP_2)
	v_add_co_u32 v16, vcc_lo, v16, v27
	v_add_co_ci_u32_e32 v50, vcc_lo, v26, v50, vcc_lo
	s_delay_alu instid0(VALU_DEP_2) | instskip(SKIP_1) | instid1(VALU_DEP_3)
	v_mul_hi_u32 v58, v24, v16
	v_mad_u64_u32 v[54:55], null, v25, v16, 0
	v_mad_u64_u32 v[26:27], null, v24, v50, 0
	;; [unrolled: 1-line block ×3, first 2 shown]
	s_delay_alu instid0(VALU_DEP_2) | instskip(NEXT) | instid1(VALU_DEP_3)
	v_add_co_u32 v16, vcc_lo, v58, v26
	v_add_co_ci_u32_e32 v26, vcc_lo, 0, v27, vcc_lo
	s_delay_alu instid0(VALU_DEP_2) | instskip(NEXT) | instid1(VALU_DEP_2)
	v_add_co_u32 v16, vcc_lo, v16, v54
	v_add_co_ci_u32_e32 v16, vcc_lo, v26, v55, vcc_lo
	v_add_co_ci_u32_e32 v26, vcc_lo, 0, v57, vcc_lo
	s_delay_alu instid0(VALU_DEP_2) | instskip(NEXT) | instid1(VALU_DEP_2)
	v_add_co_u32 v16, vcc_lo, v16, v56
	v_add_co_ci_u32_e32 v50, vcc_lo, 0, v26, vcc_lo
	s_delay_alu instid0(VALU_DEP_2) | instskip(SKIP_1) | instid1(VALU_DEP_3)
	v_mul_lo_u32 v54, s27, v16
	v_mad_u64_u32 v[26:27], null, s26, v16, 0
	v_mul_lo_u32 v55, s26, v50
	s_delay_alu instid0(VALU_DEP_2) | instskip(NEXT) | instid1(VALU_DEP_2)
	v_sub_co_u32 v26, vcc_lo, v24, v26
	v_add3_u32 v27, v27, v55, v54
	s_delay_alu instid0(VALU_DEP_1) | instskip(NEXT) | instid1(VALU_DEP_1)
	v_sub_nc_u32_e32 v54, v25, v27
	v_subrev_co_ci_u32_e64 v54, s4, s27, v54, vcc_lo
	v_add_co_u32 v55, s4, v16, 2
	s_delay_alu instid0(VALU_DEP_1) | instskip(SKIP_3) | instid1(VALU_DEP_3)
	v_add_co_ci_u32_e64 v56, s4, 0, v50, s4
	v_sub_co_u32 v57, s4, v26, s26
	v_sub_co_ci_u32_e32 v27, vcc_lo, v25, v27, vcc_lo
	v_subrev_co_ci_u32_e64 v54, s4, 0, v54, s4
	v_cmp_le_u32_e32 vcc_lo, s26, v57
	s_delay_alu instid0(VALU_DEP_3) | instskip(SKIP_1) | instid1(VALU_DEP_4)
	v_cmp_eq_u32_e64 s4, s27, v27
	v_cndmask_b32_e64 v57, 0, -1, vcc_lo
	v_cmp_le_u32_e32 vcc_lo, s27, v54
	v_cndmask_b32_e64 v58, 0, -1, vcc_lo
	v_cmp_le_u32_e32 vcc_lo, s26, v26
	;; [unrolled: 2-line block ×3, first 2 shown]
	v_cndmask_b32_e64 v59, 0, -1, vcc_lo
	v_cmp_eq_u32_e32 vcc_lo, s27, v54
	s_delay_alu instid0(VALU_DEP_2) | instskip(SKIP_3) | instid1(VALU_DEP_3)
	v_cndmask_b32_e64 v26, v59, v26, s4
	v_cndmask_b32_e32 v54, v58, v57, vcc_lo
	v_add_co_u32 v57, vcc_lo, v16, 1
	v_add_co_ci_u32_e32 v58, vcc_lo, 0, v50, vcc_lo
	v_cmp_ne_u32_e32 vcc_lo, 0, v54
	s_delay_alu instid0(VALU_DEP_2) | instskip(SKIP_1) | instid1(VALU_DEP_2)
	v_dual_cndmask_b32 v27, v58, v56 :: v_dual_cndmask_b32 v54, v57, v55
	v_cmp_ne_u32_e32 vcc_lo, 0, v26
	v_dual_cndmask_b32 v27, v50, v27 :: v_dual_cndmask_b32 v26, v16, v54
.LBB48_54:                              ;   in Loop: Header=BB48_52 Depth=2
	s_and_not1_saveexec_b32 s4, s40
	s_cbranch_execz .LBB48_56
; %bb.55:                               ;   in Loop: Header=BB48_52 Depth=2
	v_cvt_f32_u32_e32 v16, s26
	s_sub_i32 s40, 0, s26
	s_delay_alu instid0(VALU_DEP_1) | instskip(SKIP_2) | instid1(VALU_DEP_1)
	v_rcp_iflag_f32_e32 v16, v16
	s_waitcnt_depctr 0xfff
	v_mul_f32_e32 v16, 0x4f7ffffe, v16
	v_cvt_u32_f32_e32 v16, v16
	s_delay_alu instid0(VALU_DEP_1) | instskip(NEXT) | instid1(VALU_DEP_1)
	v_mul_lo_u32 v26, s40, v16
	v_mul_hi_u32 v26, v16, v26
	s_delay_alu instid0(VALU_DEP_1) | instskip(NEXT) | instid1(VALU_DEP_1)
	v_add_nc_u32_e32 v16, v16, v26
	v_mul_hi_u32 v16, v24, v16
	s_delay_alu instid0(VALU_DEP_1) | instskip(NEXT) | instid1(VALU_DEP_1)
	v_mul_lo_u32 v26, v16, s26
	v_sub_nc_u32_e32 v26, v24, v26
	s_delay_alu instid0(VALU_DEP_1) | instskip(SKIP_1) | instid1(VALU_DEP_2)
	v_subrev_nc_u32_e32 v50, s26, v26
	v_cmp_le_u32_e32 vcc_lo, s26, v26
	v_dual_cndmask_b32 v26, v26, v50 :: v_dual_add_nc_u32 v27, 1, v16
	s_delay_alu instid0(VALU_DEP_1) | instskip(NEXT) | instid1(VALU_DEP_2)
	v_cndmask_b32_e32 v16, v16, v27, vcc_lo
	v_cmp_le_u32_e32 vcc_lo, s26, v26
	s_delay_alu instid0(VALU_DEP_2) | instskip(NEXT) | instid1(VALU_DEP_1)
	v_add_nc_u32_e32 v27, 1, v16
	v_dual_cndmask_b32 v26, v16, v27 :: v_dual_mov_b32 v27, v15
.LBB48_56:                              ;   in Loop: Header=BB48_52 Depth=2
	s_or_b32 exec_lo, exec_lo, s4
	s_load_b64 s[40:41], s[24:25], 0xc8
	s_delay_alu instid0(VALU_DEP_1) | instskip(NEXT) | instid1(VALU_DEP_2)
	v_mul_lo_u32 v16, v27, s26
	v_mul_lo_u32 v50, v26, s27
	v_mad_u64_u32 v[54:55], null, v26, s26, 0
	s_add_i32 s39, s39, -1
	s_add_u32 s24, s24, -8
	s_addc_u32 s25, s25, -1
	s_cmp_gt_u32 s39, 2
	s_delay_alu instid0(VALU_DEP_1) | instskip(NEXT) | instid1(VALU_DEP_2)
	v_add3_u32 v16, v55, v50, v16
	v_sub_co_u32 v50, vcc_lo, v24, v54
	s_delay_alu instid0(VALU_DEP_2) | instskip(SKIP_1) | instid1(VALU_DEP_2)
	v_sub_co_ci_u32_e32 v16, vcc_lo, v25, v16, vcc_lo
	s_waitcnt lgkmcnt(0)
	v_mul_lo_u32 v54, s41, v50
	s_delay_alu instid0(VALU_DEP_2) | instskip(SKIP_1) | instid1(VALU_DEP_1)
	v_mul_lo_u32 v16, s40, v16
	v_mad_u64_u32 v[24:25], null, s40, v50, v[22:23]
	v_add3_u32 v23, v54, v25, v16
	s_delay_alu instid0(VALU_DEP_2)
	v_mov_b32_e32 v22, v24
	s_cbranch_scc0 .LBB48_58
; %bb.57:                               ;   in Loop: Header=BB48_52 Depth=2
	v_dual_mov_b32 v24, v26 :: v_dual_mov_b32 v25, v27
	s_branch .LBB48_52
.LBB48_58:                              ;   in Loop: Header=BB48_9 Depth=1
	v_mul_lo_u32 v16, s15, v26
	v_mul_lo_u32 v27, s14, v27
	v_mad_u64_u32 v[24:25], null, s14, v26, 0
	v_lshlrev_b64 v[22:23], 1, v[22:23]
	s_delay_alu instid0(VALU_DEP_2) | instskip(NEXT) | instid1(VALU_DEP_1)
	v_add3_u32 v25, v25, v27, v16
	v_lshlrev_b64 v[24:25], 1, v[24:25]
	s_delay_alu instid0(VALU_DEP_1) | instskip(NEXT) | instid1(VALU_DEP_2)
	v_add_co_u32 v16, vcc_lo, s16, v24
	v_add_co_ci_u32_e32 v24, vcc_lo, s17, v25, vcc_lo
	s_delay_alu instid0(VALU_DEP_2) | instskip(NEXT) | instid1(VALU_DEP_2)
	v_add_co_u32 v22, vcc_lo, v16, v22
	v_add_co_ci_u32_e32 v23, vcc_lo, v24, v23, vcc_lo
	global_load_u16 v50, v[22:23], off
	s_or_b32 exec_lo, exec_lo, s38
	s_and_saveexec_b32 s4, s3
	s_cbranch_execz .LBB48_48
.LBB48_59:                              ;   in Loop: Header=BB48_9 Depth=1
	v_dual_mov_b32 v22, 0 :: v_dual_mov_b32 v25, v18
	v_dual_mov_b32 v23, 0 :: v_dual_mov_b32 v24, v17
	;; [unrolled: 1-line block ×3, first 2 shown]
	s_and_not1_b32 vcc_lo, exec_lo, s33
	s_mov_b64 s[24:25], s[22:23]
	s_mov_b32 s38, s37
	s_cbranch_vccnz .LBB48_66
.LBB48_60:                              ;   Parent Loop BB48_9 Depth=1
                                        ; =>  This Inner Loop Header: Depth=2
	s_load_b64 s[26:27], s[24:25], 0x0
                                        ; implicit-def: $vgpr26_vgpr27
	s_mov_b32 s3, exec_lo
	s_waitcnt lgkmcnt(0)
	v_or_b32_e32 v16, s27, v25
	s_delay_alu instid0(VALU_DEP_1)
	v_cmpx_ne_u64_e32 0, v[15:16]
	s_xor_b32 s39, exec_lo, s3
	s_cbranch_execz .LBB48_62
; %bb.61:                               ;   in Loop: Header=BB48_60 Depth=2
	v_cvt_f32_u32_e32 v16, s26
	v_cvt_f32_u32_e32 v26, s27
	s_sub_u32 s3, 0, s26
	s_subb_u32 s40, 0, s27
	s_delay_alu instid0(VALU_DEP_1) | instskip(NEXT) | instid1(VALU_DEP_1)
	v_fmac_f32_e32 v16, 0x4f800000, v26
	v_rcp_f32_e32 v16, v16
	s_waitcnt_depctr 0xfff
	v_mul_f32_e32 v16, 0x5f7ffffc, v16
	s_delay_alu instid0(VALU_DEP_1) | instskip(NEXT) | instid1(VALU_DEP_1)
	v_mul_f32_e32 v26, 0x2f800000, v16
	v_trunc_f32_e32 v26, v26
	s_delay_alu instid0(VALU_DEP_1) | instskip(SKIP_1) | instid1(VALU_DEP_2)
	v_fmac_f32_e32 v16, 0xcf800000, v26
	v_cvt_u32_f32_e32 v26, v26
	v_cvt_u32_f32_e32 v16, v16
	s_delay_alu instid0(VALU_DEP_2) | instskip(NEXT) | instid1(VALU_DEP_2)
	v_mul_lo_u32 v27, s3, v26
	v_mul_hi_u32 v54, s3, v16
	v_mul_lo_u32 v55, s40, v16
	s_delay_alu instid0(VALU_DEP_2) | instskip(SKIP_1) | instid1(VALU_DEP_2)
	v_add_nc_u32_e32 v27, v54, v27
	v_mul_lo_u32 v54, s3, v16
	v_add_nc_u32_e32 v27, v27, v55
	s_delay_alu instid0(VALU_DEP_2) | instskip(NEXT) | instid1(VALU_DEP_2)
	v_mul_hi_u32 v55, v16, v54
	v_mul_lo_u32 v56, v16, v27
	v_mul_hi_u32 v57, v16, v27
	v_mul_hi_u32 v58, v26, v54
	v_mul_lo_u32 v54, v26, v54
	v_mul_hi_u32 v59, v26, v27
	v_mul_lo_u32 v27, v26, v27
	v_add_co_u32 v55, vcc_lo, v55, v56
	v_add_co_ci_u32_e32 v56, vcc_lo, 0, v57, vcc_lo
	s_delay_alu instid0(VALU_DEP_2) | instskip(NEXT) | instid1(VALU_DEP_2)
	v_add_co_u32 v54, vcc_lo, v55, v54
	v_add_co_ci_u32_e32 v54, vcc_lo, v56, v58, vcc_lo
	v_add_co_ci_u32_e32 v55, vcc_lo, 0, v59, vcc_lo
	s_delay_alu instid0(VALU_DEP_2) | instskip(NEXT) | instid1(VALU_DEP_2)
	v_add_co_u32 v27, vcc_lo, v54, v27
	v_add_co_ci_u32_e32 v54, vcc_lo, 0, v55, vcc_lo
	s_delay_alu instid0(VALU_DEP_2) | instskip(NEXT) | instid1(VALU_DEP_2)
	v_add_co_u32 v16, vcc_lo, v16, v27
	v_add_co_ci_u32_e32 v26, vcc_lo, v26, v54, vcc_lo
	s_delay_alu instid0(VALU_DEP_2) | instskip(SKIP_1) | instid1(VALU_DEP_3)
	v_mul_hi_u32 v27, s3, v16
	v_mul_lo_u32 v55, s40, v16
	v_mul_lo_u32 v54, s3, v26
	s_delay_alu instid0(VALU_DEP_1) | instskip(SKIP_1) | instid1(VALU_DEP_2)
	v_add_nc_u32_e32 v27, v27, v54
	v_mul_lo_u32 v54, s3, v16
	v_add_nc_u32_e32 v27, v27, v55
	s_delay_alu instid0(VALU_DEP_2) | instskip(NEXT) | instid1(VALU_DEP_2)
	v_mul_hi_u32 v55, v16, v54
	v_mul_lo_u32 v56, v16, v27
	v_mul_hi_u32 v57, v16, v27
	v_mul_hi_u32 v58, v26, v54
	v_mul_lo_u32 v54, v26, v54
	v_mul_hi_u32 v59, v26, v27
	v_mul_lo_u32 v27, v26, v27
	v_add_co_u32 v55, vcc_lo, v55, v56
	v_add_co_ci_u32_e32 v56, vcc_lo, 0, v57, vcc_lo
	s_delay_alu instid0(VALU_DEP_2) | instskip(NEXT) | instid1(VALU_DEP_2)
	v_add_co_u32 v54, vcc_lo, v55, v54
	v_add_co_ci_u32_e32 v54, vcc_lo, v56, v58, vcc_lo
	v_add_co_ci_u32_e32 v55, vcc_lo, 0, v59, vcc_lo
	s_delay_alu instid0(VALU_DEP_2) | instskip(NEXT) | instid1(VALU_DEP_2)
	v_add_co_u32 v27, vcc_lo, v54, v27
	v_add_co_ci_u32_e32 v54, vcc_lo, 0, v55, vcc_lo
	s_delay_alu instid0(VALU_DEP_2) | instskip(NEXT) | instid1(VALU_DEP_2)
	v_add_co_u32 v16, vcc_lo, v16, v27
	v_add_co_ci_u32_e32 v58, vcc_lo, v26, v54, vcc_lo
	s_delay_alu instid0(VALU_DEP_2) | instskip(SKIP_1) | instid1(VALU_DEP_3)
	v_mul_hi_u32 v59, v24, v16
	v_mad_u64_u32 v[54:55], null, v25, v16, 0
	v_mad_u64_u32 v[26:27], null, v24, v58, 0
	;; [unrolled: 1-line block ×3, first 2 shown]
	s_delay_alu instid0(VALU_DEP_2) | instskip(NEXT) | instid1(VALU_DEP_3)
	v_add_co_u32 v16, vcc_lo, v59, v26
	v_add_co_ci_u32_e32 v26, vcc_lo, 0, v27, vcc_lo
	s_delay_alu instid0(VALU_DEP_2) | instskip(NEXT) | instid1(VALU_DEP_2)
	v_add_co_u32 v16, vcc_lo, v16, v54
	v_add_co_ci_u32_e32 v16, vcc_lo, v26, v55, vcc_lo
	v_add_co_ci_u32_e32 v26, vcc_lo, 0, v57, vcc_lo
	s_delay_alu instid0(VALU_DEP_2) | instskip(NEXT) | instid1(VALU_DEP_2)
	v_add_co_u32 v16, vcc_lo, v16, v56
	v_add_co_ci_u32_e32 v54, vcc_lo, 0, v26, vcc_lo
	s_delay_alu instid0(VALU_DEP_2) | instskip(SKIP_1) | instid1(VALU_DEP_3)
	v_mul_lo_u32 v55, s27, v16
	v_mad_u64_u32 v[26:27], null, s26, v16, 0
	v_mul_lo_u32 v56, s26, v54
	s_delay_alu instid0(VALU_DEP_2) | instskip(NEXT) | instid1(VALU_DEP_2)
	v_sub_co_u32 v26, vcc_lo, v24, v26
	v_add3_u32 v27, v27, v56, v55
	s_delay_alu instid0(VALU_DEP_1) | instskip(NEXT) | instid1(VALU_DEP_1)
	v_sub_nc_u32_e32 v55, v25, v27
	v_subrev_co_ci_u32_e64 v55, s3, s27, v55, vcc_lo
	v_add_co_u32 v56, s3, v16, 2
	s_delay_alu instid0(VALU_DEP_1) | instskip(SKIP_3) | instid1(VALU_DEP_3)
	v_add_co_ci_u32_e64 v57, s3, 0, v54, s3
	v_sub_co_u32 v58, s3, v26, s26
	v_sub_co_ci_u32_e32 v27, vcc_lo, v25, v27, vcc_lo
	v_subrev_co_ci_u32_e64 v55, s3, 0, v55, s3
	v_cmp_le_u32_e32 vcc_lo, s26, v58
	s_delay_alu instid0(VALU_DEP_3) | instskip(SKIP_1) | instid1(VALU_DEP_4)
	v_cmp_eq_u32_e64 s3, s27, v27
	v_cndmask_b32_e64 v58, 0, -1, vcc_lo
	v_cmp_le_u32_e32 vcc_lo, s27, v55
	v_cndmask_b32_e64 v59, 0, -1, vcc_lo
	v_cmp_le_u32_e32 vcc_lo, s26, v26
	;; [unrolled: 2-line block ×3, first 2 shown]
	v_cndmask_b32_e64 v60, 0, -1, vcc_lo
	v_cmp_eq_u32_e32 vcc_lo, s27, v55
	s_delay_alu instid0(VALU_DEP_2) | instskip(SKIP_3) | instid1(VALU_DEP_3)
	v_cndmask_b32_e64 v26, v60, v26, s3
	v_cndmask_b32_e32 v55, v59, v58, vcc_lo
	v_add_co_u32 v58, vcc_lo, v16, 1
	v_add_co_ci_u32_e32 v59, vcc_lo, 0, v54, vcc_lo
	v_cmp_ne_u32_e32 vcc_lo, 0, v55
	s_delay_alu instid0(VALU_DEP_3) | instskip(NEXT) | instid1(VALU_DEP_3)
	v_cndmask_b32_e32 v55, v58, v56, vcc_lo
	v_cndmask_b32_e32 v27, v59, v57, vcc_lo
	v_cmp_ne_u32_e32 vcc_lo, 0, v26
	s_delay_alu instid0(VALU_DEP_3) | instskip(NEXT) | instid1(VALU_DEP_3)
	v_cndmask_b32_e32 v26, v16, v55, vcc_lo
	v_cndmask_b32_e32 v27, v54, v27, vcc_lo
.LBB48_62:                              ;   in Loop: Header=BB48_60 Depth=2
	s_and_not1_saveexec_b32 s3, s39
	s_cbranch_execz .LBB48_64
; %bb.63:                               ;   in Loop: Header=BB48_60 Depth=2
	v_cvt_f32_u32_e32 v16, s26
	s_sub_i32 s39, 0, s26
	s_delay_alu instid0(VALU_DEP_1) | instskip(SKIP_2) | instid1(VALU_DEP_1)
	v_rcp_iflag_f32_e32 v16, v16
	s_waitcnt_depctr 0xfff
	v_mul_f32_e32 v16, 0x4f7ffffe, v16
	v_cvt_u32_f32_e32 v16, v16
	s_delay_alu instid0(VALU_DEP_1) | instskip(NEXT) | instid1(VALU_DEP_1)
	v_mul_lo_u32 v26, s39, v16
	v_mul_hi_u32 v26, v16, v26
	s_delay_alu instid0(VALU_DEP_1) | instskip(NEXT) | instid1(VALU_DEP_1)
	v_add_nc_u32_e32 v16, v16, v26
	v_mul_hi_u32 v16, v24, v16
	s_delay_alu instid0(VALU_DEP_1) | instskip(NEXT) | instid1(VALU_DEP_1)
	v_mul_lo_u32 v26, v16, s26
	v_sub_nc_u32_e32 v26, v24, v26
	s_delay_alu instid0(VALU_DEP_1) | instskip(SKIP_1) | instid1(VALU_DEP_2)
	v_subrev_nc_u32_e32 v54, s26, v26
	v_cmp_le_u32_e32 vcc_lo, s26, v26
	v_dual_cndmask_b32 v26, v26, v54 :: v_dual_add_nc_u32 v27, 1, v16
	s_delay_alu instid0(VALU_DEP_1) | instskip(NEXT) | instid1(VALU_DEP_2)
	v_cndmask_b32_e32 v16, v16, v27, vcc_lo
	v_cmp_le_u32_e32 vcc_lo, s26, v26
	s_delay_alu instid0(VALU_DEP_2) | instskip(NEXT) | instid1(VALU_DEP_1)
	v_add_nc_u32_e32 v27, 1, v16
	v_dual_cndmask_b32 v26, v16, v27 :: v_dual_mov_b32 v27, v15
.LBB48_64:                              ;   in Loop: Header=BB48_60 Depth=2
	s_or_b32 exec_lo, exec_lo, s3
	s_load_b64 s[40:41], s[24:25], 0xc8
	s_delay_alu instid0(VALU_DEP_1) | instskip(NEXT) | instid1(VALU_DEP_2)
	v_mul_lo_u32 v16, v27, s26
	v_mul_lo_u32 v56, v26, s27
	v_mad_u64_u32 v[54:55], null, v26, s26, 0
	s_add_i32 s38, s38, -1
	s_add_u32 s24, s24, -8
	s_addc_u32 s25, s25, -1
	s_cmp_gt_u32 s38, 2
	s_delay_alu instid0(VALU_DEP_1) | instskip(NEXT) | instid1(VALU_DEP_2)
	v_add3_u32 v16, v55, v56, v16
	v_sub_co_u32 v54, vcc_lo, v24, v54
	s_delay_alu instid0(VALU_DEP_2) | instskip(SKIP_1) | instid1(VALU_DEP_2)
	v_sub_co_ci_u32_e32 v16, vcc_lo, v25, v16, vcc_lo
	s_waitcnt lgkmcnt(0)
	v_mul_lo_u32 v55, s41, v54
	s_delay_alu instid0(VALU_DEP_2) | instskip(SKIP_1) | instid1(VALU_DEP_1)
	v_mul_lo_u32 v16, s40, v16
	v_mad_u64_u32 v[24:25], null, s40, v54, v[22:23]
	v_add3_u32 v23, v55, v25, v16
	s_delay_alu instid0(VALU_DEP_2)
	v_mov_b32_e32 v22, v24
	s_cbranch_scc0 .LBB48_66
; %bb.65:                               ;   in Loop: Header=BB48_60 Depth=2
	v_dual_mov_b32 v24, v26 :: v_dual_mov_b32 v25, v27
	s_branch .LBB48_60
.LBB48_66:                              ;   in Loop: Header=BB48_9 Depth=1
	v_cvt_f32_u32_e32 v0, v0
	s_delay_alu instid0(VALU_DEP_2) | instskip(SKIP_2) | instid1(VALU_DEP_4)
	v_mad_u64_u32 v[24:25], null, s18, v26, v[22:23]
	v_mul_lo_u32 v16, s18, v27
	v_mul_lo_u32 v22, s19, v26
	v_fmaak_f32 v0, 0x2f800000, v0, 0x2f800000
	s_delay_alu instid0(VALU_DEP_1) | instskip(NEXT) | instid1(VALU_DEP_3)
	v_cmp_gt_f32_e32 vcc_lo, s30, v0
	v_add3_u32 v25, v22, v25, v16
	s_waitcnt vmcnt(0)
	v_cvt_f32_f16_e32 v16, v53
	v_cndmask_b32_e64 v0, 0, 1.0, vcc_lo
	s_delay_alu instid0(VALU_DEP_3) | instskip(SKIP_1) | instid1(VALU_DEP_3)
	v_lshlrev_b64 v[22:23], 1, v[24:25]
	v_add_co_u32 v24, s3, s10, v24
	v_mul_f32_e32 v0, v0, v16
	v_add_co_ci_u32_e64 v25, s3, s11, v25, s3
	s_delay_alu instid0(VALU_DEP_4) | instskip(NEXT) | instid1(VALU_DEP_1)
	v_add_co_u32 v22, s3, s12, v22
	v_add_co_ci_u32_e64 v23, s3, s13, v23, s3
	s_delay_alu instid0(VALU_DEP_4)
	v_fma_mixlo_f16 v0, v49, v0, 0
	v_cndmask_b32_e64 v16, 0, 1, vcc_lo
	global_store_b16 v[22:23], v0, off
	global_store_b8 v[24:25], v16, off
	s_or_b32 exec_lo, exec_lo, s4
	s_and_saveexec_b32 s3, s2
	s_cbranch_execz .LBB48_49
.LBB48_67:                              ;   in Loop: Header=BB48_9 Depth=1
	v_mov_b32_e32 v22, 0
	v_mov_b32_e32 v23, 0
	s_and_not1_b32 vcc_lo, exec_lo, s33
	s_mov_b64 s[24:25], s[22:23]
	s_mov_b32 s4, s37
	s_cbranch_vccz .LBB48_73
.LBB48_68:                              ;   in Loop: Header=BB48_9 Depth=1
	s_delay_alu instid0(VALU_DEP_1) | instskip(NEXT) | instid1(VALU_DEP_2)
	v_mad_u64_u32 v[24:25], null, s18, v20, v[22:23]
	v_mul_lo_u32 v0, s18, v21
	v_mul_lo_u32 v16, s19, v20
	v_cvt_f32_u32_e32 v1, v1
	s_delay_alu instid0(VALU_DEP_4) | instskip(NEXT) | instid1(VALU_DEP_3)
	v_add_co_u32 v20, s2, s10, v24
	v_add3_u32 v25, v16, v25, v0
	s_waitcnt vmcnt(0)
	v_cvt_f32_f16_e32 v16, v52
	v_fmaak_f32 v1, 0x2f800000, v1, 0x2f800000
	s_delay_alu instid0(VALU_DEP_3) | instskip(NEXT) | instid1(VALU_DEP_2)
	v_add_co_ci_u32_e64 v21, s2, s11, v25, s2
	v_cmp_gt_f32_e32 vcc_lo, s30, v1
	v_lshlrev_b64 v[0:1], 1, v[24:25]
	v_cndmask_b32_e64 v22, 0, 1.0, vcc_lo
	s_delay_alu instid0(VALU_DEP_2) | instskip(NEXT) | instid1(VALU_DEP_1)
	v_add_co_u32 v0, s2, s12, v0
	v_add_co_ci_u32_e64 v1, s2, s13, v1, s2
	s_delay_alu instid0(VALU_DEP_3) | instskip(SKIP_1) | instid1(VALU_DEP_2)
	v_mul_f32_e32 v16, v22, v16
	v_cndmask_b32_e64 v22, 0, 1, vcc_lo
	v_fma_mixlo_f16 v16, v49, v16, 0
	global_store_b16 v[0:1], v16, off
	global_store_b8 v[20:21], v22, off
	s_or_b32 exec_lo, exec_lo, s3
	s_and_saveexec_b32 s4, s1
	s_cbranch_execz .LBB48_50
.LBB48_69:                              ;   in Loop: Header=BB48_9 Depth=1
	v_mov_b32_e32 v0, 0
	v_mov_b32_e32 v1, 0
	s_and_not1_b32 vcc_lo, exec_lo, s33
	s_mov_b64 s[2:3], s[22:23]
	s_mov_b32 s26, s37
	s_cbranch_vccz .LBB48_78
.LBB48_70:                              ;   in Loop: Header=BB48_9 Depth=1
	v_cvt_f32_u32_e32 v2, v2
	s_delay_alu instid0(VALU_DEP_3) | instskip(NEXT) | instid1(VALU_DEP_3)
	v_mad_u64_u32 v[20:21], null, s18, v9, v[0:1]
	v_mul_lo_u32 v0, s18, v10
	v_mul_lo_u32 v1, s19, v9
	s_delay_alu instid0(VALU_DEP_4) | instskip(SKIP_3) | instid1(VALU_DEP_3)
	v_fmaak_f32 v2, 0x2f800000, v2, 0x2f800000
	s_waitcnt vmcnt(0)
	v_cvt_f32_f16_e32 v16, v51
	v_add_co_u32 v9, s1, s10, v20
	v_cmp_gt_f32_e32 vcc_lo, s30, v2
	v_add3_u32 v21, v1, v21, v0
	v_cndmask_b32_e64 v2, 0, 1.0, vcc_lo
	s_delay_alu instid0(VALU_DEP_2) | instskip(SKIP_1) | instid1(VALU_DEP_3)
	v_lshlrev_b64 v[0:1], 1, v[20:21]
	v_add_co_ci_u32_e64 v10, s1, s11, v21, s1
	v_mul_f32_e32 v2, v2, v16
	v_cndmask_b32_e64 v16, 0, 1, vcc_lo
	s_delay_alu instid0(VALU_DEP_4) | instskip(NEXT) | instid1(VALU_DEP_1)
	v_add_co_u32 v0, s1, s12, v0
	v_add_co_ci_u32_e64 v1, s1, s13, v1, s1
	s_delay_alu instid0(VALU_DEP_4)
	v_fma_mixlo_f16 v2, v49, v2, 0
	global_store_b16 v[0:1], v2, off
	global_store_b8 v[9:10], v16, off
	s_or_b32 exec_lo, exec_lo, s4
	s_and_saveexec_b32 s1, s0
	s_cbranch_execz .LBB48_8
.LBB48_71:                              ;   in Loop: Header=BB48_9 Depth=1
	v_mov_b32_e32 v0, 0
	v_mov_b32_e32 v1, 0
	s_and_not1_b32 vcc_lo, exec_lo, s33
	s_mov_b64 s[2:3], s[22:23]
	s_mov_b32 s4, s37
	s_cbranch_vccz .LBB48_83
	s_branch .LBB48_7
.LBB48_72:                              ;   in Loop: Header=BB48_73 Depth=2
	s_or_b32 exec_lo, exec_lo, s2
	s_load_b64 s[38:39], s[24:25], 0xc8
	v_mul_lo_u32 v0, v25, s26
	v_mul_lo_u32 v16, v24, s27
	v_mad_u64_u32 v[26:27], null, v24, s26, 0
	s_add_i32 s4, s4, -1
	s_add_u32 s24, s24, -8
	s_addc_u32 s25, s25, -1
	s_cmp_gt_u32 s4, 2
	s_delay_alu instid0(VALU_DEP_1) | instskip(NEXT) | instid1(VALU_DEP_2)
	v_add3_u32 v0, v27, v16, v0
	v_sub_co_u32 v16, vcc_lo, v20, v26
	s_delay_alu instid0(VALU_DEP_2) | instskip(SKIP_1) | instid1(VALU_DEP_2)
	v_sub_co_ci_u32_e32 v0, vcc_lo, v21, v0, vcc_lo
	s_waitcnt lgkmcnt(0)
	v_mul_lo_u32 v26, s39, v16
	s_delay_alu instid0(VALU_DEP_2) | instskip(SKIP_1) | instid1(VALU_DEP_1)
	v_mul_lo_u32 v0, s38, v0
	v_mad_u64_u32 v[20:21], null, s38, v16, v[22:23]
	v_add3_u32 v23, v26, v21, v0
	s_delay_alu instid0(VALU_DEP_2)
	v_mov_b32_e32 v22, v20
	v_dual_mov_b32 v20, v24 :: v_dual_mov_b32 v21, v25
	s_cbranch_scc0 .LBB48_68
.LBB48_73:                              ;   Parent Loop BB48_9 Depth=1
                                        ; =>  This Inner Loop Header: Depth=2
	s_load_b64 s[26:27], s[24:25], 0x0
                                        ; implicit-def: $vgpr24_vgpr25
	s_mov_b32 s2, exec_lo
	s_waitcnt lgkmcnt(0)
	v_or_b32_e32 v16, s27, v21
	s_delay_alu instid0(VALU_DEP_1)
	v_cmpx_ne_u64_e32 0, v[15:16]
	s_xor_b32 s38, exec_lo, s2
	s_cbranch_execz .LBB48_75
; %bb.74:                               ;   in Loop: Header=BB48_73 Depth=2
	v_cvt_f32_u32_e32 v0, s26
	v_cvt_f32_u32_e32 v16, s27
	s_sub_u32 s2, 0, s26
	s_subb_u32 s39, 0, s27
	s_delay_alu instid0(VALU_DEP_1) | instskip(NEXT) | instid1(VALU_DEP_1)
	v_fmac_f32_e32 v0, 0x4f800000, v16
	v_rcp_f32_e32 v0, v0
	s_waitcnt_depctr 0xfff
	v_mul_f32_e32 v0, 0x5f7ffffc, v0
	s_delay_alu instid0(VALU_DEP_1) | instskip(NEXT) | instid1(VALU_DEP_1)
	v_mul_f32_e32 v16, 0x2f800000, v0
	v_trunc_f32_e32 v16, v16
	s_delay_alu instid0(VALU_DEP_1) | instskip(SKIP_1) | instid1(VALU_DEP_2)
	v_fmac_f32_e32 v0, 0xcf800000, v16
	v_cvt_u32_f32_e32 v16, v16
	v_cvt_u32_f32_e32 v0, v0
	s_delay_alu instid0(VALU_DEP_2) | instskip(NEXT) | instid1(VALU_DEP_2)
	v_mul_lo_u32 v24, s2, v16
	v_mul_hi_u32 v25, s2, v0
	v_mul_lo_u32 v26, s39, v0
	s_delay_alu instid0(VALU_DEP_2) | instskip(SKIP_1) | instid1(VALU_DEP_2)
	v_add_nc_u32_e32 v24, v25, v24
	v_mul_lo_u32 v25, s2, v0
	v_add_nc_u32_e32 v24, v24, v26
	s_delay_alu instid0(VALU_DEP_2) | instskip(NEXT) | instid1(VALU_DEP_2)
	v_mul_hi_u32 v26, v0, v25
	v_mul_lo_u32 v27, v0, v24
	v_mul_hi_u32 v54, v0, v24
	v_mul_hi_u32 v55, v16, v25
	v_mul_lo_u32 v25, v16, v25
	v_mul_hi_u32 v56, v16, v24
	v_mul_lo_u32 v24, v16, v24
	v_add_co_u32 v26, vcc_lo, v26, v27
	v_add_co_ci_u32_e32 v27, vcc_lo, 0, v54, vcc_lo
	s_delay_alu instid0(VALU_DEP_2) | instskip(NEXT) | instid1(VALU_DEP_2)
	v_add_co_u32 v25, vcc_lo, v26, v25
	v_add_co_ci_u32_e32 v25, vcc_lo, v27, v55, vcc_lo
	v_add_co_ci_u32_e32 v26, vcc_lo, 0, v56, vcc_lo
	s_delay_alu instid0(VALU_DEP_2) | instskip(NEXT) | instid1(VALU_DEP_2)
	v_add_co_u32 v24, vcc_lo, v25, v24
	v_add_co_ci_u32_e32 v25, vcc_lo, 0, v26, vcc_lo
	s_delay_alu instid0(VALU_DEP_2) | instskip(NEXT) | instid1(VALU_DEP_2)
	v_add_co_u32 v0, vcc_lo, v0, v24
	v_add_co_ci_u32_e32 v16, vcc_lo, v16, v25, vcc_lo
	s_delay_alu instid0(VALU_DEP_2) | instskip(SKIP_1) | instid1(VALU_DEP_3)
	v_mul_hi_u32 v24, s2, v0
	v_mul_lo_u32 v26, s39, v0
	v_mul_lo_u32 v25, s2, v16
	s_delay_alu instid0(VALU_DEP_1) | instskip(SKIP_1) | instid1(VALU_DEP_2)
	v_add_nc_u32_e32 v24, v24, v25
	v_mul_lo_u32 v25, s2, v0
	v_add_nc_u32_e32 v24, v24, v26
	s_delay_alu instid0(VALU_DEP_2) | instskip(NEXT) | instid1(VALU_DEP_2)
	v_mul_hi_u32 v26, v0, v25
	v_mul_lo_u32 v27, v0, v24
	v_mul_hi_u32 v54, v0, v24
	v_mul_hi_u32 v55, v16, v25
	v_mul_lo_u32 v25, v16, v25
	v_mul_hi_u32 v56, v16, v24
	v_mul_lo_u32 v24, v16, v24
	v_add_co_u32 v26, vcc_lo, v26, v27
	v_add_co_ci_u32_e32 v27, vcc_lo, 0, v54, vcc_lo
	s_delay_alu instid0(VALU_DEP_2) | instskip(NEXT) | instid1(VALU_DEP_2)
	v_add_co_u32 v25, vcc_lo, v26, v25
	v_add_co_ci_u32_e32 v25, vcc_lo, v27, v55, vcc_lo
	v_add_co_ci_u32_e32 v26, vcc_lo, 0, v56, vcc_lo
	s_delay_alu instid0(VALU_DEP_2) | instskip(NEXT) | instid1(VALU_DEP_2)
	v_add_co_u32 v24, vcc_lo, v25, v24
	v_add_co_ci_u32_e32 v25, vcc_lo, 0, v26, vcc_lo
	s_delay_alu instid0(VALU_DEP_2) | instskip(NEXT) | instid1(VALU_DEP_2)
	v_add_co_u32 v0, vcc_lo, v0, v24
	v_add_co_ci_u32_e32 v16, vcc_lo, v16, v25, vcc_lo
	s_delay_alu instid0(VALU_DEP_2) | instskip(SKIP_1) | instid1(VALU_DEP_3)
	v_mul_hi_u32 v56, v20, v0
	v_mad_u64_u32 v[26:27], null, v21, v0, 0
	v_mad_u64_u32 v[24:25], null, v20, v16, 0
	v_mad_u64_u32 v[54:55], null, v21, v16, 0
	s_delay_alu instid0(VALU_DEP_2) | instskip(NEXT) | instid1(VALU_DEP_3)
	v_add_co_u32 v0, vcc_lo, v56, v24
	v_add_co_ci_u32_e32 v16, vcc_lo, 0, v25, vcc_lo
	s_delay_alu instid0(VALU_DEP_2) | instskip(NEXT) | instid1(VALU_DEP_2)
	v_add_co_u32 v0, vcc_lo, v0, v26
	v_add_co_ci_u32_e32 v0, vcc_lo, v16, v27, vcc_lo
	v_add_co_ci_u32_e32 v16, vcc_lo, 0, v55, vcc_lo
	s_delay_alu instid0(VALU_DEP_2) | instskip(NEXT) | instid1(VALU_DEP_2)
	v_add_co_u32 v0, vcc_lo, v0, v54
	v_add_co_ci_u32_e32 v16, vcc_lo, 0, v16, vcc_lo
	s_delay_alu instid0(VALU_DEP_2) | instskip(SKIP_1) | instid1(VALU_DEP_3)
	v_mul_lo_u32 v26, s27, v0
	v_mad_u64_u32 v[24:25], null, s26, v0, 0
	v_mul_lo_u32 v27, s26, v16
	s_delay_alu instid0(VALU_DEP_2) | instskip(NEXT) | instid1(VALU_DEP_2)
	v_sub_co_u32 v24, vcc_lo, v20, v24
	v_add3_u32 v25, v25, v27, v26
	s_delay_alu instid0(VALU_DEP_1) | instskip(NEXT) | instid1(VALU_DEP_1)
	v_sub_nc_u32_e32 v26, v21, v25
	v_subrev_co_ci_u32_e64 v26, s2, s27, v26, vcc_lo
	v_add_co_u32 v27, s2, v0, 2
	s_delay_alu instid0(VALU_DEP_1) | instskip(SKIP_3) | instid1(VALU_DEP_3)
	v_add_co_ci_u32_e64 v54, s2, 0, v16, s2
	v_sub_co_u32 v55, s2, v24, s26
	v_sub_co_ci_u32_e32 v25, vcc_lo, v21, v25, vcc_lo
	v_subrev_co_ci_u32_e64 v26, s2, 0, v26, s2
	v_cmp_le_u32_e32 vcc_lo, s26, v55
	s_delay_alu instid0(VALU_DEP_3) | instskip(SKIP_1) | instid1(VALU_DEP_4)
	v_cmp_eq_u32_e64 s2, s27, v25
	v_cndmask_b32_e64 v55, 0, -1, vcc_lo
	v_cmp_le_u32_e32 vcc_lo, s27, v26
	v_cndmask_b32_e64 v56, 0, -1, vcc_lo
	v_cmp_le_u32_e32 vcc_lo, s26, v24
	;; [unrolled: 2-line block ×3, first 2 shown]
	v_cndmask_b32_e64 v57, 0, -1, vcc_lo
	v_cmp_eq_u32_e32 vcc_lo, s27, v26
	s_delay_alu instid0(VALU_DEP_2) | instskip(SKIP_3) | instid1(VALU_DEP_3)
	v_cndmask_b32_e64 v24, v57, v24, s2
	v_cndmask_b32_e32 v26, v56, v55, vcc_lo
	v_add_co_u32 v55, vcc_lo, v0, 1
	v_add_co_ci_u32_e32 v56, vcc_lo, 0, v16, vcc_lo
	v_cmp_ne_u32_e32 vcc_lo, 0, v26
	s_delay_alu instid0(VALU_DEP_2) | instskip(SKIP_1) | instid1(VALU_DEP_2)
	v_dual_cndmask_b32 v25, v56, v54 :: v_dual_cndmask_b32 v26, v55, v27
	v_cmp_ne_u32_e32 vcc_lo, 0, v24
	v_cndmask_b32_e32 v25, v16, v25, vcc_lo
	s_delay_alu instid0(VALU_DEP_3)
	v_cndmask_b32_e32 v24, v0, v26, vcc_lo
.LBB48_75:                              ;   in Loop: Header=BB48_73 Depth=2
	s_and_not1_saveexec_b32 s2, s38
	s_cbranch_execz .LBB48_72
; %bb.76:                               ;   in Loop: Header=BB48_73 Depth=2
	v_cvt_f32_u32_e32 v0, s26
	s_sub_i32 s38, 0, s26
	s_delay_alu instid0(VALU_DEP_1) | instskip(SKIP_2) | instid1(VALU_DEP_1)
	v_rcp_iflag_f32_e32 v0, v0
	s_waitcnt_depctr 0xfff
	v_mul_f32_e32 v0, 0x4f7ffffe, v0
	v_cvt_u32_f32_e32 v0, v0
	s_delay_alu instid0(VALU_DEP_1) | instskip(NEXT) | instid1(VALU_DEP_1)
	v_mul_lo_u32 v16, s38, v0
	v_mul_hi_u32 v16, v0, v16
	s_delay_alu instid0(VALU_DEP_1) | instskip(NEXT) | instid1(VALU_DEP_1)
	v_add_nc_u32_e32 v0, v0, v16
	v_mul_hi_u32 v0, v20, v0
	s_delay_alu instid0(VALU_DEP_1) | instskip(SKIP_1) | instid1(VALU_DEP_2)
	v_mul_lo_u32 v16, v0, s26
	v_add_nc_u32_e32 v24, 1, v0
	v_sub_nc_u32_e32 v16, v20, v16
	s_delay_alu instid0(VALU_DEP_1) | instskip(SKIP_1) | instid1(VALU_DEP_2)
	v_subrev_nc_u32_e32 v25, s26, v16
	v_cmp_le_u32_e32 vcc_lo, s26, v16
	v_dual_cndmask_b32 v16, v16, v25 :: v_dual_mov_b32 v25, v15
	v_cndmask_b32_e32 v0, v0, v24, vcc_lo
	s_delay_alu instid0(VALU_DEP_2) | instskip(NEXT) | instid1(VALU_DEP_2)
	v_cmp_le_u32_e32 vcc_lo, s26, v16
	v_add_nc_u32_e32 v24, 1, v0
	s_delay_alu instid0(VALU_DEP_1)
	v_cndmask_b32_e32 v24, v0, v24, vcc_lo
	s_branch .LBB48_72
.LBB48_77:                              ;   in Loop: Header=BB48_78 Depth=2
	s_or_b32 exec_lo, exec_lo, s1
	s_load_b64 s[38:39], s[2:3], 0xc8
	s_delay_alu instid0(VALU_DEP_1)
	v_mul_lo_u32 v16, v21, s24
	v_mul_lo_u32 v24, v20, s25
	v_mad_u64_u32 v[22:23], null, v20, s24, 0
	s_add_i32 s26, s26, -1
	s_add_u32 s2, s2, -8
	s_addc_u32 s3, s3, -1
	s_cmp_gt_u32 s26, 2
	s_delay_alu instid0(VALU_DEP_1) | instskip(NEXT) | instid1(VALU_DEP_2)
	v_add3_u32 v16, v23, v24, v16
	v_sub_co_u32 v22, vcc_lo, v9, v22
	s_delay_alu instid0(VALU_DEP_2) | instskip(SKIP_1) | instid1(VALU_DEP_2)
	v_sub_co_ci_u32_e32 v9, vcc_lo, v10, v16, vcc_lo
	s_waitcnt lgkmcnt(0)
	v_mul_lo_u32 v23, s39, v22
	s_delay_alu instid0(VALU_DEP_2) | instskip(SKIP_1) | instid1(VALU_DEP_1)
	v_mul_lo_u32 v16, s38, v9
	v_mad_u64_u32 v[9:10], null, s38, v22, v[0:1]
	v_add3_u32 v1, v23, v10, v16
	s_delay_alu instid0(VALU_DEP_2)
	v_dual_mov_b32 v0, v9 :: v_dual_mov_b32 v9, v20
	v_mov_b32_e32 v10, v21
	s_cbranch_scc0 .LBB48_70
.LBB48_78:                              ;   Parent Loop BB48_9 Depth=1
                                        ; =>  This Inner Loop Header: Depth=2
	s_load_b64 s[24:25], s[2:3], 0x0
                                        ; implicit-def: $vgpr20_vgpr21
	s_mov_b32 s1, exec_lo
	s_waitcnt lgkmcnt(0)
	v_or_b32_e32 v16, s25, v10
	s_delay_alu instid0(VALU_DEP_1)
	v_cmpx_ne_u64_e32 0, v[15:16]
	s_xor_b32 s27, exec_lo, s1
	s_cbranch_execz .LBB48_80
; %bb.79:                               ;   in Loop: Header=BB48_78 Depth=2
	v_cvt_f32_u32_e32 v16, s24
	v_cvt_f32_u32_e32 v20, s25
	s_sub_u32 s1, 0, s24
	s_subb_u32 s38, 0, s25
	s_delay_alu instid0(VALU_DEP_1) | instskip(NEXT) | instid1(VALU_DEP_1)
	v_fmac_f32_e32 v16, 0x4f800000, v20
	v_rcp_f32_e32 v16, v16
	s_waitcnt_depctr 0xfff
	v_mul_f32_e32 v16, 0x5f7ffffc, v16
	s_delay_alu instid0(VALU_DEP_1) | instskip(NEXT) | instid1(VALU_DEP_1)
	v_mul_f32_e32 v20, 0x2f800000, v16
	v_trunc_f32_e32 v20, v20
	s_delay_alu instid0(VALU_DEP_1) | instskip(SKIP_1) | instid1(VALU_DEP_2)
	v_fmac_f32_e32 v16, 0xcf800000, v20
	v_cvt_u32_f32_e32 v20, v20
	v_cvt_u32_f32_e32 v16, v16
	s_delay_alu instid0(VALU_DEP_2) | instskip(NEXT) | instid1(VALU_DEP_2)
	v_mul_lo_u32 v21, s1, v20
	v_mul_hi_u32 v22, s1, v16
	v_mul_lo_u32 v23, s38, v16
	s_delay_alu instid0(VALU_DEP_2) | instskip(SKIP_1) | instid1(VALU_DEP_2)
	v_add_nc_u32_e32 v21, v22, v21
	v_mul_lo_u32 v22, s1, v16
	v_add_nc_u32_e32 v21, v21, v23
	s_delay_alu instid0(VALU_DEP_2) | instskip(NEXT) | instid1(VALU_DEP_2)
	v_mul_hi_u32 v23, v16, v22
	v_mul_lo_u32 v24, v16, v21
	v_mul_hi_u32 v25, v16, v21
	v_mul_hi_u32 v26, v20, v22
	v_mul_lo_u32 v22, v20, v22
	v_mul_hi_u32 v27, v20, v21
	v_mul_lo_u32 v21, v20, v21
	v_add_co_u32 v23, vcc_lo, v23, v24
	v_add_co_ci_u32_e32 v24, vcc_lo, 0, v25, vcc_lo
	s_delay_alu instid0(VALU_DEP_2) | instskip(NEXT) | instid1(VALU_DEP_2)
	v_add_co_u32 v22, vcc_lo, v23, v22
	v_add_co_ci_u32_e32 v22, vcc_lo, v24, v26, vcc_lo
	v_add_co_ci_u32_e32 v23, vcc_lo, 0, v27, vcc_lo
	s_delay_alu instid0(VALU_DEP_2) | instskip(NEXT) | instid1(VALU_DEP_2)
	v_add_co_u32 v21, vcc_lo, v22, v21
	v_add_co_ci_u32_e32 v22, vcc_lo, 0, v23, vcc_lo
	s_delay_alu instid0(VALU_DEP_2) | instskip(NEXT) | instid1(VALU_DEP_2)
	v_add_co_u32 v16, vcc_lo, v16, v21
	v_add_co_ci_u32_e32 v20, vcc_lo, v20, v22, vcc_lo
	s_delay_alu instid0(VALU_DEP_2) | instskip(SKIP_1) | instid1(VALU_DEP_3)
	v_mul_hi_u32 v21, s1, v16
	v_mul_lo_u32 v23, s38, v16
	v_mul_lo_u32 v22, s1, v20
	s_delay_alu instid0(VALU_DEP_1) | instskip(SKIP_1) | instid1(VALU_DEP_2)
	v_add_nc_u32_e32 v21, v21, v22
	v_mul_lo_u32 v22, s1, v16
	v_add_nc_u32_e32 v21, v21, v23
	s_delay_alu instid0(VALU_DEP_2) | instskip(NEXT) | instid1(VALU_DEP_2)
	v_mul_hi_u32 v23, v16, v22
	v_mul_lo_u32 v24, v16, v21
	v_mul_hi_u32 v25, v16, v21
	v_mul_hi_u32 v26, v20, v22
	v_mul_lo_u32 v22, v20, v22
	v_mul_hi_u32 v27, v20, v21
	v_mul_lo_u32 v21, v20, v21
	v_add_co_u32 v23, vcc_lo, v23, v24
	v_add_co_ci_u32_e32 v24, vcc_lo, 0, v25, vcc_lo
	s_delay_alu instid0(VALU_DEP_2) | instskip(NEXT) | instid1(VALU_DEP_2)
	v_add_co_u32 v22, vcc_lo, v23, v22
	v_add_co_ci_u32_e32 v22, vcc_lo, v24, v26, vcc_lo
	v_add_co_ci_u32_e32 v23, vcc_lo, 0, v27, vcc_lo
	s_delay_alu instid0(VALU_DEP_2) | instskip(NEXT) | instid1(VALU_DEP_2)
	v_add_co_u32 v21, vcc_lo, v22, v21
	v_add_co_ci_u32_e32 v22, vcc_lo, 0, v23, vcc_lo
	s_delay_alu instid0(VALU_DEP_2) | instskip(NEXT) | instid1(VALU_DEP_2)
	v_add_co_u32 v16, vcc_lo, v16, v21
	v_add_co_ci_u32_e32 v26, vcc_lo, v20, v22, vcc_lo
	s_delay_alu instid0(VALU_DEP_2) | instskip(SKIP_1) | instid1(VALU_DEP_3)
	v_mul_hi_u32 v27, v9, v16
	v_mad_u64_u32 v[22:23], null, v10, v16, 0
	v_mad_u64_u32 v[20:21], null, v9, v26, 0
	;; [unrolled: 1-line block ×3, first 2 shown]
	s_delay_alu instid0(VALU_DEP_2) | instskip(NEXT) | instid1(VALU_DEP_3)
	v_add_co_u32 v16, vcc_lo, v27, v20
	v_add_co_ci_u32_e32 v20, vcc_lo, 0, v21, vcc_lo
	s_delay_alu instid0(VALU_DEP_2) | instskip(NEXT) | instid1(VALU_DEP_2)
	v_add_co_u32 v16, vcc_lo, v16, v22
	v_add_co_ci_u32_e32 v16, vcc_lo, v20, v23, vcc_lo
	v_add_co_ci_u32_e32 v20, vcc_lo, 0, v25, vcc_lo
	s_delay_alu instid0(VALU_DEP_2) | instskip(NEXT) | instid1(VALU_DEP_2)
	v_add_co_u32 v16, vcc_lo, v16, v24
	v_add_co_ci_u32_e32 v22, vcc_lo, 0, v20, vcc_lo
	s_delay_alu instid0(VALU_DEP_2) | instskip(SKIP_1) | instid1(VALU_DEP_3)
	v_mul_lo_u32 v23, s25, v16
	v_mad_u64_u32 v[20:21], null, s24, v16, 0
	v_mul_lo_u32 v24, s24, v22
	s_delay_alu instid0(VALU_DEP_2) | instskip(NEXT) | instid1(VALU_DEP_2)
	v_sub_co_u32 v20, vcc_lo, v9, v20
	v_add3_u32 v21, v21, v24, v23
	s_delay_alu instid0(VALU_DEP_1) | instskip(NEXT) | instid1(VALU_DEP_1)
	v_sub_nc_u32_e32 v23, v10, v21
	v_subrev_co_ci_u32_e64 v23, s1, s25, v23, vcc_lo
	v_add_co_u32 v24, s1, v16, 2
	s_delay_alu instid0(VALU_DEP_1) | instskip(SKIP_3) | instid1(VALU_DEP_3)
	v_add_co_ci_u32_e64 v25, s1, 0, v22, s1
	v_sub_co_u32 v26, s1, v20, s24
	v_sub_co_ci_u32_e32 v21, vcc_lo, v10, v21, vcc_lo
	v_subrev_co_ci_u32_e64 v23, s1, 0, v23, s1
	v_cmp_le_u32_e32 vcc_lo, s24, v26
	s_delay_alu instid0(VALU_DEP_3) | instskip(SKIP_1) | instid1(VALU_DEP_4)
	v_cmp_eq_u32_e64 s1, s25, v21
	v_cndmask_b32_e64 v26, 0, -1, vcc_lo
	v_cmp_le_u32_e32 vcc_lo, s25, v23
	v_cndmask_b32_e64 v27, 0, -1, vcc_lo
	v_cmp_le_u32_e32 vcc_lo, s24, v20
	;; [unrolled: 2-line block ×3, first 2 shown]
	v_cndmask_b32_e64 v54, 0, -1, vcc_lo
	v_cmp_eq_u32_e32 vcc_lo, s25, v23
	s_delay_alu instid0(VALU_DEP_2) | instskip(SKIP_3) | instid1(VALU_DEP_3)
	v_cndmask_b32_e64 v20, v54, v20, s1
	v_cndmask_b32_e32 v23, v27, v26, vcc_lo
	v_add_co_u32 v26, vcc_lo, v16, 1
	v_add_co_ci_u32_e32 v27, vcc_lo, 0, v22, vcc_lo
	v_cmp_ne_u32_e32 vcc_lo, 0, v23
	s_delay_alu instid0(VALU_DEP_3) | instskip(NEXT) | instid1(VALU_DEP_3)
	v_cndmask_b32_e32 v23, v26, v24, vcc_lo
	v_cndmask_b32_e32 v21, v27, v25, vcc_lo
	v_cmp_ne_u32_e32 vcc_lo, 0, v20
	s_delay_alu instid0(VALU_DEP_2)
	v_dual_cndmask_b32 v20, v16, v23 :: v_dual_cndmask_b32 v21, v22, v21
.LBB48_80:                              ;   in Loop: Header=BB48_78 Depth=2
	s_and_not1_saveexec_b32 s1, s27
	s_cbranch_execz .LBB48_77
; %bb.81:                               ;   in Loop: Header=BB48_78 Depth=2
	v_cvt_f32_u32_e32 v16, s24
	s_sub_i32 s27, 0, s24
	s_delay_alu instid0(VALU_DEP_1) | instskip(SKIP_2) | instid1(VALU_DEP_1)
	v_rcp_iflag_f32_e32 v16, v16
	s_waitcnt_depctr 0xfff
	v_mul_f32_e32 v16, 0x4f7ffffe, v16
	v_cvt_u32_f32_e32 v16, v16
	s_delay_alu instid0(VALU_DEP_1) | instskip(NEXT) | instid1(VALU_DEP_1)
	v_mul_lo_u32 v20, s27, v16
	v_mul_hi_u32 v20, v16, v20
	s_delay_alu instid0(VALU_DEP_1) | instskip(NEXT) | instid1(VALU_DEP_1)
	v_add_nc_u32_e32 v16, v16, v20
	v_mul_hi_u32 v16, v9, v16
	s_delay_alu instid0(VALU_DEP_1) | instskip(NEXT) | instid1(VALU_DEP_1)
	v_mul_lo_u32 v20, v16, s24
	v_sub_nc_u32_e32 v20, v9, v20
	s_delay_alu instid0(VALU_DEP_1) | instskip(SKIP_1) | instid1(VALU_DEP_2)
	v_subrev_nc_u32_e32 v22, s24, v20
	v_cmp_le_u32_e32 vcc_lo, s24, v20
	v_dual_cndmask_b32 v20, v20, v22 :: v_dual_add_nc_u32 v21, 1, v16
	s_delay_alu instid0(VALU_DEP_1) | instskip(NEXT) | instid1(VALU_DEP_2)
	v_cndmask_b32_e32 v16, v16, v21, vcc_lo
	v_cmp_le_u32_e32 vcc_lo, s24, v20
	s_delay_alu instid0(VALU_DEP_2) | instskip(NEXT) | instid1(VALU_DEP_1)
	v_add_nc_u32_e32 v21, 1, v16
	v_dual_cndmask_b32 v20, v16, v21 :: v_dual_mov_b32 v21, v15
	s_branch .LBB48_77
.LBB48_82:                              ;   in Loop: Header=BB48_83 Depth=2
	s_or_b32 exec_lo, exec_lo, s0
	s_load_b64 s[26:27], s[2:3], 0xc8
	s_delay_alu instid0(VALU_DEP_1)
	v_mul_lo_u32 v2, v10, s24
	v_mul_lo_u32 v16, v9, s25
	v_mad_u64_u32 v[20:21], null, v9, s24, 0
	s_add_i32 s4, s4, -1
	s_add_u32 s2, s2, -8
	s_addc_u32 s3, s3, -1
	s_cmp_gt_u32 s4, 2
	s_delay_alu instid0(VALU_DEP_1) | instskip(NEXT) | instid1(VALU_DEP_2)
	v_add3_u32 v2, v21, v16, v2
	v_sub_co_u32 v16, vcc_lo, v7, v20
	s_delay_alu instid0(VALU_DEP_2) | instskip(SKIP_1) | instid1(VALU_DEP_2)
	v_sub_co_ci_u32_e32 v2, vcc_lo, v8, v2, vcc_lo
	s_waitcnt lgkmcnt(0)
	v_mul_lo_u32 v20, s27, v16
	s_delay_alu instid0(VALU_DEP_2) | instskip(SKIP_1) | instid1(VALU_DEP_1)
	v_mul_lo_u32 v2, s26, v2
	v_mad_u64_u32 v[7:8], null, s26, v16, v[0:1]
	v_add3_u32 v1, v20, v8, v2
	s_delay_alu instid0(VALU_DEP_2)
	v_dual_mov_b32 v0, v7 :: v_dual_mov_b32 v7, v9
	v_mov_b32_e32 v8, v10
	s_cbranch_scc0 .LBB48_7
.LBB48_83:                              ;   Parent Loop BB48_9 Depth=1
                                        ; =>  This Inner Loop Header: Depth=2
	s_load_b64 s[24:25], s[2:3], 0x0
                                        ; implicit-def: $vgpr9_vgpr10
	s_mov_b32 s0, exec_lo
	s_waitcnt lgkmcnt(0)
	v_or_b32_e32 v16, s25, v8
	s_delay_alu instid0(VALU_DEP_1)
	v_cmpx_ne_u64_e32 0, v[15:16]
	s_xor_b32 s26, exec_lo, s0
	s_cbranch_execz .LBB48_85
; %bb.84:                               ;   in Loop: Header=BB48_83 Depth=2
	v_cvt_f32_u32_e32 v2, s24
	v_cvt_f32_u32_e32 v9, s25
	s_sub_u32 s0, 0, s24
	s_subb_u32 s27, 0, s25
	s_delay_alu instid0(VALU_DEP_1) | instskip(NEXT) | instid1(VALU_DEP_1)
	v_fmac_f32_e32 v2, 0x4f800000, v9
	v_rcp_f32_e32 v2, v2
	s_waitcnt_depctr 0xfff
	v_mul_f32_e32 v2, 0x5f7ffffc, v2
	s_delay_alu instid0(VALU_DEP_1) | instskip(NEXT) | instid1(VALU_DEP_1)
	v_mul_f32_e32 v9, 0x2f800000, v2
	v_trunc_f32_e32 v9, v9
	s_delay_alu instid0(VALU_DEP_1) | instskip(SKIP_1) | instid1(VALU_DEP_2)
	v_fmac_f32_e32 v2, 0xcf800000, v9
	v_cvt_u32_f32_e32 v9, v9
	v_cvt_u32_f32_e32 v2, v2
	s_delay_alu instid0(VALU_DEP_2) | instskip(NEXT) | instid1(VALU_DEP_2)
	v_mul_lo_u32 v10, s0, v9
	v_mul_hi_u32 v16, s0, v2
	v_mul_lo_u32 v20, s27, v2
	s_delay_alu instid0(VALU_DEP_2) | instskip(SKIP_1) | instid1(VALU_DEP_2)
	v_add_nc_u32_e32 v10, v16, v10
	v_mul_lo_u32 v16, s0, v2
	v_add_nc_u32_e32 v10, v10, v20
	s_delay_alu instid0(VALU_DEP_2) | instskip(NEXT) | instid1(VALU_DEP_2)
	v_mul_hi_u32 v20, v2, v16
	v_mul_lo_u32 v21, v2, v10
	v_mul_hi_u32 v22, v2, v10
	v_mul_hi_u32 v23, v9, v16
	v_mul_lo_u32 v16, v9, v16
	v_mul_hi_u32 v24, v9, v10
	v_mul_lo_u32 v10, v9, v10
	v_add_co_u32 v20, vcc_lo, v20, v21
	v_add_co_ci_u32_e32 v21, vcc_lo, 0, v22, vcc_lo
	s_delay_alu instid0(VALU_DEP_2) | instskip(NEXT) | instid1(VALU_DEP_2)
	v_add_co_u32 v16, vcc_lo, v20, v16
	v_add_co_ci_u32_e32 v16, vcc_lo, v21, v23, vcc_lo
	v_add_co_ci_u32_e32 v20, vcc_lo, 0, v24, vcc_lo
	s_delay_alu instid0(VALU_DEP_2) | instskip(NEXT) | instid1(VALU_DEP_2)
	v_add_co_u32 v10, vcc_lo, v16, v10
	v_add_co_ci_u32_e32 v16, vcc_lo, 0, v20, vcc_lo
	s_delay_alu instid0(VALU_DEP_2) | instskip(NEXT) | instid1(VALU_DEP_2)
	v_add_co_u32 v2, vcc_lo, v2, v10
	v_add_co_ci_u32_e32 v9, vcc_lo, v9, v16, vcc_lo
	s_delay_alu instid0(VALU_DEP_2) | instskip(SKIP_1) | instid1(VALU_DEP_3)
	v_mul_hi_u32 v10, s0, v2
	v_mul_lo_u32 v20, s27, v2
	v_mul_lo_u32 v16, s0, v9
	s_delay_alu instid0(VALU_DEP_1) | instskip(SKIP_1) | instid1(VALU_DEP_2)
	v_add_nc_u32_e32 v10, v10, v16
	v_mul_lo_u32 v16, s0, v2
	v_add_nc_u32_e32 v10, v10, v20
	s_delay_alu instid0(VALU_DEP_2) | instskip(NEXT) | instid1(VALU_DEP_2)
	v_mul_hi_u32 v20, v2, v16
	v_mul_lo_u32 v21, v2, v10
	v_mul_hi_u32 v22, v2, v10
	v_mul_hi_u32 v23, v9, v16
	v_mul_lo_u32 v16, v9, v16
	v_mul_hi_u32 v24, v9, v10
	v_mul_lo_u32 v10, v9, v10
	v_add_co_u32 v20, vcc_lo, v20, v21
	v_add_co_ci_u32_e32 v21, vcc_lo, 0, v22, vcc_lo
	s_delay_alu instid0(VALU_DEP_2) | instskip(NEXT) | instid1(VALU_DEP_2)
	v_add_co_u32 v16, vcc_lo, v20, v16
	v_add_co_ci_u32_e32 v16, vcc_lo, v21, v23, vcc_lo
	v_add_co_ci_u32_e32 v20, vcc_lo, 0, v24, vcc_lo
	s_delay_alu instid0(VALU_DEP_2) | instskip(NEXT) | instid1(VALU_DEP_2)
	v_add_co_u32 v10, vcc_lo, v16, v10
	v_add_co_ci_u32_e32 v16, vcc_lo, 0, v20, vcc_lo
	s_delay_alu instid0(VALU_DEP_2) | instskip(NEXT) | instid1(VALU_DEP_2)
	v_add_co_u32 v2, vcc_lo, v2, v10
	v_add_co_ci_u32_e32 v16, vcc_lo, v9, v16, vcc_lo
	s_delay_alu instid0(VALU_DEP_2) | instskip(SKIP_1) | instid1(VALU_DEP_3)
	v_mul_hi_u32 v24, v7, v2
	v_mad_u64_u32 v[20:21], null, v8, v2, 0
	v_mad_u64_u32 v[9:10], null, v7, v16, 0
	;; [unrolled: 1-line block ×3, first 2 shown]
	s_delay_alu instid0(VALU_DEP_2) | instskip(NEXT) | instid1(VALU_DEP_3)
	v_add_co_u32 v2, vcc_lo, v24, v9
	v_add_co_ci_u32_e32 v9, vcc_lo, 0, v10, vcc_lo
	s_delay_alu instid0(VALU_DEP_2) | instskip(NEXT) | instid1(VALU_DEP_2)
	v_add_co_u32 v2, vcc_lo, v2, v20
	v_add_co_ci_u32_e32 v2, vcc_lo, v9, v21, vcc_lo
	v_add_co_ci_u32_e32 v9, vcc_lo, 0, v23, vcc_lo
	s_delay_alu instid0(VALU_DEP_2) | instskip(NEXT) | instid1(VALU_DEP_2)
	v_add_co_u32 v2, vcc_lo, v2, v22
	v_add_co_ci_u32_e32 v16, vcc_lo, 0, v9, vcc_lo
	s_delay_alu instid0(VALU_DEP_2) | instskip(SKIP_1) | instid1(VALU_DEP_3)
	v_mul_lo_u32 v20, s25, v2
	v_mad_u64_u32 v[9:10], null, s24, v2, 0
	v_mul_lo_u32 v21, s24, v16
	s_delay_alu instid0(VALU_DEP_2) | instskip(NEXT) | instid1(VALU_DEP_2)
	v_sub_co_u32 v9, vcc_lo, v7, v9
	v_add3_u32 v10, v10, v21, v20
	s_delay_alu instid0(VALU_DEP_1) | instskip(NEXT) | instid1(VALU_DEP_1)
	v_sub_nc_u32_e32 v20, v8, v10
	v_subrev_co_ci_u32_e64 v20, s0, s25, v20, vcc_lo
	v_add_co_u32 v21, s0, v2, 2
	s_delay_alu instid0(VALU_DEP_1) | instskip(SKIP_3) | instid1(VALU_DEP_3)
	v_add_co_ci_u32_e64 v22, s0, 0, v16, s0
	v_sub_co_u32 v23, s0, v9, s24
	v_sub_co_ci_u32_e32 v10, vcc_lo, v8, v10, vcc_lo
	v_subrev_co_ci_u32_e64 v20, s0, 0, v20, s0
	v_cmp_le_u32_e32 vcc_lo, s24, v23
	s_delay_alu instid0(VALU_DEP_3) | instskip(SKIP_1) | instid1(VALU_DEP_4)
	v_cmp_eq_u32_e64 s0, s25, v10
	v_cndmask_b32_e64 v23, 0, -1, vcc_lo
	v_cmp_le_u32_e32 vcc_lo, s25, v20
	v_cndmask_b32_e64 v24, 0, -1, vcc_lo
	v_cmp_le_u32_e32 vcc_lo, s24, v9
	;; [unrolled: 2-line block ×3, first 2 shown]
	v_cndmask_b32_e64 v25, 0, -1, vcc_lo
	v_cmp_eq_u32_e32 vcc_lo, s25, v20
	s_delay_alu instid0(VALU_DEP_2) | instskip(SKIP_3) | instid1(VALU_DEP_3)
	v_cndmask_b32_e64 v9, v25, v9, s0
	v_cndmask_b32_e32 v20, v24, v23, vcc_lo
	v_add_co_u32 v23, vcc_lo, v2, 1
	v_add_co_ci_u32_e32 v24, vcc_lo, 0, v16, vcc_lo
	v_cmp_ne_u32_e32 vcc_lo, 0, v20
	s_delay_alu instid0(VALU_DEP_2) | instskip(NEXT) | instid1(VALU_DEP_4)
	v_cndmask_b32_e32 v10, v24, v22, vcc_lo
	v_cndmask_b32_e32 v20, v23, v21, vcc_lo
	v_cmp_ne_u32_e32 vcc_lo, 0, v9
	s_delay_alu instid0(VALU_DEP_2)
	v_dual_cndmask_b32 v9, v2, v20 :: v_dual_cndmask_b32 v10, v16, v10
.LBB48_85:                              ;   in Loop: Header=BB48_83 Depth=2
	s_and_not1_saveexec_b32 s0, s26
	s_cbranch_execz .LBB48_82
; %bb.86:                               ;   in Loop: Header=BB48_83 Depth=2
	v_cvt_f32_u32_e32 v2, s24
	s_sub_i32 s26, 0, s24
	s_delay_alu instid0(VALU_DEP_1) | instskip(SKIP_2) | instid1(VALU_DEP_1)
	v_rcp_iflag_f32_e32 v2, v2
	s_waitcnt_depctr 0xfff
	v_mul_f32_e32 v2, 0x4f7ffffe, v2
	v_cvt_u32_f32_e32 v2, v2
	s_delay_alu instid0(VALU_DEP_1) | instskip(NEXT) | instid1(VALU_DEP_1)
	v_mul_lo_u32 v9, s26, v2
	v_mul_hi_u32 v9, v2, v9
	s_delay_alu instid0(VALU_DEP_1) | instskip(NEXT) | instid1(VALU_DEP_1)
	v_add_nc_u32_e32 v2, v2, v9
	v_mul_hi_u32 v2, v7, v2
	s_delay_alu instid0(VALU_DEP_1) | instskip(SKIP_1) | instid1(VALU_DEP_2)
	v_mul_lo_u32 v9, v2, s24
	v_add_nc_u32_e32 v10, 1, v2
	v_sub_nc_u32_e32 v9, v7, v9
	s_delay_alu instid0(VALU_DEP_1) | instskip(SKIP_1) | instid1(VALU_DEP_2)
	v_subrev_nc_u32_e32 v16, s24, v9
	v_cmp_le_u32_e32 vcc_lo, s24, v9
	v_dual_cndmask_b32 v9, v9, v16 :: v_dual_cndmask_b32 v2, v2, v10
	s_delay_alu instid0(VALU_DEP_1) | instskip(NEXT) | instid1(VALU_DEP_2)
	v_cmp_le_u32_e32 vcc_lo, s24, v9
	v_add_nc_u32_e32 v10, 1, v2
	s_delay_alu instid0(VALU_DEP_1)
	v_dual_cndmask_b32 v9, v2, v10 :: v_dual_mov_b32 v10, v15
	s_branch .LBB48_82
.LBB48_87:
	s_endpgm
.LBB48_88:
                                        ; implicit-def: $sgpr2_sgpr3
	s_branch .LBB48_4
	.section	.rodata,"a",@progbits
	.p2align	6, 0x0
	.amdhsa_kernel _ZN2at6native12_GLOBAL__N_120fused_dropout_kernelIN3c104HalfEfmLin1ELin1EbEEvNS_4cuda6detail10TensorInfoIKT_T1_EENS7_IS8_SA_EENS7_IT4_SA_EESA_T0_NS_15PhiloxCudaStateE
		.amdhsa_group_segment_fixed_size 0
		.amdhsa_private_segment_fixed_size 0
		.amdhsa_kernarg_size 1552
		.amdhsa_user_sgpr_count 15
		.amdhsa_user_sgpr_dispatch_ptr 0
		.amdhsa_user_sgpr_queue_ptr 0
		.amdhsa_user_sgpr_kernarg_segment_ptr 1
		.amdhsa_user_sgpr_dispatch_id 0
		.amdhsa_user_sgpr_private_segment_size 0
		.amdhsa_wavefront_size32 1
		.amdhsa_uses_dynamic_stack 0
		.amdhsa_enable_private_segment 0
		.amdhsa_system_sgpr_workgroup_id_x 1
		.amdhsa_system_sgpr_workgroup_id_y 0
		.amdhsa_system_sgpr_workgroup_id_z 0
		.amdhsa_system_sgpr_workgroup_info 0
		.amdhsa_system_vgpr_workitem_id 0
		.amdhsa_next_free_vgpr 61
		.amdhsa_next_free_sgpr 42
		.amdhsa_reserve_vcc 1
		.amdhsa_float_round_mode_32 0
		.amdhsa_float_round_mode_16_64 0
		.amdhsa_float_denorm_mode_32 3
		.amdhsa_float_denorm_mode_16_64 3
		.amdhsa_dx10_clamp 1
		.amdhsa_ieee_mode 1
		.amdhsa_fp16_overflow 0
		.amdhsa_workgroup_processor_mode 1
		.amdhsa_memory_ordered 1
		.amdhsa_forward_progress 0
		.amdhsa_shared_vgpr_count 0
		.amdhsa_exception_fp_ieee_invalid_op 0
		.amdhsa_exception_fp_denorm_src 0
		.amdhsa_exception_fp_ieee_div_zero 0
		.amdhsa_exception_fp_ieee_overflow 0
		.amdhsa_exception_fp_ieee_underflow 0
		.amdhsa_exception_fp_ieee_inexact 0
		.amdhsa_exception_int_div_zero 0
	.end_amdhsa_kernel
	.section	.text._ZN2at6native12_GLOBAL__N_120fused_dropout_kernelIN3c104HalfEfmLin1ELin1EbEEvNS_4cuda6detail10TensorInfoIKT_T1_EENS7_IS8_SA_EENS7_IT4_SA_EESA_T0_NS_15PhiloxCudaStateE,"axG",@progbits,_ZN2at6native12_GLOBAL__N_120fused_dropout_kernelIN3c104HalfEfmLin1ELin1EbEEvNS_4cuda6detail10TensorInfoIKT_T1_EENS7_IS8_SA_EENS7_IT4_SA_EESA_T0_NS_15PhiloxCudaStateE,comdat
.Lfunc_end48:
	.size	_ZN2at6native12_GLOBAL__N_120fused_dropout_kernelIN3c104HalfEfmLin1ELin1EbEEvNS_4cuda6detail10TensorInfoIKT_T1_EENS7_IS8_SA_EENS7_IT4_SA_EESA_T0_NS_15PhiloxCudaStateE, .Lfunc_end48-_ZN2at6native12_GLOBAL__N_120fused_dropout_kernelIN3c104HalfEfmLin1ELin1EbEEvNS_4cuda6detail10TensorInfoIKT_T1_EENS7_IS8_SA_EENS7_IT4_SA_EESA_T0_NS_15PhiloxCudaStateE
                                        ; -- End function
	.section	.AMDGPU.csdata,"",@progbits
; Kernel info:
; codeLenInByte = 12632
; NumSgprs: 44
; NumVgprs: 61
; ScratchSize: 0
; MemoryBound: 0
; FloatMode: 240
; IeeeMode: 1
; LDSByteSize: 0 bytes/workgroup (compile time only)
; SGPRBlocks: 5
; VGPRBlocks: 7
; NumSGPRsForWavesPerEU: 44
; NumVGPRsForWavesPerEU: 61
; Occupancy: 16
; WaveLimiterHint : 1
; COMPUTE_PGM_RSRC2:SCRATCH_EN: 0
; COMPUTE_PGM_RSRC2:USER_SGPR: 15
; COMPUTE_PGM_RSRC2:TRAP_HANDLER: 0
; COMPUTE_PGM_RSRC2:TGID_X_EN: 1
; COMPUTE_PGM_RSRC2:TGID_Y_EN: 0
; COMPUTE_PGM_RSRC2:TGID_Z_EN: 0
; COMPUTE_PGM_RSRC2:TIDIG_COMP_CNT: 0
	.section	.text._ZN2at6native12_GLOBAL__N_124fused_dropout_kernel_vecIN3c108BFloat16EfmLi1ELi16EbEEvNS_4cuda6detail10TensorInfoIKT_T1_EENS7_IS8_SA_EENS7_IT4_SA_EESA_T0_NS_15PhiloxCudaStateE,"axG",@progbits,_ZN2at6native12_GLOBAL__N_124fused_dropout_kernel_vecIN3c108BFloat16EfmLi1ELi16EbEEvNS_4cuda6detail10TensorInfoIKT_T1_EENS7_IS8_SA_EENS7_IT4_SA_EESA_T0_NS_15PhiloxCudaStateE,comdat
	.globl	_ZN2at6native12_GLOBAL__N_124fused_dropout_kernel_vecIN3c108BFloat16EfmLi1ELi16EbEEvNS_4cuda6detail10TensorInfoIKT_T1_EENS7_IS8_SA_EENS7_IT4_SA_EESA_T0_NS_15PhiloxCudaStateE ; -- Begin function _ZN2at6native12_GLOBAL__N_124fused_dropout_kernel_vecIN3c108BFloat16EfmLi1ELi16EbEEvNS_4cuda6detail10TensorInfoIKT_T1_EENS7_IS8_SA_EENS7_IT4_SA_EESA_T0_NS_15PhiloxCudaStateE
	.p2align	8
	.type	_ZN2at6native12_GLOBAL__N_124fused_dropout_kernel_vecIN3c108BFloat16EfmLi1ELi16EbEEvNS_4cuda6detail10TensorInfoIKT_T1_EENS7_IS8_SA_EENS7_IT4_SA_EESA_T0_NS_15PhiloxCudaStateE,@function
_ZN2at6native12_GLOBAL__N_124fused_dropout_kernel_vecIN3c108BFloat16EfmLi1ELi16EbEEvNS_4cuda6detail10TensorInfoIKT_T1_EENS7_IS8_SA_EENS7_IT4_SA_EESA_T0_NS_15PhiloxCudaStateE: ; @_ZN2at6native12_GLOBAL__N_124fused_dropout_kernel_vecIN3c108BFloat16EfmLi1ELi16EbEEvNS_4cuda6detail10TensorInfoIKT_T1_EENS7_IS8_SA_EENS7_IT4_SA_EESA_T0_NS_15PhiloxCudaStateE
; %bb.0:
	s_clause 0x1
	s_load_b128 s[4:7], s[0:1], 0x4f0
	s_load_b32 s2, s[0:1], 0x508
	s_waitcnt lgkmcnt(0)
	v_dual_mov_b32 v1, s6 :: v_dual_mov_b32 v2, s7
	v_dual_mov_b32 v11, s5 :: v_dual_mov_b32 v10, s4
	s_bitcmp0_b32 s2, 0
	s_cbranch_scc1 .LBB49_2
; %bb.1:
	v_dual_mov_b32 v1, s6 :: v_dual_mov_b32 v2, s7
	v_dual_mov_b32 v3, s4 :: v_dual_mov_b32 v4, s5
	s_load_b64 s[2:3], s[0:1], 0x500
	flat_load_b64 v[1:2], v[1:2]
	flat_load_b64 v[10:11], v[3:4]
	s_waitcnt vmcnt(1) lgkmcnt(0)
	v_add_co_u32 v1, vcc_lo, v1, s2
	v_add_co_ci_u32_e32 v2, vcc_lo, s3, v2, vcc_lo
.LBB49_2:
	s_clause 0x1
	s_load_b32 s4, s[0:1], 0x51c
	s_load_b64 s[16:17], s[0:1], 0x4e0
	s_add_u32 s2, s0, 0x510
	s_addc_u32 s3, s1, 0
	s_mov_b32 s5, exec_lo
	s_waitcnt lgkmcnt(0)
	s_and_b32 s4, s4, 0xffff
	s_delay_alu instid0(SALU_CYCLE_1) | instskip(SKIP_1) | instid1(VALU_DEP_1)
	v_mad_u64_u32 v[8:9], null, s15, s4, v[0:1]
	v_mov_b32_e32 v9, 0
	v_lshlrev_b64 v[12:13], 4, v[8:9]
	s_delay_alu instid0(VALU_DEP_1)
	v_cmpx_gt_u64_e64 s[16:17], v[12:13]
	s_cbranch_execz .LBB49_45
; %bb.3:
	v_alignbit_b32 v23, v2, v1, 2
	v_mad_u64_u32 v[3:4], null, 0xcd9e8d57, v8, 0
	v_lshrrev_b32_e32 v22, 2, v2
	s_waitcnt vmcnt(0)
	v_mov_b32_e32 v16, v11
	v_mad_u64_u32 v[5:6], null, 0xd2511f53, v23, 0
	v_add_co_u32 v25, null, 0x9e3779b9, v10
	v_xor3_b32 v0, v10, v4, v22
	s_delay_alu instid0(VALU_DEP_4) | instskip(SKIP_2) | instid1(VALU_DEP_4)
	v_add_co_u32 v24, null, 0xbb67ae85, v16
	v_add_co_u32 v26, null, 0x3c6ef372, v10
	v_xor_b32_e32 v2, v6, v11
	v_mad_u64_u32 v[6:7], null, 0xd2511f53, v0, 0
	v_add_co_u32 v27, null, 0x76cf5d0a, v16
	s_delay_alu instid0(VALU_DEP_3) | instskip(SKIP_1) | instid1(VALU_DEP_4)
	v_mad_u64_u32 v[14:15], null, 0xcd9e8d57, v2, 0
	v_add_co_u32 v28, null, 0x32370b8f, v16
	v_xor3_b32 v0, v24, v7, v5
	v_add_co_u32 v29, null, 0xdaa66d2b, v10
	s_load_b32 s28, s[0:1], 0x4e8
	s_delay_alu instid0(VALU_DEP_4) | instskip(NEXT) | instid1(VALU_DEP_3)
	v_xor3_b32 v7, v15, v25, v3
	v_mad_u64_u32 v[2:3], null, 0xcd9e8d57, v0, 0
	v_add_co_u32 v30, null, 0x78dde6e4, v10
	s_delay_alu instid0(VALU_DEP_3) | instskip(SKIP_1) | instid1(VALU_DEP_4)
	v_mad_u64_u32 v[4:5], null, 0xd2511f53, v7, 0
	v_add_co_u32 v31, null, 0xed9eba14, v16
	v_xor3_b32 v0, v26, v3, v14
	v_add_co_u32 v32, null, 0xa9066899, v16
	v_add_co_u32 v33, null, 0x1715609d, v10
	v_xor3_b32 v3, v5, v27, v6
	s_delay_alu instid0(VALU_DEP_4) | instskip(SKIP_1) | instid1(VALU_DEP_3)
	v_mad_u64_u32 v[5:6], null, 0xd2511f53, v0, 0
	v_add_co_u32 v34, null, 0xb54cda56, v10
	v_mad_u64_u32 v[14:15], null, 0xcd9e8d57, v3, 0
	v_add_co_u32 v35, null, 0x5384540f, v10
	s_delay_alu instid0(VALU_DEP_4)
	v_xor3_b32 v0, v28, v6, v4
	s_waitcnt lgkmcnt(0)
	v_div_scale_f32 v18, vcc_lo, 1.0, s28, 1.0
	s_clause 0x2
	s_load_b64 s[18:19], s[0:1], 0x0
	s_load_b64 s[20:21], s[0:1], 0x1a0
	;; [unrolled: 1-line block ×3, first 2 shown]
	v_xor3_b32 v4, v15, v29, v2
	v_mad_u64_u32 v[2:3], null, 0xcd9e8d57, v0, 0
	s_load_b32 s0, s[2:3], 0x0
	v_add_co_u32 v38, null, 0xf1bbcdc8, v10
	s_delay_alu instid0(VALU_DEP_3) | instskip(SKIP_1) | instid1(VALU_DEP_4)
	v_mad_u64_u32 v[6:7], null, 0xd2511f53, v4, 0
	v_add_nc_u32_e32 v41, 0x8ff34781, v10
	v_xor3_b32 v0, v30, v3, v14
	s_mov_b32 s25, 0
	s_mov_b32 s29, s28
	v_add_nc_u32_e32 v42, 0x96a522ad, v11
	s_delay_alu instid0(VALU_DEP_4) | instskip(SKIP_2) | instid1(VALU_DEP_3)
	v_xor3_b32 v5, v7, v31, v5
	v_mad_u64_u32 v[3:4], null, 0xd2511f53, v0, 0
	v_div_scale_f32 v0, null, s28, s28, 1.0
	v_mad_u64_u32 v[14:15], null, 0xcd9e8d57, v5, 0
	s_delay_alu instid0(VALU_DEP_2) | instskip(NEXT) | instid1(VALU_DEP_3)
	v_rcp_f32_e32 v17, v0
	v_xor3_b32 v6, v32, v4, v6
	s_waitcnt lgkmcnt(0)
	s_mul_i32 s0, s0, s4
	s_delay_alu instid0(SALU_CYCLE_1) | instskip(NEXT) | instid1(VALU_DEP_2)
	s_lshl_b32 s24, s0, 4
	v_xor3_b32 v2, v15, v33, v2
	v_mad_u64_u32 v[4:5], null, 0xcd9e8d57, v6, 0
	s_lshl_b64 s[26:27], s[24:25], 1
	s_delay_alu instid0(VALU_DEP_2) | instskip(SKIP_3) | instid1(VALU_DEP_2)
	v_mad_u64_u32 v[6:7], null, 0xd2511f53, v2, 0
	s_waitcnt_depctr 0xfff
	v_fma_f32 v2, -v0, v17, 1.0
	v_xor3_b32 v5, v34, v5, v14
	v_fmac_f32_e32 v17, v2, v17
	v_add_co_u32 v36, null, 0x646e171e, v16
	v_add_co_u32 v37, null, 0x1fd5c5a3, v16
	s_delay_alu instid0(VALU_DEP_3) | instskip(NEXT) | instid1(VALU_DEP_3)
	v_mul_f32_e32 v19, v18, v17
	v_xor3_b32 v7, v7, v36, v3
	v_mad_u64_u32 v[2:3], null, 0xd2511f53, v5, 0
	v_add_co_u32 v39, null, 0xdb3d7428, v16
	s_delay_alu instid0(VALU_DEP_3) | instskip(NEXT) | instid1(VALU_DEP_3)
	v_mad_u64_u32 v[14:15], null, 0xcd9e8d57, v7, 0
	v_xor3_b32 v5, v37, v3, v6
	s_delay_alu instid0(VALU_DEP_2) | instskip(NEXT) | instid1(VALU_DEP_2)
	v_xor3_b32 v7, v15, v35, v4
	v_mad_u64_u32 v[3:4], null, 0xcd9e8d57, v5, 0
	v_fma_f32 v15, -v0, v19, v18
	s_delay_alu instid0(VALU_DEP_3) | instskip(NEXT) | instid1(VALU_DEP_2)
	v_mad_u64_u32 v[5:6], null, 0xd2511f53, v7, 0
	v_fmac_f32_e32 v19, v15, v17
	s_delay_alu instid0(VALU_DEP_4) | instskip(NEXT) | instid1(VALU_DEP_3)
	v_xor3_b32 v4, v38, v4, v14
	v_xor3_b32 v14, v6, v39, v2
	s_delay_alu instid0(VALU_DEP_3) | instskip(NEXT) | instid1(VALU_DEP_3)
	v_fma_f32 v0, -v0, v19, v18
	v_mad_u64_u32 v[6:7], null, 0xd2511f53, v4, 0
	v_and_b32_e32 v40, 3, v1
	s_delay_alu instid0(VALU_DEP_4) | instskip(NEXT) | instid1(VALU_DEP_4)
	v_mad_u64_u32 v[1:2], null, 0xcd9e8d57, v14, 0
	v_div_fmas_f32 v0, v0, v17, v19
	v_lshlrev_b64 v[14:15], 5, v[8:9]
	s_delay_alu instid0(VALU_DEP_2) | instskip(NEXT) | instid1(VALU_DEP_4)
	v_div_fixup_f32 v43, v0, s28, 1.0
	v_xor3_b32 v0, v3, v2, v41
	v_mov_b32_e32 v3, v6
	v_xor3_b32 v2, v7, v5, v42
	s_branch .LBB49_6
.LBB49_4:                               ;   in Loop: Header=BB49_6 Depth=1
	s_or_b32 exec_lo, exec_lo, s1
	s_delay_alu instid0(VALU_DEP_1)
	v_mov_b32_e32 v18, v52
.LBB49_5:                               ;   in Loop: Header=BB49_6 Depth=1
	s_or_b32 exec_lo, exec_lo, s0
	v_add_co_u32 v56, vcc_lo, s18, v14
	v_add_co_ci_u32_e32 v57, vcc_lo, s19, v15, vcc_lo
	v_cvt_f32_u32_e32 v48, v48
	v_cvt_f32_u32_e32 v50, v3
	v_mov_b32_e32 v3, v19
	s_clause 0x1
	global_load_b128 v[52:55], v[56:57], off
	global_load_b128 v[56:59], v[56:57], off offset:16
	v_cvt_f32_u32_e32 v19, v46
	v_fmaak_f32 v48, 0x2f800000, v48, 0x2f800000
	v_cvt_f32_u32_e32 v44, v44
	v_cvt_f32_u32_e32 v17, v17
	;; [unrolled: 1-line block ×7, first 2 shown]
	v_dual_fmaak_f32 v19, 0x2f800000, v19, 0x2f800000 :: v_dual_fmaak_f32 v44, 0x2f800000, v44, 0x2f800000
	v_cvt_f32_u32_e32 v4, v4
	v_cvt_f32_u32_e32 v6, v6
	;; [unrolled: 1-line block ×4, first 2 shown]
	v_dual_fmaak_f32 v17, 0x2f800000, v17, 0x2f800000 :: v_dual_fmaak_f32 v50, 0x2f800000, v50, 0x2f800000
	v_dual_fmaak_f32 v47, 0x2f800000, v47, 0x2f800000 :: v_dual_fmaak_f32 v16, 0x2f800000, v16, 0x2f800000
	v_dual_fmaak_f32 v45, 0x2f800000, v45, 0x2f800000 :: v_dual_fmaak_f32 v4, 0x2f800000, v4, 0x2f800000
	v_dual_fmaak_f32 v5, 0x2f800000, v5, 0x2f800000 :: v_dual_fmaak_f32 v6, 0x2f800000, v6, 0x2f800000
	v_dual_fmaak_f32 v7, 0x2f800000, v7, 0x2f800000 :: v_dual_fmaak_f32 v18, 0x2f800000, v18, 0x2f800000
	v_cmp_gt_f32_e64 s5, s29, v19
	v_cmp_gt_f32_e64 s7, s29, v44
	v_cvt_f32_u32_e32 v49, v49
	v_fmaak_f32 v46, 0x2f800000, v46, 0x2f800000
	v_cmp_gt_f32_e64 s1, s29, v5
	v_cmp_gt_f32_e64 s3, s29, v7
	;; [unrolled: 1-line block ×3, first 2 shown]
	v_fmaak_f32 v49, 0x2f800000, v49, 0x2f800000
	v_cndmask_b32_e64 v19, 0, 1, s5
	v_cmp_gt_f32_e64 s6, s28, v45
	v_cndmask_b32_e64 v44, 0, 1, s7
	v_cmp_gt_f32_e64 s9, s29, v48
	v_cmp_gt_f32_e64 s11, s29, v50
	;; [unrolled: 1-line block ×3, first 2 shown]
	v_cndmask_b32_e64 v5, 0, 1, s1
	v_cmp_gt_f32_e64 s2, s28, v6
	v_cndmask_b32_e64 v7, 0, 1, s3
	v_cndmask_b32_e64 v16, 0, 1, s4
	;; [unrolled: 1-line block ×3, first 2 shown]
	v_cmp_gt_f32_e64 s8, s28, v17
	v_cndmask_b32_e64 v48, 0, 1, s9
	v_cmp_gt_f32_e64 s10, s28, v47
	v_cndmask_b32_e64 v50, 0, 1, s11
	v_cmp_gt_f32_e64 s13, s29, v46
	v_lshlrev_b16 v19, 8, v19
	v_lshlrev_b16 v44, 8, v44
	v_cndmask_b32_e64 v4, 0, 1, s0
	v_cndmask_b32_e64 v6, 0, 1, s2
	;; [unrolled: 1-line block ×4, first 2 shown]
	v_cmp_gt_f32_e64 s12, s28, v18
	v_cndmask_b32_e64 v75, 0, 1, s13
	v_lshlrev_b16 v48, 8, v48
	v_lshlrev_b16 v50, 8, v50
	;; [unrolled: 1-line block ×4, first 2 shown]
	v_or_b32_e32 v16, v16, v19
	v_or_b32_e32 v19, v45, v44
	v_cvt_f32_u32_e32 v51, v20
	v_cndmask_b32_e64 v64, 0, 1.0, s3
	v_cndmask_b32_e64 v65, 0, 1.0, s2
	v_cndmask_b32_e64 v74, 0, 1, s12
	v_lshlrev_b16 v75, 8, v75
	v_or_b32_e32 v17, v17, v48
	v_or_b32_e32 v47, v47, v50
	v_or_b32_e32 v4, v4, v5
	v_or_b32_e32 v5, v6, v7
	v_and_b32_e32 v16, 0xffff, v16
	v_lshlrev_b32_e32 v19, 16, v19
	v_fmaak_f32 v51, 0x2f800000, v51, 0x2f800000
	v_cndmask_b32_e64 v62, 0, 1.0, s1
	v_cndmask_b32_e64 v63, 0, 1.0, s0
	;; [unrolled: 1-line block ×4, first 2 shown]
	v_or_b32_e32 v6, v74, v75
	v_lshlrev_b32_e32 v44, 16, v47
	v_lshlrev_b32_e32 v45, 16, v5
	v_or_b32_e32 v5, v16, v19
	v_cndmask_b32_e64 v66, 0, 1.0, s4
	v_and_b32_e32 v48, 0xffff, v6
	v_cmp_gt_f32_e64 s14, s28, v49
	v_cndmask_b32_e64 v67, 0, 1.0, s5
	v_cndmask_b32_e64 v71, 0, 1.0, s9
	;; [unrolled: 1-line block ×7, first 2 shown]
	v_cndmask_b32_e64 v76, 0, 1, s14
	v_cndmask_b32_e64 v68, 0, 1.0, s6
	v_add_co_u32 v60, vcc_lo, s20, v14
	v_add_co_ci_u32_e32 v61, vcc_lo, s21, v15, vcc_lo
	v_add_co_u32 v20, vcc_lo, s22, v12
	v_add_co_ci_u32_e32 v21, vcc_lo, s23, v13, vcc_lo
	;; [unrolled: 2-line block ×3, first 2 shown]
	s_add_u32 s18, s18, s26
	s_addc_u32 s19, s19, s27
	s_add_u32 s20, s20, s26
	s_delay_alu instid0(VALU_DEP_1)
	v_cmp_le_u64_e32 vcc_lo, s[16:17], v[12:13]
	s_addc_u32 s21, s21, s27
	s_or_b32 s25, vcc_lo, s25
	s_waitcnt vmcnt(1)
	v_and_b32_e32 v16, 0xffff0000, v52
	v_and_b32_e32 v17, 0xffff, v17
	;; [unrolled: 1-line block ×3, first 2 shown]
	s_waitcnt vmcnt(0)
	v_lshlrev_b32_e32 v74, 16, v59
	v_lshlrev_b32_e32 v50, 16, v55
	v_mul_f32_e32 v16, v62, v16
	v_or_b32_e32 v6, v17, v44
	v_lshlrev_b32_e32 v44, 16, v53
	v_cmp_gt_f32_e64 s15, s29, v51
	v_lshlrev_b32_e32 v17, 16, v52
	v_dual_mul_f32 v16, v43, v16 :: v_dual_and_b32 v47, 0xffff0000, v54
	v_and_b32_e32 v4, 0xffff, v4
	s_delay_alu instid0(VALU_DEP_4)
	v_cndmask_b32_e64 v77, 0, 1, s15
	v_and_b32_e32 v52, 0xffff0000, v55
	v_mul_f32_e32 v44, v65, v44
	v_cndmask_b32_e64 v51, 0, 1.0, s15
	v_lshlrev_b32_e32 v53, 16, v56
	v_lshlrev_b16 v77, 8, v77
	s_delay_alu instid0(VALU_DEP_4)
	v_dual_mul_f32 v44, v43, v44 :: v_dual_lshlrev_b32 v55, 16, v57
	v_and_b32_e32 v59, 0xffff0000, v59
	v_dual_mul_f32 v47, v67, v47 :: v_dual_mul_f32 v52, v69, v52
	v_or_b32_e32 v4, v4, v45
	v_lshlrev_b32_e32 v45, 16, v54
	v_dual_mul_f32 v55, v72, v55 :: v_dual_and_b32 v54, 0xffff0000, v56
	v_and_b32_e32 v56, 0xffff0000, v57
	v_dual_mul_f32 v52, v43, v52 :: v_dual_lshlrev_b32 v57, 16, v58
	v_or_b32_e32 v7, v76, v77
	s_delay_alu instid0(VALU_DEP_4) | instskip(SKIP_1) | instid1(VALU_DEP_4)
	v_mul_f32_e32 v54, v71, v54
	v_mul_f32_e32 v17, v63, v17
	;; [unrolled: 1-line block ×5, first 2 shown]
	v_bfe_u32 v65, v52, 16, 1
	v_mul_f32_e32 v17, v43, v17
	v_mul_f32_e32 v54, v43, v54
	;; [unrolled: 1-line block ×4, first 2 shown]
	v_dual_mul_f32 v50, v68, v50 :: v_dual_lshlrev_b32 v7, 16, v7
	v_bfe_u32 v57, v17, 16, 1
	v_cmp_o_f32_e64 s0, v17, v17
	v_bfe_u32 v63, v47, 16, 1
	v_add3_u32 v65, v52, v65, 0x7fff
	v_mul_f32_e32 v50, v43, v50
	v_dual_mul_f32 v51, v51, v59 :: v_dual_mul_f32 v56, v73, v56
	v_dual_mul_f32 v19, v64, v19 :: v_dual_and_b32 v58, 0xffff0000, v58
	v_add3_u32 v57, v17, v57, 0x7fff
	v_bfe_u32 v59, v44, 16, 1
	v_bfe_u32 v64, v45, 16, 1
	s_delay_alu instid0(VALU_DEP_4) | instskip(SKIP_3) | instid1(VALU_DEP_4)
	v_dual_mul_f32 v19, v43, v19 :: v_dual_mul_f32 v46, v46, v58
	v_bfe_u32 v58, v16, 16, 1
	v_lshrrev_b32_e32 v57, 16, v57
	v_add3_u32 v59, v44, v59, 0x7fff
	v_bfe_u32 v62, v19, 16, 1
	v_add3_u32 v63, v47, v63, 0x7fff
	v_add3_u32 v58, v16, v58, 0x7fff
	v_cndmask_b32_e64 v57, 0x7fc0, v57, s0
	v_cmp_o_f32_e64 s0, v16, v16
	v_add3_u32 v62, v19, v62, 0x7fff
	v_lshrrev_b32_e32 v59, 16, v59
	v_lshrrev_b32_e32 v58, 16, v58
	v_add3_u32 v64, v45, v64, 0x7fff
	v_lshrrev_b32_e32 v63, 16, v63
	v_lshrrev_b32_e32 v62, 16, v62
	v_mul_f32_e32 v53, v70, v53
	v_cndmask_b32_e64 v16, 0x7fc0, v58, s0
	v_cmp_o_f32_e64 s0, v44, v44
	v_bfe_u32 v66, v50, 16, 1
	v_lshrrev_b32_e32 v64, 16, v64
	v_mul_f32_e32 v53, v43, v53
	v_bfe_u32 v67, v54, 16, 1
	v_cndmask_b32_e64 v17, 0x7fc0, v59, s0
	v_cmp_o_f32_e64 s0, v19, v19
	v_add3_u32 v66, v50, v66, 0x7fff
	v_lshrrev_b32_e32 v65, 16, v65
	v_mul_f32_e32 v56, v43, v56
	v_bfe_u32 v68, v53, 16, 1
	v_cndmask_b32_e64 v44, 0x7fc0, v62, s0
	v_cmp_o_f32_e64 s0, v47, v47
	v_add3_u32 v67, v54, v67, 0x7fff
	v_lshrrev_b32_e32 v66, 16, v66
	v_mul_f32_e32 v55, v43, v55
	v_bfe_u32 v69, v56, 16, 1
	v_cndmask_b32_e64 v47, 0x7fc0, v63, s0
	v_cmp_o_f32_e64 s0, v45, v45
	v_add3_u32 v68, v53, v68, 0x7fff
	v_lshrrev_b32_e32 v67, 16, v67
	v_mul_f32_e32 v46, v43, v46
	v_bfe_u32 v70, v55, 16, 1
	v_cndmask_b32_e64 v45, 0x7fc0, v64, s0
	v_cmp_o_f32_e64 s0, v52, v52
	v_add3_u32 v69, v56, v69, 0x7fff
	v_lshrrev_b32_e32 v68, 16, v68
	v_mul_f32_e32 v18, v43, v18
	v_bfe_u32 v71, v46, 16, 1
	v_cndmask_b32_e64 v19, 0x7fc0, v65, s0
	v_cmp_o_f32_e64 s0, v50, v50
	v_add3_u32 v70, v55, v70, 0x7fff
	v_lshrrev_b32_e32 v69, 16, v69
	v_mul_f32_e32 v51, v43, v51
	v_bfe_u32 v72, v18, 16, 1
	v_cndmask_b32_e64 v50, 0x7fc0, v66, s0
	v_cmp_o_f32_e64 s0, v54, v54
	v_add3_u32 v71, v46, v71, 0x7fff
	v_lshrrev_b32_e32 v70, 16, v70
	v_mul_f32_e32 v49, v43, v49
	v_bfe_u32 v73, v51, 16, 1
	v_cndmask_b32_e64 v52, 0x7fc0, v67, s0
	v_cmp_o_f32_e64 s0, v53, v53
	v_add3_u32 v72, v18, v72, 0x7fff
	v_lshrrev_b32_e32 v71, 16, v71
	v_bfe_u32 v74, v49, 16, 1
	v_add3_u32 v73, v51, v73, 0x7fff
	v_cndmask_b32_e64 v53, 0x7fc0, v68, s0
	v_cmp_o_f32_e64 s0, v56, v56
	v_lshrrev_b32_e32 v72, 16, v72
	v_add3_u32 v74, v49, v74, 0x7fff
	v_lshrrev_b32_e32 v73, 16, v73
	v_perm_b32 v19, v19, v50, 0x5040100
	v_cndmask_b32_e64 v54, 0x7fc0, v69, s0
	v_cmp_o_f32_e64 s0, v55, v55
	v_lshrrev_b32_e32 v74, 16, v74
	v_perm_b32 v17, v44, v17, 0x5040100
	v_perm_b32 v16, v16, v57, 0x5040100
	;; [unrolled: 1-line block ×3, first 2 shown]
	v_cndmask_b32_e64 v55, 0x7fc0, v70, s0
	v_cmp_o_f32_e64 s0, v46, v46
	v_or_b32_e32 v7, v48, v7
	s_delay_alu instid0(VALU_DEP_2) | instskip(SKIP_3) | instid1(VALU_DEP_3)
	v_cndmask_b32_e64 v46, 0x7fc0, v71, s0
	v_cmp_o_f32_e64 s0, v18, v18
	v_perm_b32 v18, v47, v45, 0x5040100
	v_perm_b32 v45, v54, v55, 0x5040100
	v_cndmask_b32_e64 v56, 0x7fc0, v72, s0
	v_cmp_o_f32_e64 s0, v51, v51
	s_delay_alu instid0(VALU_DEP_2) | instskip(NEXT) | instid1(VALU_DEP_2)
	v_perm_b32 v46, v46, v56, 0x5040100
	v_cndmask_b32_e64 v51, 0x7fc0, v73, s0
	v_cmp_o_f32_e64 s0, v49, v49
	s_delay_alu instid0(VALU_DEP_1) | instskip(NEXT) | instid1(VALU_DEP_1)
	v_cndmask_b32_e64 v49, 0x7fc0, v74, s0
	v_perm_b32 v47, v51, v49, 0x5040100
	s_clause 0x1
	global_store_b128 v[60:61], v[16:19], off
	global_store_b128 v[60:61], v[44:47], off offset:16
	global_store_b128 v[20:21], v[4:7], off
	s_waitcnt_vscnt null, 0x0
	s_barrier
	buffer_gl0_inv
	s_and_not1_b32 exec_lo, exec_lo, s25
	s_cbranch_execz .LBB49_45
.LBB49_6:                               ; =>This Inner Loop Header: Depth=1
	v_add_co_u32 v6, vcc_lo, v23, 1
	s_delay_alu instid0(VALU_DEP_1) | instskip(SKIP_2) | instid1(VALU_DEP_1)
	v_cndmask_b32_e64 v4, 0, 1, vcc_lo
	v_add_co_ci_u32_e32 v18, vcc_lo, 0, v22, vcc_lo
	s_mov_b32 s0, exec_lo
	v_cmp_eq_u32_e32 vcc_lo, 0, v18
	s_delay_alu instid0(VALU_DEP_3) | instskip(SKIP_1) | instid1(VALU_DEP_2)
	v_cndmask_b32_e32 v7, 0, v4, vcc_lo
	v_mad_u64_u32 v[4:5], null, 0xd2511f53, v6, 0
	v_add_nc_u32_e32 v20, v7, v8
	s_delay_alu instid0(VALU_DEP_2) | instskip(NEXT) | instid1(VALU_DEP_2)
	v_xor_b32_e32 v8, v5, v11
	v_cmp_eq_u32_e32 vcc_lo, 0, v20
	v_cndmask_b32_e32 v7, 0, v7, vcc_lo
	v_mad_u64_u32 v[5:6], null, 0xcd9e8d57, v20, 0
	s_delay_alu instid0(VALU_DEP_2) | instskip(NEXT) | instid1(VALU_DEP_2)
	v_add_nc_u32_e32 v21, v7, v9
	v_xor3_b32 v16, v6, v10, v18
	s_delay_alu instid0(VALU_DEP_2) | instskip(NEXT) | instid1(VALU_DEP_1)
	v_xor_b32_e32 v8, v21, v8
	v_mad_u64_u32 v[6:7], null, 0xcd9e8d57, v8, 0
	s_delay_alu instid0(VALU_DEP_3) | instskip(NEXT) | instid1(VALU_DEP_2)
	v_mad_u64_u32 v[8:9], null, 0xd2511f53, v16, 0
	v_xor3_b32 v7, v25, v7, v5
	s_delay_alu instid0(VALU_DEP_2) | instskip(NEXT) | instid1(VALU_DEP_2)
	v_xor3_b32 v9, v24, v9, v4
	v_mad_u64_u32 v[4:5], null, 0xd2511f53, v7, 0
	s_delay_alu instid0(VALU_DEP_2) | instskip(NEXT) | instid1(VALU_DEP_2)
	v_mad_u64_u32 v[16:17], null, 0xcd9e8d57, v9, 0
	v_xor3_b32 v7, v27, v5, v8
	s_delay_alu instid0(VALU_DEP_2) | instskip(NEXT) | instid1(VALU_DEP_2)
	v_xor3_b32 v9, v26, v17, v6
	v_mad_u64_u32 v[5:6], null, 0xcd9e8d57, v7, 0
	s_delay_alu instid0(VALU_DEP_2) | instskip(NEXT) | instid1(VALU_DEP_2)
	;; [unrolled: 6-line block ×8, first 2 shown]
	v_mad_u64_u32 v[16:17], null, 0xd2511f53, v4, 0
	v_xor3_b32 v19, v9, v44, v41
	s_delay_alu instid0(VALU_DEP_2)
	v_xor3_b32 v9, v17, v5, v42
                                        ; implicit-def: $vgpr4_vgpr5_vgpr6_vgpr7
	v_cmpx_lt_i32_e32 1, v40
	s_xor_b32 s0, exec_lo, s0
	s_cbranch_execz .LBB49_12
; %bb.7:                                ;   in Loop: Header=BB49_6 Depth=1
	s_mov_b32 s1, exec_lo
                                        ; implicit-def: $vgpr4_vgpr5_vgpr6_vgpr7
	v_cmpx_lt_i32_e32 2, v40
	s_xor_b32 s1, exec_lo, s1
; %bb.8:                                ;   in Loop: Header=BB49_6 Depth=1
	v_mov_b32_e32 v6, v3
	v_mov_b32_e32 v7, v19
                                        ; implicit-def: $vgpr0_vgpr1_vgpr2_vgpr3
	s_delay_alu instid0(VALU_DEP_2) | instskip(NEXT) | instid1(VALU_DEP_2)
	v_mov_b32_e32 v4, v6
	v_dual_mov_b32 v5, v7 :: v_dual_mov_b32 v6, v8
	v_mov_b32_e32 v7, v9
; %bb.9:                                ;   in Loop: Header=BB49_6 Depth=1
	s_and_not1_saveexec_b32 s1, s1
; %bb.10:                               ;   in Loop: Header=BB49_6 Depth=1
	v_dual_mov_b32 v4, v2 :: v_dual_mov_b32 v5, v3
	v_dual_mov_b32 v6, v19 :: v_dual_mov_b32 v7, v8
; %bb.11:                               ;   in Loop: Header=BB49_6 Depth=1
	s_or_b32 exec_lo, exec_lo, s1
                                        ; implicit-def: $vgpr0_vgpr1_vgpr2_vgpr3
.LBB49_12:                              ;   in Loop: Header=BB49_6 Depth=1
	s_and_not1_saveexec_b32 s0, s0
	s_cbranch_execz .LBB49_16
; %bb.13:                               ;   in Loop: Header=BB49_6 Depth=1
	s_mov_b32 s1, exec_lo
	v_cmpx_eq_u32_e32 1, v40
; %bb.14:                               ;   in Loop: Header=BB49_6 Depth=1
	v_dual_mov_b32 v0, v1 :: v_dual_mov_b32 v1, v2
	v_mov_b32_e32 v2, v3
	v_mov_b32_e32 v3, v19
; %bb.15:                               ;   in Loop: Header=BB49_6 Depth=1
	s_or_b32 exec_lo, exec_lo, s1
	s_delay_alu instid0(VALU_DEP_1)
	v_dual_mov_b32 v7, v3 :: v_dual_mov_b32 v6, v2
	v_dual_mov_b32 v5, v1 :: v_dual_mov_b32 v4, v0
.LBB49_16:                              ;   in Loop: Header=BB49_6 Depth=1
	s_or_b32 exec_lo, exec_lo, s0
	v_add_nc_u32_e32 v2, 2, v23
	s_mov_b32 s0, exec_lo
	s_delay_alu instid0(VALU_DEP_1) | instskip(SKIP_2) | instid1(VALU_DEP_1)
	v_cmp_eq_u32_e32 vcc_lo, 0, v2
	v_cndmask_b32_e64 v0, 0, 1, vcc_lo
	v_add_co_ci_u32_e32 v3, vcc_lo, 0, v18, vcc_lo
	v_cmp_eq_u32_e32 vcc_lo, 0, v3
	s_delay_alu instid0(VALU_DEP_3) | instskip(SKIP_1) | instid1(VALU_DEP_2)
	v_cndmask_b32_e32 v17, 0, v0, vcc_lo
	v_mad_u64_u32 v[0:1], null, 0xd2511f53, v2, 0
	v_add_nc_u32_e32 v20, v17, v20
	s_delay_alu instid0(VALU_DEP_2) | instskip(NEXT) | instid1(VALU_DEP_2)
	v_xor_b32_e32 v1, v1, v11
	v_cmp_eq_u32_e32 vcc_lo, 0, v20
	v_cndmask_b32_e32 v2, 0, v17, vcc_lo
	v_mad_u64_u32 v[17:18], null, 0xcd9e8d57, v20, 0
	s_delay_alu instid0(VALU_DEP_2) | instskip(NEXT) | instid1(VALU_DEP_2)
	v_add_nc_u32_e32 v21, v2, v21
	v_xor3_b32 v18, v18, v10, v3
	s_delay_alu instid0(VALU_DEP_2) | instskip(NEXT) | instid1(VALU_DEP_2)
	v_xor_b32_e32 v22, v21, v1
	v_mad_u64_u32 v[1:2], null, 0xd2511f53, v18, 0
	s_delay_alu instid0(VALU_DEP_2) | instskip(NEXT) | instid1(VALU_DEP_2)
	v_mad_u64_u32 v[44:45], null, 0xcd9e8d57, v22, 0
	v_xor3_b32 v0, v24, v2, v0
	s_delay_alu instid0(VALU_DEP_2) | instskip(NEXT) | instid1(VALU_DEP_2)
	v_xor3_b32 v2, v25, v45, v17
	v_mad_u64_u32 v[17:18], null, 0xcd9e8d57, v0, 0
	s_delay_alu instid0(VALU_DEP_2) | instskip(NEXT) | instid1(VALU_DEP_2)
	v_mad_u64_u32 v[45:46], null, 0xd2511f53, v2, 0
	v_xor3_b32 v2, v26, v18, v44
	s_delay_alu instid0(VALU_DEP_2) | instskip(NEXT) | instid1(VALU_DEP_2)
	v_xor3_b32 v18, v27, v46, v1
	;; [unrolled: 6-line block ×7, first 2 shown]
	v_mad_u64_u32 v[45:46], null, 0xcd9e8d57, v2, 0
	s_delay_alu instid0(VALU_DEP_2) | instskip(NEXT) | instid1(VALU_DEP_2)
	v_mad_u64_u32 v[47:48], null, 0xd2511f53, v0, 0
	v_xor3_b32 v0, v38, v46, v44
                                        ; implicit-def: $vgpr44
                                        ; implicit-def: $vgpr46
	s_delay_alu instid0(VALU_DEP_2) | instskip(NEXT) | instid1(VALU_DEP_2)
	v_xor3_b32 v2, v39, v48, v1
	v_mad_u64_u32 v[17:18], null, 0xd2511f53, v0, 0
	s_delay_alu instid0(VALU_DEP_2) | instskip(NEXT) | instid1(VALU_DEP_2)
	v_mad_u64_u32 v[0:1], null, 0xcd9e8d57, v2, 0
	v_xor3_b32 v2, v18, v47, v42
	s_delay_alu instid0(VALU_DEP_2)
	v_xor3_b32 v1, v1, v45, v41
                                        ; implicit-def: $vgpr45
	v_cmpx_lt_i32_e32 1, v40
	s_xor_b32 s0, exec_lo, s0
	s_cbranch_execz .LBB49_22
; %bb.17:                               ;   in Loop: Header=BB49_6 Depth=1
	s_mov_b32 s1, exec_lo
	v_cmpx_lt_i32_e32 2, v40
	s_xor_b32 s1, exec_lo, s1
; %bb.18:                               ;   in Loop: Header=BB49_6 Depth=1
                                        ; implicit-def: $vgpr9
; %bb.19:                               ;   in Loop: Header=BB49_6 Depth=1
	s_delay_alu instid0(SALU_CYCLE_1)
	s_or_saveexec_b32 s1, s1
	v_dual_mov_b32 v44, v2 :: v_dual_mov_b32 v45, v0
	v_mov_b32_e32 v46, v1
	s_xor_b32 exec_lo, exec_lo, s1
; %bb.20:                               ;   in Loop: Header=BB49_6 Depth=1
	v_dual_mov_b32 v44, v0 :: v_dual_mov_b32 v45, v1
	v_mov_b32_e32 v46, v16
	v_mov_b32_e32 v16, v9
; %bb.21:                               ;   in Loop: Header=BB49_6 Depth=1
	s_or_b32 exec_lo, exec_lo, s1
                                        ; implicit-def: $vgpr9
                                        ; implicit-def: $vgpr19
.LBB49_22:                              ;   in Loop: Header=BB49_6 Depth=1
	s_and_not1_saveexec_b32 s0, s0
	s_cbranch_execz .LBB49_26
; %bb.23:                               ;   in Loop: Header=BB49_6 Depth=1
	s_delay_alu instid0(VALU_DEP_1)
	v_dual_mov_b32 v44, v16 :: v_dual_mov_b32 v45, v9
	v_mov_b32_e32 v46, v8
	s_mov_b32 s1, exec_lo
	v_cmpx_eq_u32_e32 1, v40
; %bb.24:                               ;   in Loop: Header=BB49_6 Depth=1
	v_dual_mov_b32 v44, v1 :: v_dual_mov_b32 v45, v16
	v_dual_mov_b32 v46, v9 :: v_dual_mov_b32 v19, v8
; %bb.25:                               ;   in Loop: Header=BB49_6 Depth=1
	s_or_b32 exec_lo, exec_lo, s1
	s_delay_alu instid0(VALU_DEP_1)
	v_mov_b32_e32 v16, v19
.LBB49_26:                              ;   in Loop: Header=BB49_6 Depth=1
	s_or_b32 exec_lo, exec_lo, s0
	v_add_nc_u32_e32 v22, 3, v23
	s_mov_b32 s0, exec_lo
	s_delay_alu instid0(VALU_DEP_1) | instskip(SKIP_2) | instid1(VALU_DEP_1)
	v_cmp_eq_u32_e32 vcc_lo, 0, v22
	v_cndmask_b32_e64 v9, 0, 1, vcc_lo
	v_add_co_ci_u32_e32 v8, vcc_lo, 0, v3, vcc_lo
	v_cmp_eq_u32_e32 vcc_lo, 0, v8
	s_delay_alu instid0(VALU_DEP_3) | instskip(SKIP_1) | instid1(VALU_DEP_2)
	v_cndmask_b32_e32 v3, 0, v9, vcc_lo
	v_mad_u64_u32 v[18:19], null, 0xd2511f53, v22, 0
	v_add_nc_u32_e32 v9, v3, v20
	s_delay_alu instid0(VALU_DEP_2) | instskip(NEXT) | instid1(VALU_DEP_2)
	v_xor_b32_e32 v19, v19, v11
	v_cmp_eq_u32_e32 vcc_lo, 0, v9
	v_mad_u64_u32 v[47:48], null, 0xcd9e8d57, v9, 0
	v_cndmask_b32_e32 v3, 0, v3, vcc_lo
	s_delay_alu instid0(VALU_DEP_1) | instskip(NEXT) | instid1(VALU_DEP_3)
	v_add_nc_u32_e32 v20, v3, v21
	v_xor3_b32 v3, v48, v10, v8
	s_delay_alu instid0(VALU_DEP_2) | instskip(NEXT) | instid1(VALU_DEP_2)
	v_xor_b32_e32 v19, v20, v19
	v_mad_u64_u32 v[21:22], null, 0xd2511f53, v3, 0
	s_delay_alu instid0(VALU_DEP_2) | instskip(NEXT) | instid1(VALU_DEP_2)
	v_mad_u64_u32 v[48:49], null, 0xcd9e8d57, v19, 0
	v_xor3_b32 v3, v24, v22, v18
	s_delay_alu instid0(VALU_DEP_2) | instskip(NEXT) | instid1(VALU_DEP_2)
	v_xor3_b32 v22, v25, v49, v47
	v_mad_u64_u32 v[18:19], null, 0xcd9e8d57, v3, 0
	s_delay_alu instid0(VALU_DEP_2) | instskip(NEXT) | instid1(VALU_DEP_2)
	v_mad_u64_u32 v[49:50], null, 0xd2511f53, v22, 0
	v_xor3_b32 v3, v26, v19, v48
	s_delay_alu instid0(VALU_DEP_2) | instskip(NEXT) | instid1(VALU_DEP_2)
	v_xor3_b32 v19, v27, v50, v21
	v_mad_u64_u32 v[21:22], null, 0xd2511f53, v3, 0
	s_delay_alu instid0(VALU_DEP_2) | instskip(NEXT) | instid1(VALU_DEP_2)
	v_mad_u64_u32 v[47:48], null, 0xcd9e8d57, v19, 0
	v_xor3_b32 v3, v28, v22, v49
	s_delay_alu instid0(VALU_DEP_2) | instskip(NEXT) | instid1(VALU_DEP_2)
	v_xor3_b32 v22, v29, v48, v18
	v_mad_u64_u32 v[18:19], null, 0xcd9e8d57, v3, 0
	s_delay_alu instid0(VALU_DEP_2) | instskip(NEXT) | instid1(VALU_DEP_2)
	v_mad_u64_u32 v[48:49], null, 0xd2511f53, v22, 0
	v_xor3_b32 v3, v30, v19, v47
	s_delay_alu instid0(VALU_DEP_2) | instskip(NEXT) | instid1(VALU_DEP_2)
	v_xor3_b32 v19, v31, v49, v21
	v_mad_u64_u32 v[21:22], null, 0xd2511f53, v3, 0
	s_delay_alu instid0(VALU_DEP_2) | instskip(NEXT) | instid1(VALU_DEP_2)
	v_mad_u64_u32 v[49:50], null, 0xcd9e8d57, v19, 0
	v_xor3_b32 v3, v32, v22, v48
	s_delay_alu instid0(VALU_DEP_2) | instskip(NEXT) | instid1(VALU_DEP_2)
	v_xor3_b32 v22, v33, v50, v18
	v_mad_u64_u32 v[18:19], null, 0xcd9e8d57, v3, 0
	s_delay_alu instid0(VALU_DEP_2) | instskip(NEXT) | instid1(VALU_DEP_2)
	v_mad_u64_u32 v[47:48], null, 0xd2511f53, v22, 0
	v_xor3_b32 v3, v34, v19, v49
	s_delay_alu instid0(VALU_DEP_2) | instskip(NEXT) | instid1(VALU_DEP_2)
	v_xor3_b32 v19, v36, v48, v21
	v_mad_u64_u32 v[21:22], null, 0xd2511f53, v3, 0
	s_delay_alu instid0(VALU_DEP_2) | instskip(NEXT) | instid1(VALU_DEP_2)
	v_mad_u64_u32 v[48:49], null, 0xcd9e8d57, v19, 0
	v_xor3_b32 v3, v37, v22, v47
	s_delay_alu instid0(VALU_DEP_2) | instskip(NEXT) | instid1(VALU_DEP_2)
	v_xor3_b32 v18, v35, v49, v18
	v_mad_u64_u32 v[49:50], null, 0xcd9e8d57, v3, 0
	s_delay_alu instid0(VALU_DEP_2) | instskip(NEXT) | instid1(VALU_DEP_2)
	v_mad_u64_u32 v[51:52], null, 0xd2511f53, v18, 0
	v_xor3_b32 v3, v38, v50, v48
                                        ; implicit-def: $vgpr48
	s_delay_alu instid0(VALU_DEP_2) | instskip(NEXT) | instid1(VALU_DEP_2)
	v_xor3_b32 v47, v39, v52, v21
	v_mad_u64_u32 v[18:19], null, 0xd2511f53, v3, 0
                                        ; implicit-def: $vgpr3
	s_delay_alu instid0(VALU_DEP_2) | instskip(NEXT) | instid1(VALU_DEP_2)
	v_mad_u64_u32 v[21:22], null, 0xcd9e8d57, v47, 0
                                        ; implicit-def: $vgpr47
	v_xor3_b32 v50, v19, v51, v42
	s_delay_alu instid0(VALU_DEP_2)
	v_xor3_b32 v52, v22, v49, v41
	v_cmpx_lt_i32_e32 1, v40
	s_xor_b32 s0, exec_lo, s0
	s_cbranch_execz .LBB49_32
; %bb.27:                               ;   in Loop: Header=BB49_6 Depth=1
	s_mov_b32 s1, exec_lo
	v_cmpx_lt_i32_e32 2, v40
	s_xor_b32 s1, exec_lo, s1
; %bb.28:                               ;   in Loop: Header=BB49_6 Depth=1
                                        ; implicit-def: $vgpr2
; %bb.29:                               ;   in Loop: Header=BB49_6 Depth=1
	s_delay_alu instid0(SALU_CYCLE_1)
	s_or_saveexec_b32 s1, s1
	v_dual_mov_b32 v3, v50 :: v_dual_mov_b32 v48, v52
	v_mov_b32_e32 v47, v21
	s_xor_b32 exec_lo, exec_lo, s1
; %bb.30:                               ;   in Loop: Header=BB49_6 Depth=1
	v_mov_b32_e32 v3, v21
	v_dual_mov_b32 v47, v52 :: v_dual_mov_b32 v48, v17
	v_mov_b32_e32 v17, v2
; %bb.31:                               ;   in Loop: Header=BB49_6 Depth=1
	s_or_b32 exec_lo, exec_lo, s1
                                        ; implicit-def: $vgpr2
                                        ; implicit-def: $vgpr0
                                        ; implicit-def: $vgpr1
.LBB49_32:                              ;   in Loop: Header=BB49_6 Depth=1
	s_and_not1_saveexec_b32 s0, s0
	s_cbranch_execz .LBB49_36
; %bb.33:                               ;   in Loop: Header=BB49_6 Depth=1
	s_delay_alu instid0(VALU_DEP_1)
	v_dual_mov_b32 v3, v17 :: v_dual_mov_b32 v48, v0
	v_mov_b32_e32 v47, v2
	s_mov_b32 s1, exec_lo
	v_cmpx_eq_u32_e32 1, v40
; %bb.34:                               ;   in Loop: Header=BB49_6 Depth=1
	v_dual_mov_b32 v3, v52 :: v_dual_mov_b32 v48, v2
	v_mov_b32_e32 v47, v17
	v_mov_b32_e32 v1, v0
; %bb.35:                               ;   in Loop: Header=BB49_6 Depth=1
	s_or_b32 exec_lo, exec_lo, s1
	s_delay_alu instid0(VALU_DEP_1)
	v_mov_b32_e32 v17, v1
.LBB49_36:                              ;   in Loop: Header=BB49_6 Depth=1
	s_or_b32 exec_lo, exec_lo, s0
	v_add_nc_u32_e32 v23, 4, v23
	s_mov_b32 s0, exec_lo
                                        ; implicit-def: $vgpr51
	s_delay_alu instid0(VALU_DEP_1) | instskip(SKIP_2) | instid1(VALU_DEP_1)
	v_cmp_eq_u32_e32 vcc_lo, 0, v23
	v_cndmask_b32_e64 v0, 0, 1, vcc_lo
	v_add_co_ci_u32_e32 v22, vcc_lo, 0, v8, vcc_lo
	v_cmp_eq_u32_e32 vcc_lo, 0, v22
	s_delay_alu instid0(VALU_DEP_3) | instskip(NEXT) | instid1(VALU_DEP_1)
	v_cndmask_b32_e32 v0, 0, v0, vcc_lo
	v_add_nc_u32_e32 v8, v0, v9
	s_delay_alu instid0(VALU_DEP_1) | instskip(SKIP_1) | instid1(VALU_DEP_1)
	v_cmp_eq_u32_e32 vcc_lo, 0, v8
	v_cndmask_b32_e32 v0, 0, v0, vcc_lo
	v_add_nc_u32_e32 v9, v0, v20
	v_mad_u64_u32 v[0:1], null, 0xd2511f53, v23, 0
	v_mad_u64_u32 v[19:20], null, 0xcd9e8d57, v8, 0
	s_delay_alu instid0(VALU_DEP_2) | instskip(NEXT) | instid1(VALU_DEP_2)
	v_xor_b32_e32 v1, v1, v11
	v_xor3_b32 v20, v20, v10, v22
	s_delay_alu instid0(VALU_DEP_2) | instskip(NEXT) | instid1(VALU_DEP_2)
	v_xor_b32_e32 v49, v9, v1
	v_mad_u64_u32 v[53:54], null, 0xd2511f53, v20, 0
	s_delay_alu instid0(VALU_DEP_2) | instskip(NEXT) | instid1(VALU_DEP_2)
	v_mad_u64_u32 v[1:2], null, 0xcd9e8d57, v49, 0
	v_xor3_b32 v0, v24, v54, v0
	s_delay_alu instid0(VALU_DEP_2) | instskip(NEXT) | instid1(VALU_DEP_2)
	v_xor3_b32 v2, v25, v2, v19
	v_mad_u64_u32 v[54:55], null, 0xcd9e8d57, v0, 0
	s_delay_alu instid0(VALU_DEP_2) | instskip(NEXT) | instid1(VALU_DEP_1)
	v_mad_u64_u32 v[19:20], null, 0xd2511f53, v2, 0
	v_xor3_b32 v2, v27, v20, v53
	s_delay_alu instid0(VALU_DEP_3) | instskip(NEXT) | instid1(VALU_DEP_2)
	v_xor3_b32 v20, v26, v55, v1
	v_mad_u64_u32 v[0:1], null, 0xcd9e8d57, v2, 0
	s_delay_alu instid0(VALU_DEP_2) | instskip(NEXT) | instid1(VALU_DEP_2)
	v_mad_u64_u32 v[55:56], null, 0xd2511f53, v20, 0
	v_xor3_b32 v20, v29, v1, v54
	s_delay_alu instid0(VALU_DEP_2) | instskip(NEXT) | instid1(VALU_DEP_2)
	v_xor3_b32 v49, v28, v56, v19
	v_mad_u64_u32 v[1:2], null, 0xd2511f53, v20, 0
	s_delay_alu instid0(VALU_DEP_2) | instskip(NEXT) | instid1(VALU_DEP_2)
	v_mad_u64_u32 v[19:20], null, 0xcd9e8d57, v49, 0
	v_xor3_b32 v2, v31, v2, v55
	s_delay_alu instid0(VALU_DEP_2) | instskip(NEXT) | instid1(VALU_DEP_2)
	;; [unrolled: 6-line block ×6, first 2 shown]
	v_xor3_b32 v49, v38, v57, v1
	v_mad_u64_u32 v[1:2], null, 0xcd9e8d57, v0, 0
	s_delay_alu instid0(VALU_DEP_2) | instskip(NEXT) | instid1(VALU_DEP_2)
	v_mad_u64_u32 v[19:20], null, 0xd2511f53, v49, 0
                                        ; implicit-def: $vgpr49
	v_xor3_b32 v0, v2, v56, v41
	s_delay_alu instid0(VALU_DEP_2)
	v_xor3_b32 v2, v20, v54, v42
                                        ; implicit-def: $vgpr20
	v_cmpx_lt_i32_e32 1, v40
	s_xor_b32 s0, exec_lo, s0
	s_cbranch_execz .LBB49_42
; %bb.37:                               ;   in Loop: Header=BB49_6 Depth=1
	s_mov_b32 s1, exec_lo
	v_cmpx_lt_i32_e32 2, v40
	s_xor_b32 s1, exec_lo, s1
; %bb.38:                               ;   in Loop: Header=BB49_6 Depth=1
                                        ; implicit-def: $vgpr50
; %bb.39:                               ;   in Loop: Header=BB49_6 Depth=1
	s_delay_alu instid0(SALU_CYCLE_1)
	s_or_saveexec_b32 s1, s1
	v_dual_mov_b32 v20, v2 :: v_dual_mov_b32 v49, v1
	v_mov_b32_e32 v51, v0
	s_xor_b32 exec_lo, exec_lo, s1
; %bb.40:                               ;   in Loop: Header=BB49_6 Depth=1
	v_dual_mov_b32 v20, v1 :: v_dual_mov_b32 v49, v0
	v_mov_b32_e32 v51, v18
	v_mov_b32_e32 v18, v50
; %bb.41:                               ;   in Loop: Header=BB49_6 Depth=1
	s_or_b32 exec_lo, exec_lo, s1
                                        ; implicit-def: $vgpr50
                                        ; implicit-def: $vgpr21
                                        ; implicit-def: $vgpr52
.LBB49_42:                              ;   in Loop: Header=BB49_6 Depth=1
	s_and_not1_saveexec_b32 s0, s0
	s_cbranch_execz .LBB49_5
; %bb.43:                               ;   in Loop: Header=BB49_6 Depth=1
	s_delay_alu instid0(VALU_DEP_1)
	v_dual_mov_b32 v20, v18 :: v_dual_mov_b32 v51, v21
	v_mov_b32_e32 v49, v50
	s_mov_b32 s1, exec_lo
	v_cmpx_eq_u32_e32 1, v40
	s_cbranch_execz .LBB49_4
; %bb.44:                               ;   in Loop: Header=BB49_6 Depth=1
	v_dual_mov_b32 v20, v0 :: v_dual_mov_b32 v49, v18
	v_dual_mov_b32 v51, v50 :: v_dual_mov_b32 v52, v21
	s_branch .LBB49_4
.LBB49_45:
	s_endpgm
	.section	.rodata,"a",@progbits
	.p2align	6, 0x0
	.amdhsa_kernel _ZN2at6native12_GLOBAL__N_124fused_dropout_kernel_vecIN3c108BFloat16EfmLi1ELi16EbEEvNS_4cuda6detail10TensorInfoIKT_T1_EENS7_IS8_SA_EENS7_IT4_SA_EESA_T0_NS_15PhiloxCudaStateE
		.amdhsa_group_segment_fixed_size 0
		.amdhsa_private_segment_fixed_size 0
		.amdhsa_kernarg_size 1552
		.amdhsa_user_sgpr_count 15
		.amdhsa_user_sgpr_dispatch_ptr 0
		.amdhsa_user_sgpr_queue_ptr 0
		.amdhsa_user_sgpr_kernarg_segment_ptr 1
		.amdhsa_user_sgpr_dispatch_id 0
		.amdhsa_user_sgpr_private_segment_size 0
		.amdhsa_wavefront_size32 1
		.amdhsa_uses_dynamic_stack 0
		.amdhsa_enable_private_segment 0
		.amdhsa_system_sgpr_workgroup_id_x 1
		.amdhsa_system_sgpr_workgroup_id_y 0
		.amdhsa_system_sgpr_workgroup_id_z 0
		.amdhsa_system_sgpr_workgroup_info 0
		.amdhsa_system_vgpr_workitem_id 0
		.amdhsa_next_free_vgpr 78
		.amdhsa_next_free_sgpr 30
		.amdhsa_reserve_vcc 1
		.amdhsa_float_round_mode_32 0
		.amdhsa_float_round_mode_16_64 0
		.amdhsa_float_denorm_mode_32 3
		.amdhsa_float_denorm_mode_16_64 3
		.amdhsa_dx10_clamp 1
		.amdhsa_ieee_mode 1
		.amdhsa_fp16_overflow 0
		.amdhsa_workgroup_processor_mode 1
		.amdhsa_memory_ordered 1
		.amdhsa_forward_progress 0
		.amdhsa_shared_vgpr_count 0
		.amdhsa_exception_fp_ieee_invalid_op 0
		.amdhsa_exception_fp_denorm_src 0
		.amdhsa_exception_fp_ieee_div_zero 0
		.amdhsa_exception_fp_ieee_overflow 0
		.amdhsa_exception_fp_ieee_underflow 0
		.amdhsa_exception_fp_ieee_inexact 0
		.amdhsa_exception_int_div_zero 0
	.end_amdhsa_kernel
	.section	.text._ZN2at6native12_GLOBAL__N_124fused_dropout_kernel_vecIN3c108BFloat16EfmLi1ELi16EbEEvNS_4cuda6detail10TensorInfoIKT_T1_EENS7_IS8_SA_EENS7_IT4_SA_EESA_T0_NS_15PhiloxCudaStateE,"axG",@progbits,_ZN2at6native12_GLOBAL__N_124fused_dropout_kernel_vecIN3c108BFloat16EfmLi1ELi16EbEEvNS_4cuda6detail10TensorInfoIKT_T1_EENS7_IS8_SA_EENS7_IT4_SA_EESA_T0_NS_15PhiloxCudaStateE,comdat
.Lfunc_end49:
	.size	_ZN2at6native12_GLOBAL__N_124fused_dropout_kernel_vecIN3c108BFloat16EfmLi1ELi16EbEEvNS_4cuda6detail10TensorInfoIKT_T1_EENS7_IS8_SA_EENS7_IT4_SA_EESA_T0_NS_15PhiloxCudaStateE, .Lfunc_end49-_ZN2at6native12_GLOBAL__N_124fused_dropout_kernel_vecIN3c108BFloat16EfmLi1ELi16EbEEvNS_4cuda6detail10TensorInfoIKT_T1_EENS7_IS8_SA_EENS7_IT4_SA_EESA_T0_NS_15PhiloxCudaStateE
                                        ; -- End function
	.section	.AMDGPU.csdata,"",@progbits
; Kernel info:
; codeLenInByte = 5688
; NumSgprs: 32
; NumVgprs: 78
; ScratchSize: 0
; MemoryBound: 0
; FloatMode: 240
; IeeeMode: 1
; LDSByteSize: 0 bytes/workgroup (compile time only)
; SGPRBlocks: 3
; VGPRBlocks: 9
; NumSGPRsForWavesPerEU: 32
; NumVGPRsForWavesPerEU: 78
; Occupancy: 16
; WaveLimiterHint : 1
; COMPUTE_PGM_RSRC2:SCRATCH_EN: 0
; COMPUTE_PGM_RSRC2:USER_SGPR: 15
; COMPUTE_PGM_RSRC2:TRAP_HANDLER: 0
; COMPUTE_PGM_RSRC2:TGID_X_EN: 1
; COMPUTE_PGM_RSRC2:TGID_Y_EN: 0
; COMPUTE_PGM_RSRC2:TGID_Z_EN: 0
; COMPUTE_PGM_RSRC2:TIDIG_COMP_CNT: 0
	.section	.text._ZN2at6native12_GLOBAL__N_124fused_dropout_kernel_vecIN3c108BFloat16EfmLi1ELi8EbEEvNS_4cuda6detail10TensorInfoIKT_T1_EENS7_IS8_SA_EENS7_IT4_SA_EESA_T0_NS_15PhiloxCudaStateE,"axG",@progbits,_ZN2at6native12_GLOBAL__N_124fused_dropout_kernel_vecIN3c108BFloat16EfmLi1ELi8EbEEvNS_4cuda6detail10TensorInfoIKT_T1_EENS7_IS8_SA_EENS7_IT4_SA_EESA_T0_NS_15PhiloxCudaStateE,comdat
	.globl	_ZN2at6native12_GLOBAL__N_124fused_dropout_kernel_vecIN3c108BFloat16EfmLi1ELi8EbEEvNS_4cuda6detail10TensorInfoIKT_T1_EENS7_IS8_SA_EENS7_IT4_SA_EESA_T0_NS_15PhiloxCudaStateE ; -- Begin function _ZN2at6native12_GLOBAL__N_124fused_dropout_kernel_vecIN3c108BFloat16EfmLi1ELi8EbEEvNS_4cuda6detail10TensorInfoIKT_T1_EENS7_IS8_SA_EENS7_IT4_SA_EESA_T0_NS_15PhiloxCudaStateE
	.p2align	8
	.type	_ZN2at6native12_GLOBAL__N_124fused_dropout_kernel_vecIN3c108BFloat16EfmLi1ELi8EbEEvNS_4cuda6detail10TensorInfoIKT_T1_EENS7_IS8_SA_EENS7_IT4_SA_EESA_T0_NS_15PhiloxCudaStateE,@function
_ZN2at6native12_GLOBAL__N_124fused_dropout_kernel_vecIN3c108BFloat16EfmLi1ELi8EbEEvNS_4cuda6detail10TensorInfoIKT_T1_EENS7_IS8_SA_EENS7_IT4_SA_EESA_T0_NS_15PhiloxCudaStateE: ; @_ZN2at6native12_GLOBAL__N_124fused_dropout_kernel_vecIN3c108BFloat16EfmLi1ELi8EbEEvNS_4cuda6detail10TensorInfoIKT_T1_EENS7_IS8_SA_EENS7_IT4_SA_EESA_T0_NS_15PhiloxCudaStateE
; %bb.0:
	s_clause 0x1
	s_load_b128 s[4:7], s[0:1], 0x4f0
	s_load_b32 s2, s[0:1], 0x508
	s_waitcnt lgkmcnt(0)
	v_dual_mov_b32 v1, s6 :: v_dual_mov_b32 v2, s7
	v_dual_mov_b32 v11, s5 :: v_dual_mov_b32 v10, s4
	s_bitcmp0_b32 s2, 0
	s_cbranch_scc1 .LBB50_2
; %bb.1:
	v_dual_mov_b32 v1, s6 :: v_dual_mov_b32 v2, s7
	v_dual_mov_b32 v3, s4 :: v_dual_mov_b32 v4, s5
	s_load_b64 s[2:3], s[0:1], 0x500
	flat_load_b64 v[1:2], v[1:2]
	flat_load_b64 v[10:11], v[3:4]
	s_waitcnt vmcnt(1) lgkmcnt(0)
	v_add_co_u32 v1, vcc_lo, v1, s2
	v_add_co_ci_u32_e32 v2, vcc_lo, s3, v2, vcc_lo
.LBB50_2:
	s_clause 0x1
	s_load_b32 s4, s[0:1], 0x51c
	s_load_b64 s[8:9], s[0:1], 0x4e0
	s_add_u32 s2, s0, 0x510
	s_addc_u32 s3, s1, 0
	s_mov_b32 s5, exec_lo
	s_waitcnt lgkmcnt(0)
	s_and_b32 s4, s4, 0xffff
	s_delay_alu instid0(SALU_CYCLE_1) | instskip(SKIP_1) | instid1(VALU_DEP_1)
	v_mad_u64_u32 v[14:15], null, s15, s4, v[0:1]
	v_mov_b32_e32 v15, 0
	v_lshlrev_b64 v[12:13], 3, v[14:15]
	s_delay_alu instid0(VALU_DEP_1)
	v_cmpx_gt_u64_e64 s[8:9], v[12:13]
	s_cbranch_execz .LBB50_25
; %bb.3:
	v_alignbit_b32 v21, v2, v1, 2
	v_mad_u64_u32 v[3:4], null, 0xcd9e8d57, v14, 0
	v_lshrrev_b32_e32 v42, 2, v2
	s_waitcnt vmcnt(0)
	v_mov_b32_e32 v16, v11
	v_mad_u64_u32 v[5:6], null, 0xd2511f53, v21, 0
	v_add_co_u32 v23, null, 0x9e3779b9, v10
	v_xor3_b32 v0, v10, v4, v42
	s_delay_alu instid0(VALU_DEP_4) | instskip(SKIP_2) | instid1(VALU_DEP_4)
	v_add_co_u32 v22, null, 0xbb67ae85, v16
	v_add_co_u32 v24, null, 0x3c6ef372, v10
	v_xor_b32_e32 v2, v6, v11
	v_mad_u64_u32 v[6:7], null, 0xd2511f53, v0, 0
	v_add_co_u32 v25, null, 0x76cf5d0a, v16
	s_delay_alu instid0(VALU_DEP_3) | instskip(SKIP_1) | instid1(VALU_DEP_4)
	v_mad_u64_u32 v[8:9], null, 0xcd9e8d57, v2, 0
	v_add_co_u32 v26, null, 0x32370b8f, v16
	v_xor3_b32 v0, v22, v7, v5
	v_add_co_u32 v27, null, 0xdaa66d2b, v10
	s_load_b32 s20, s[0:1], 0x4e8
	s_delay_alu instid0(VALU_DEP_4) | instskip(NEXT) | instid1(VALU_DEP_3)
	v_xor3_b32 v7, v9, v23, v3
	v_mad_u64_u32 v[2:3], null, 0xcd9e8d57, v0, 0
	v_add_co_u32 v28, null, 0x78dde6e4, v10
	s_delay_alu instid0(VALU_DEP_3) | instskip(SKIP_1) | instid1(VALU_DEP_4)
	v_mad_u64_u32 v[4:5], null, 0xd2511f53, v7, 0
	v_add_co_u32 v29, null, 0xed9eba14, v16
	v_xor3_b32 v0, v24, v3, v8
	v_add_co_u32 v31, null, 0x1715609d, v10
	v_add_co_u32 v30, null, 0xa9066899, v16
	v_xor3_b32 v3, v5, v25, v6
	s_delay_alu instid0(VALU_DEP_4) | instskip(SKIP_1) | instid1(VALU_DEP_3)
	v_mad_u64_u32 v[5:6], null, 0xd2511f53, v0, 0
	v_add_co_u32 v32, null, 0xb54cda56, v10
	v_mad_u64_u32 v[7:8], null, 0xcd9e8d57, v3, 0
	v_add_co_u32 v33, null, 0x5384540f, v10
	s_delay_alu instid0(VALU_DEP_4)
	v_xor3_b32 v0, v26, v6, v4
	s_waitcnt lgkmcnt(0)
	v_div_scale_f32 v18, vcc_lo, 1.0, s20, 1.0
	s_clause 0x2
	s_load_b64 s[10:11], s[0:1], 0x0
	s_load_b64 s[12:13], s[0:1], 0x1a0
	;; [unrolled: 1-line block ×3, first 2 shown]
	v_xor3_b32 v4, v8, v27, v2
	v_mad_u64_u32 v[2:3], null, 0xcd9e8d57, v0, 0
	s_load_b32 s0, s[2:3], 0x0
	v_add_co_u32 v36, null, 0xf1bbcdc8, v10
	s_delay_alu instid0(VALU_DEP_3) | instskip(SKIP_1) | instid1(VALU_DEP_4)
	v_mad_u64_u32 v[8:9], null, 0xd2511f53, v4, 0
	v_and_b32_e32 v38, 3, v1
	v_xor3_b32 v0, v28, v3, v7
	v_add_nc_u32_e32 v39, 0x8ff34781, v10
	s_mov_b32 s17, 0
	s_mov_b32 s21, s20
	v_add_nc_u32_e32 v40, 0x96a522ad, v11
	v_xor3_b32 v7, v9, v29, v5
	v_mad_u64_u32 v[3:4], null, 0xd2511f53, v0, 0
	v_div_scale_f32 v0, null, s20, s20, 1.0
	s_delay_alu instid0(VALU_DEP_3) | instskip(NEXT) | instid1(VALU_DEP_2)
	v_mad_u64_u32 v[5:6], null, 0xcd9e8d57, v7, 0
	v_rcp_f32_e32 v17, v0
	s_delay_alu instid0(VALU_DEP_3) | instskip(SKIP_2) | instid1(SALU_CYCLE_1)
	v_xor3_b32 v4, v30, v4, v8
	s_waitcnt lgkmcnt(0)
	s_mul_i32 s0, s0, s4
	s_lshl_b32 s16, s0, 3
	s_delay_alu instid0(VALU_DEP_2) | instskip(SKIP_2) | instid1(VALU_DEP_2)
	v_xor3_b32 v2, v6, v31, v2
	v_mad_u64_u32 v[6:7], null, 0xcd9e8d57, v4, 0
	s_lshl_b64 s[18:19], s[16:17], 1
	v_mad_u64_u32 v[8:9], null, 0xd2511f53, v2, 0
	s_waitcnt_depctr 0xfff
	v_fma_f32 v2, -v0, v17, 1.0
	v_xor3_b32 v4, v32, v7, v5
	s_delay_alu instid0(VALU_DEP_2) | instskip(SKIP_3) | instid1(VALU_DEP_3)
	v_fmac_f32_e32 v17, v2, v17
	v_add_co_u32 v34, null, 0x646e171e, v16
	v_add_co_u32 v35, null, 0x1fd5c5a3, v16
	;; [unrolled: 1-line block ×3, first 2 shown]
	v_xor3_b32 v7, v9, v34, v3
	v_mad_u64_u32 v[2:3], null, 0xd2511f53, v4, 0
	v_mul_f32_e32 v9, v18, v17
	s_delay_alu instid0(VALU_DEP_3) | instskip(NEXT) | instid1(VALU_DEP_2)
	v_mad_u64_u32 v[4:5], null, 0xcd9e8d57, v7, 0
	v_fma_f32 v20, -v0, v9, v18
	s_delay_alu instid0(VALU_DEP_4) | instskip(NEXT) | instid1(VALU_DEP_3)
	v_xor3_b32 v3, v35, v3, v8
	v_xor3_b32 v19, v5, v33, v6
	s_delay_alu instid0(VALU_DEP_2) | instskip(NEXT) | instid1(VALU_DEP_4)
	v_mad_u64_u32 v[5:6], null, 0xcd9e8d57, v3, 0
	v_fmac_f32_e32 v9, v20, v17
	s_delay_alu instid0(VALU_DEP_3) | instskip(NEXT) | instid1(VALU_DEP_2)
	v_mad_u64_u32 v[7:8], null, 0xd2511f53, v19, 0
	v_fma_f32 v0, -v0, v9, v18
	s_delay_alu instid0(VALU_DEP_4) | instskip(NEXT) | instid1(VALU_DEP_3)
	v_xor3_b32 v6, v36, v6, v4
	v_xor3_b32 v8, v8, v37, v2
	s_delay_alu instid0(VALU_DEP_2) | instskip(NEXT) | instid1(VALU_DEP_4)
	v_mad_u64_u32 v[3:4], null, 0xd2511f53, v6, 0
	v_div_fmas_f32 v0, v0, v17, v9
	v_lshlrev_b64 v[16:17], 4, v[14:15]
	s_delay_alu instid0(VALU_DEP_4) | instskip(NEXT) | instid1(VALU_DEP_3)
	v_mad_u64_u32 v[1:2], null, 0xcd9e8d57, v8, 0
	v_div_fixup_f32 v41, v0, s20, 1.0
	s_delay_alu instid0(VALU_DEP_2)
	v_xor3_b32 v0, v5, v2, v39
	v_xor3_b32 v2, v4, v7, v40
	s_branch .LBB50_6
.LBB50_4:                               ;   in Loop: Header=BB50_6 Depth=1
	s_or_b32 exec_lo, exec_lo, s1
	s_delay_alu instid0(VALU_DEP_1)
	v_mov_b32_e32 v18, v43
.LBB50_5:                               ;   in Loop: Header=BB50_6 Depth=1
	s_or_b32 exec_lo, exec_lo, s0
	v_add_co_u32 v8, vcc_lo, s10, v16
	v_add_co_ci_u32_e32 v9, vcc_lo, s11, v17, vcc_lo
	v_cvt_f32_u32_e32 v5, v5
	v_cvt_f32_u32_e32 v7, v7
	;; [unrolled: 1-line block ×3, first 2 shown]
	global_load_b128 v[46:49], v[8:9], off
	v_cvt_f32_u32_e32 v43, v45
	v_cvt_f32_u32_e32 v45, v18
	;; [unrolled: 1-line block ×3, first 2 shown]
	v_dual_fmaak_f32 v5, 0x2f800000, v5, 0x2f800000 :: v_dual_fmaak_f32 v6, 0x2f800000, v6, 0x2f800000
	v_cvt_f32_u32_e32 v4, v4
	v_cvt_f32_u32_e32 v44, v44
	v_fmaak_f32 v7, 0x2f800000, v7, 0x2f800000
	v_dual_fmaak_f32 v45, 0x2f800000, v45, 0x2f800000 :: v_dual_fmaak_f32 v20, 0x2f800000, v20, 0x2f800000
	v_cmp_gt_f32_e64 s1, s21, v5
	v_dual_mov_b32 v3, v19 :: v_dual_fmaak_f32 v4, 0x2f800000, v4, 0x2f800000
	v_fmaak_f32 v44, 0x2f800000, v44, 0x2f800000
	v_cmp_gt_f32_e64 s3, s21, v7
	v_cmp_gt_f32_e64 s7, s21, v20
	v_cndmask_b32_e64 v50, 0, 1.0, s1
	v_fmaak_f32 v43, 0x2f800000, v43, 0x2f800000
	v_cmp_gt_f32_e64 s0, s20, v4
	v_cndmask_b32_e64 v5, 0, 1, s1
	v_cmp_gt_f32_e64 s2, s20, v6
	v_cndmask_b32_e64 v7, 0, 1, s3
	v_cmp_gt_f32_e64 s5, s21, v43
	v_cmp_gt_f32_e64 s6, s20, v44
	v_cndmask_b32_e64 v54, 0, 1, s7
	v_cndmask_b32_e64 v4, 0, 1, s0
	;; [unrolled: 1-line block ×3, first 2 shown]
	v_cmp_gt_f32_e64 s4, s20, v45
	v_cndmask_b32_e64 v53, 0, 1, s5
	v_cndmask_b32_e64 v55, 0, 1, s6
	v_lshlrev_b16 v5, 8, v5
	v_lshlrev_b16 v7, 8, v7
	;; [unrolled: 1-line block ×3, first 2 shown]
	v_cndmask_b32_e64 v45, 0, 1.0, s4
	v_cndmask_b32_e64 v52, 0, 1, s4
	v_lshlrev_b16 v53, 8, v53
	v_or_b32_e32 v4, v4, v5
	v_or_b32_e32 v5, v6, v7
	;; [unrolled: 1-line block ×3, first 2 shown]
	v_cndmask_b32_e64 v43, 0, 1.0, s5
	v_cndmask_b32_e64 v44, 0, 1.0, s6
	;; [unrolled: 1-line block ×3, first 2 shown]
	v_or_b32_e32 v6, v52, v53
	v_cndmask_b32_e64 v20, 0, 1.0, s7
	v_cndmask_b32_e64 v52, 0, 1.0, s2
	;; [unrolled: 1-line block ×3, first 2 shown]
	v_add_co_u32 v8, vcc_lo, s12, v16
	v_add_co_ci_u32_e32 v9, vcc_lo, s13, v17, vcc_lo
	v_add_co_u32 v18, vcc_lo, s14, v12
	v_add_co_ci_u32_e32 v19, vcc_lo, s15, v13, vcc_lo
	;; [unrolled: 2-line block ×3, first 2 shown]
	s_add_u32 s10, s10, s18
	s_addc_u32 s11, s11, s19
	s_add_u32 s12, s12, s18
	s_delay_alu instid0(VALU_DEP_1)
	v_cmp_le_u64_e32 vcc_lo, s[8:9], v[12:13]
	s_addc_u32 s13, s13, s19
	s_or_b32 s17, vcc_lo, s17
	s_waitcnt vmcnt(0)
	v_lshlrev_b32_e32 v55, 16, v48
	v_and_b32_e32 v48, 0xffff0000, v48
	v_lshlrev_b32_e32 v57, 16, v49
	v_and_b32_e32 v49, 0xffff0000, v49
	v_and_b32_e32 v53, 0xffff, v6
	v_mul_f32_e32 v45, v45, v55
	v_dual_mul_f32 v43, v43, v48 :: v_dual_lshlrev_b32 v54, 16, v7
	v_dual_mul_f32 v44, v44, v57 :: v_dual_lshlrev_b32 v7, 16, v46
	v_and_b32_e32 v4, 0xffff, v4
	v_and_b32_e32 v6, 0xffff0000, v46
	v_dual_mul_f32 v45, v41, v45 :: v_dual_and_b32 v46, 0xffff0000, v47
	v_lshlrev_b32_e32 v47, 16, v47
	v_mul_f32_e32 v7, v51, v7
	s_delay_alu instid0(VALU_DEP_3) | instskip(SKIP_1) | instid1(VALU_DEP_4)
	v_dual_mul_f32 v46, v56, v46 :: v_dual_lshlrev_b32 v5, 16, v5
	v_mul_f32_e32 v20, v20, v49
	v_mul_f32_e32 v47, v52, v47
	s_delay_alu instid0(VALU_DEP_4) | instskip(NEXT) | instid1(VALU_DEP_4)
	v_dual_mul_f32 v7, v41, v7 :: v_dual_mul_f32 v6, v50, v6
	v_mul_f32_e32 v46, v41, v46
	v_mul_f32_e32 v43, v41, v43
	s_delay_alu instid0(VALU_DEP_4) | instskip(NEXT) | instid1(VALU_DEP_4)
	v_mul_f32_e32 v47, v41, v47
	v_bfe_u32 v48, v7, 16, 1
	v_cmp_o_f32_e64 s0, v7, v7
	v_bfe_u32 v51, v46, 16, 1
	v_mul_f32_e32 v20, v41, v20
	v_bfe_u32 v50, v47, 16, 1
	v_add3_u32 v48, v7, v48, 0x7fff
	v_bfe_u32 v52, v43, 16, 1
	v_add3_u32 v51, v46, v51, 0x7fff
	v_mul_f32_e32 v44, v41, v44
	v_add3_u32 v50, v47, v50, 0x7fff
	v_lshrrev_b32_e32 v48, 16, v48
	v_bfe_u32 v56, v20, 16, 1
	v_add3_u32 v52, v43, v52, 0x7fff
	v_lshrrev_b32_e32 v51, 16, v51
	v_lshrrev_b32_e32 v50, 16, v50
	v_cndmask_b32_e64 v48, 0x7fc0, v48, s0
	v_cmp_o_f32_e64 s0, v47, v47
	v_bfe_u32 v57, v44, 16, 1
	v_add3_u32 v56, v20, v56, 0x7fff
	v_lshrrev_b32_e32 v52, 16, v52
	v_mul_f32_e32 v6, v41, v6
	v_cndmask_b32_e64 v47, 0x7fc0, v50, s0
	v_cmp_o_f32_e64 s0, v46, v46
	v_bfe_u32 v55, v45, 16, 1
	v_add3_u32 v57, v44, v57, 0x7fff
	v_lshrrev_b32_e32 v56, 16, v56
	v_bfe_u32 v49, v6, 16, 1
	v_cndmask_b32_e64 v46, 0x7fc0, v51, s0
	v_cmp_o_f32_e64 s0, v43, v43
	v_add3_u32 v55, v45, v55, 0x7fff
	v_lshrrev_b32_e32 v57, 16, v57
	v_add3_u32 v49, v6, v49, 0x7fff
	v_or_b32_e32 v43, v4, v5
	v_cndmask_b32_e64 v50, 0x7fc0, v52, s0
	v_cmp_o_f32_e64 s0, v20, v20
	v_lshrrev_b32_e32 v55, 16, v55
	v_lshrrev_b32_e32 v49, 16, v49
	v_perm_b32 v5, v46, v47, 0x5040100
	s_delay_alu instid0(VALU_DEP_4) | instskip(SKIP_1) | instid1(VALU_DEP_1)
	v_cndmask_b32_e64 v7, 0x7fc0, v56, s0
	v_cmp_o_f32_e64 s0, v44, v44
	v_cndmask_b32_e64 v20, 0x7fc0, v57, s0
	v_cmp_o_f32_e64 s0, v45, v45
	s_delay_alu instid0(VALU_DEP_2) | instskip(NEXT) | instid1(VALU_DEP_2)
	v_perm_b32 v7, v7, v20, 0x5040100
	v_cndmask_b32_e64 v44, 0x7fc0, v55, s0
	v_cmp_o_f32_e64 s0, v6, v6
	s_delay_alu instid0(VALU_DEP_2) | instskip(NEXT) | instid1(VALU_DEP_2)
	v_perm_b32 v6, v50, v44, 0x5040100
	v_cndmask_b32_e64 v45, 0x7fc0, v49, s0
	v_or_b32_e32 v44, v53, v54
	s_delay_alu instid0(VALU_DEP_2)
	v_perm_b32 v4, v45, v48, 0x5040100
	global_store_b128 v[8:9], v[4:7], off
	global_store_b64 v[18:19], v[43:44], off
	s_waitcnt_vscnt null, 0x0
	s_barrier
	buffer_gl0_inv
	s_and_not1_b32 exec_lo, exec_lo, s17
	s_cbranch_execz .LBB50_25
.LBB50_6:                               ; =>This Inner Loop Header: Depth=1
	v_add_co_u32 v6, vcc_lo, v21, 1
	s_delay_alu instid0(VALU_DEP_1) | instskip(SKIP_2) | instid1(VALU_DEP_1)
	v_cndmask_b32_e64 v4, 0, 1, vcc_lo
	v_add_co_ci_u32_e32 v20, vcc_lo, 0, v42, vcc_lo
	s_mov_b32 s0, exec_lo
	v_cmp_eq_u32_e32 vcc_lo, 0, v20
	s_delay_alu instid0(VALU_DEP_3) | instskip(SKIP_1) | instid1(VALU_DEP_2)
	v_cndmask_b32_e32 v7, 0, v4, vcc_lo
	v_mad_u64_u32 v[4:5], null, 0xd2511f53, v6, 0
	v_add_nc_u32_e32 v14, v7, v14
	s_delay_alu instid0(VALU_DEP_2) | instskip(NEXT) | instid1(VALU_DEP_2)
	v_xor_b32_e32 v8, v5, v11
	v_cmp_eq_u32_e32 vcc_lo, 0, v14
	v_cndmask_b32_e32 v7, 0, v7, vcc_lo
	v_mad_u64_u32 v[5:6], null, 0xcd9e8d57, v14, 0
	s_delay_alu instid0(VALU_DEP_2) | instskip(NEXT) | instid1(VALU_DEP_2)
	v_add_nc_u32_e32 v15, v7, v15
	v_xor3_b32 v18, v6, v10, v20
	s_delay_alu instid0(VALU_DEP_2) | instskip(NEXT) | instid1(VALU_DEP_1)
	v_xor_b32_e32 v8, v15, v8
	v_mad_u64_u32 v[6:7], null, 0xcd9e8d57, v8, 0
	s_delay_alu instid0(VALU_DEP_3) | instskip(NEXT) | instid1(VALU_DEP_2)
	v_mad_u64_u32 v[8:9], null, 0xd2511f53, v18, 0
	v_xor3_b32 v7, v23, v7, v5
	s_delay_alu instid0(VALU_DEP_2) | instskip(NEXT) | instid1(VALU_DEP_2)
	v_xor3_b32 v9, v22, v9, v4
	v_mad_u64_u32 v[4:5], null, 0xd2511f53, v7, 0
	s_delay_alu instid0(VALU_DEP_2) | instskip(NEXT) | instid1(VALU_DEP_2)
	v_mad_u64_u32 v[18:19], null, 0xcd9e8d57, v9, 0
	v_xor3_b32 v7, v25, v5, v8
	s_delay_alu instid0(VALU_DEP_2) | instskip(NEXT) | instid1(VALU_DEP_2)
	v_xor3_b32 v9, v24, v19, v6
	v_mad_u64_u32 v[5:6], null, 0xcd9e8d57, v7, 0
	s_delay_alu instid0(VALU_DEP_2) | instskip(NEXT) | instid1(VALU_DEP_2)
	;; [unrolled: 6-line block ×8, first 2 shown]
	v_mad_u64_u32 v[18:19], null, 0xd2511f53, v4, 0
	v_xor3_b32 v43, v9, v42, v39
	s_delay_alu instid0(VALU_DEP_2)
	v_xor3_b32 v9, v19, v5, v40
                                        ; implicit-def: $vgpr4_vgpr5_vgpr6_vgpr7
	v_cmpx_lt_i32_e32 1, v38
	s_xor_b32 s0, exec_lo, s0
	s_cbranch_execz .LBB50_12
; %bb.7:                                ;   in Loop: Header=BB50_6 Depth=1
	s_mov_b32 s1, exec_lo
                                        ; implicit-def: $vgpr4_vgpr5_vgpr6_vgpr7
	v_cmpx_lt_i32_e32 2, v38
	s_xor_b32 s1, exec_lo, s1
; %bb.8:                                ;   in Loop: Header=BB50_6 Depth=1
	v_mov_b32_e32 v6, v3
	v_mov_b32_e32 v7, v43
                                        ; implicit-def: $vgpr0_vgpr1_vgpr2_vgpr3
	s_delay_alu instid0(VALU_DEP_2) | instskip(NEXT) | instid1(VALU_DEP_2)
	v_mov_b32_e32 v4, v6
	v_dual_mov_b32 v5, v7 :: v_dual_mov_b32 v6, v8
	v_mov_b32_e32 v7, v9
; %bb.9:                                ;   in Loop: Header=BB50_6 Depth=1
	s_and_not1_saveexec_b32 s1, s1
; %bb.10:                               ;   in Loop: Header=BB50_6 Depth=1
	v_dual_mov_b32 v4, v2 :: v_dual_mov_b32 v5, v3
	v_dual_mov_b32 v6, v43 :: v_dual_mov_b32 v7, v8
; %bb.11:                               ;   in Loop: Header=BB50_6 Depth=1
	s_or_b32 exec_lo, exec_lo, s1
                                        ; implicit-def: $vgpr0_vgpr1_vgpr2_vgpr3
.LBB50_12:                              ;   in Loop: Header=BB50_6 Depth=1
	s_and_not1_saveexec_b32 s0, s0
	s_cbranch_execz .LBB50_16
; %bb.13:                               ;   in Loop: Header=BB50_6 Depth=1
	s_mov_b32 s1, exec_lo
	v_cmpx_eq_u32_e32 1, v38
; %bb.14:                               ;   in Loop: Header=BB50_6 Depth=1
	v_dual_mov_b32 v0, v1 :: v_dual_mov_b32 v1, v2
	v_mov_b32_e32 v2, v3
	v_mov_b32_e32 v3, v43
; %bb.15:                               ;   in Loop: Header=BB50_6 Depth=1
	s_or_b32 exec_lo, exec_lo, s1
	s_delay_alu instid0(VALU_DEP_1)
	v_dual_mov_b32 v7, v3 :: v_dual_mov_b32 v6, v2
	v_dual_mov_b32 v5, v1 :: v_dual_mov_b32 v4, v0
.LBB50_16:                              ;   in Loop: Header=BB50_6 Depth=1
	s_or_b32 exec_lo, exec_lo, s0
	v_add_nc_u32_e32 v21, 2, v21
	s_mov_b32 s0, exec_lo
	s_delay_alu instid0(VALU_DEP_1) | instskip(SKIP_2) | instid1(VALU_DEP_1)
	v_cmp_eq_u32_e32 vcc_lo, 0, v21
	v_cndmask_b32_e64 v0, 0, 1, vcc_lo
	v_add_co_ci_u32_e32 v42, vcc_lo, 0, v20, vcc_lo
	v_cmp_eq_u32_e32 vcc_lo, 0, v42
	s_delay_alu instid0(VALU_DEP_3) | instskip(NEXT) | instid1(VALU_DEP_1)
	v_cndmask_b32_e32 v0, 0, v0, vcc_lo
	v_add_nc_u32_e32 v14, v0, v14
	s_delay_alu instid0(VALU_DEP_1) | instskip(SKIP_2) | instid1(VALU_DEP_2)
	v_cmp_eq_u32_e32 vcc_lo, 0, v14
	v_mad_u64_u32 v[2:3], null, 0xcd9e8d57, v14, 0
	v_cndmask_b32_e32 v0, 0, v0, vcc_lo
	v_xor3_b32 v3, v3, v10, v42
	s_delay_alu instid0(VALU_DEP_2) | instskip(SKIP_1) | instid1(VALU_DEP_3)
	v_add_nc_u32_e32 v15, v0, v15
	v_mad_u64_u32 v[0:1], null, 0xd2511f53, v21, 0
	v_mad_u64_u32 v[44:45], null, 0xd2511f53, v3, 0
	s_delay_alu instid0(VALU_DEP_2) | instskip(NEXT) | instid1(VALU_DEP_1)
	v_xor_b32_e32 v1, v1, v11
	v_xor_b32_e32 v1, v15, v1
	s_delay_alu instid0(VALU_DEP_1) | instskip(NEXT) | instid1(VALU_DEP_1)
	v_mad_u64_u32 v[19:20], null, 0xcd9e8d57, v1, 0
	v_xor3_b32 v2, v23, v20, v2
	v_xor3_b32 v20, v22, v45, v0
	s_delay_alu instid0(VALU_DEP_2) | instskip(NEXT) | instid1(VALU_DEP_2)
	v_mad_u64_u32 v[0:1], null, 0xd2511f53, v2, 0
	v_mad_u64_u32 v[2:3], null, 0xcd9e8d57, v20, 0
	s_delay_alu instid0(VALU_DEP_2) | instskip(NEXT) | instid1(VALU_DEP_2)
	v_xor3_b32 v1, v25, v1, v44
	v_xor3_b32 v3, v24, v3, v19
	s_delay_alu instid0(VALU_DEP_2) | instskip(NEXT) | instid1(VALU_DEP_2)
	v_mad_u64_u32 v[19:20], null, 0xcd9e8d57, v1, 0
	v_mad_u64_u32 v[44:45], null, 0xd2511f53, v3, 0
	s_delay_alu instid0(VALU_DEP_2) | instskip(NEXT) | instid1(VALU_DEP_2)
	v_xor3_b32 v2, v27, v20, v2
	v_xor3_b32 v20, v26, v45, v0
	s_delay_alu instid0(VALU_DEP_2) | instskip(NEXT) | instid1(VALU_DEP_2)
	v_mad_u64_u32 v[0:1], null, 0xd2511f53, v2, 0
	v_mad_u64_u32 v[2:3], null, 0xcd9e8d57, v20, 0
	s_delay_alu instid0(VALU_DEP_2) | instskip(NEXT) | instid1(VALU_DEP_2)
	v_xor3_b32 v1, v29, v1, v44
	v_xor3_b32 v3, v28, v3, v19
	s_delay_alu instid0(VALU_DEP_2) | instskip(NEXT) | instid1(VALU_DEP_2)
	v_mad_u64_u32 v[19:20], null, 0xcd9e8d57, v1, 0
	v_mad_u64_u32 v[44:45], null, 0xd2511f53, v3, 0
	s_delay_alu instid0(VALU_DEP_2) | instskip(NEXT) | instid1(VALU_DEP_2)
	v_xor3_b32 v2, v31, v20, v2
	v_xor3_b32 v20, v30, v45, v0
	s_delay_alu instid0(VALU_DEP_2) | instskip(NEXT) | instid1(VALU_DEP_2)
	v_mad_u64_u32 v[0:1], null, 0xd2511f53, v2, 0
	v_mad_u64_u32 v[2:3], null, 0xcd9e8d57, v20, 0
	s_delay_alu instid0(VALU_DEP_2) | instskip(NEXT) | instid1(VALU_DEP_2)
	v_xor3_b32 v1, v34, v1, v44
	v_xor3_b32 v3, v32, v3, v19
	s_delay_alu instid0(VALU_DEP_2) | instskip(NEXT) | instid1(VALU_DEP_2)
	v_mad_u64_u32 v[19:20], null, 0xcd9e8d57, v1, 0
	v_mad_u64_u32 v[44:45], null, 0xd2511f53, v3, 0
	s_delay_alu instid0(VALU_DEP_2) | instskip(NEXT) | instid1(VALU_DEP_2)
	v_xor3_b32 v1, v33, v20, v2
	v_xor3_b32 v2, v35, v45, v0
	s_delay_alu instid0(VALU_DEP_2) | instskip(NEXT) | instid1(VALU_DEP_2)
	v_mad_u64_u32 v[45:46], null, 0xd2511f53, v1, 0
	v_mad_u64_u32 v[0:1], null, 0xcd9e8d57, v2, 0
	s_delay_alu instid0(VALU_DEP_2) | instskip(NEXT) | instid1(VALU_DEP_2)
	v_xor3_b32 v3, v37, v46, v44
	v_xor3_b32 v44, v36, v1, v19
	s_delay_alu instid0(VALU_DEP_2) | instskip(NEXT) | instid1(VALU_DEP_2)
	v_mad_u64_u32 v[1:2], null, 0xcd9e8d57, v3, 0
	v_mad_u64_u32 v[19:20], null, 0xd2511f53, v44, 0
                                        ; implicit-def: $vgpr44
	s_delay_alu instid0(VALU_DEP_2) | instskip(NEXT) | instid1(VALU_DEP_2)
	v_xor3_b32 v0, v2, v0, v39
	v_xor3_b32 v2, v20, v45, v40
                                        ; implicit-def: $vgpr20
                                        ; implicit-def: $vgpr45
	v_cmpx_lt_i32_e32 1, v38
	s_xor_b32 s0, exec_lo, s0
	s_cbranch_execz .LBB50_22
; %bb.17:                               ;   in Loop: Header=BB50_6 Depth=1
	s_mov_b32 s1, exec_lo
	v_cmpx_lt_i32_e32 2, v38
	s_xor_b32 s1, exec_lo, s1
; %bb.18:                               ;   in Loop: Header=BB50_6 Depth=1
                                        ; implicit-def: $vgpr9
; %bb.19:                               ;   in Loop: Header=BB50_6 Depth=1
	s_delay_alu instid0(SALU_CYCLE_1)
	s_or_saveexec_b32 s1, s1
	v_dual_mov_b32 v20, v2 :: v_dual_mov_b32 v45, v0
	v_mov_b32_e32 v44, v1
	s_xor_b32 exec_lo, exec_lo, s1
; %bb.20:                               ;   in Loop: Header=BB50_6 Depth=1
	v_dual_mov_b32 v20, v1 :: v_dual_mov_b32 v45, v18
	v_mov_b32_e32 v44, v0
	v_mov_b32_e32 v18, v9
; %bb.21:                               ;   in Loop: Header=BB50_6 Depth=1
	s_or_b32 exec_lo, exec_lo, s1
                                        ; implicit-def: $vgpr9
                                        ; implicit-def: $vgpr43
.LBB50_22:                              ;   in Loop: Header=BB50_6 Depth=1
	s_and_not1_saveexec_b32 s0, s0
	s_cbranch_execz .LBB50_5
; %bb.23:                               ;   in Loop: Header=BB50_6 Depth=1
	s_delay_alu instid0(VALU_DEP_1)
	v_dual_mov_b32 v20, v18 :: v_dual_mov_b32 v45, v8
	v_mov_b32_e32 v44, v9
	s_mov_b32 s1, exec_lo
	v_cmpx_eq_u32_e32 1, v38
	s_cbranch_execz .LBB50_4
; %bb.24:                               ;   in Loop: Header=BB50_6 Depth=1
	v_dual_mov_b32 v20, v0 :: v_dual_mov_b32 v45, v9
	v_dual_mov_b32 v44, v18 :: v_dual_mov_b32 v43, v8
	s_branch .LBB50_4
.LBB50_25:
	s_endpgm
	.section	.rodata,"a",@progbits
	.p2align	6, 0x0
	.amdhsa_kernel _ZN2at6native12_GLOBAL__N_124fused_dropout_kernel_vecIN3c108BFloat16EfmLi1ELi8EbEEvNS_4cuda6detail10TensorInfoIKT_T1_EENS7_IS8_SA_EENS7_IT4_SA_EESA_T0_NS_15PhiloxCudaStateE
		.amdhsa_group_segment_fixed_size 0
		.amdhsa_private_segment_fixed_size 0
		.amdhsa_kernarg_size 1552
		.amdhsa_user_sgpr_count 15
		.amdhsa_user_sgpr_dispatch_ptr 0
		.amdhsa_user_sgpr_queue_ptr 0
		.amdhsa_user_sgpr_kernarg_segment_ptr 1
		.amdhsa_user_sgpr_dispatch_id 0
		.amdhsa_user_sgpr_private_segment_size 0
		.amdhsa_wavefront_size32 1
		.amdhsa_uses_dynamic_stack 0
		.amdhsa_enable_private_segment 0
		.amdhsa_system_sgpr_workgroup_id_x 1
		.amdhsa_system_sgpr_workgroup_id_y 0
		.amdhsa_system_sgpr_workgroup_id_z 0
		.amdhsa_system_sgpr_workgroup_info 0
		.amdhsa_system_vgpr_workitem_id 0
		.amdhsa_next_free_vgpr 58
		.amdhsa_next_free_sgpr 22
		.amdhsa_reserve_vcc 1
		.amdhsa_float_round_mode_32 0
		.amdhsa_float_round_mode_16_64 0
		.amdhsa_float_denorm_mode_32 3
		.amdhsa_float_denorm_mode_16_64 3
		.amdhsa_dx10_clamp 1
		.amdhsa_ieee_mode 1
		.amdhsa_fp16_overflow 0
		.amdhsa_workgroup_processor_mode 1
		.amdhsa_memory_ordered 1
		.amdhsa_forward_progress 0
		.amdhsa_shared_vgpr_count 0
		.amdhsa_exception_fp_ieee_invalid_op 0
		.amdhsa_exception_fp_denorm_src 0
		.amdhsa_exception_fp_ieee_div_zero 0
		.amdhsa_exception_fp_ieee_overflow 0
		.amdhsa_exception_fp_ieee_underflow 0
		.amdhsa_exception_fp_ieee_inexact 0
		.amdhsa_exception_int_div_zero 0
	.end_amdhsa_kernel
	.section	.text._ZN2at6native12_GLOBAL__N_124fused_dropout_kernel_vecIN3c108BFloat16EfmLi1ELi8EbEEvNS_4cuda6detail10TensorInfoIKT_T1_EENS7_IS8_SA_EENS7_IT4_SA_EESA_T0_NS_15PhiloxCudaStateE,"axG",@progbits,_ZN2at6native12_GLOBAL__N_124fused_dropout_kernel_vecIN3c108BFloat16EfmLi1ELi8EbEEvNS_4cuda6detail10TensorInfoIKT_T1_EENS7_IS8_SA_EENS7_IT4_SA_EESA_T0_NS_15PhiloxCudaStateE,comdat
.Lfunc_end50:
	.size	_ZN2at6native12_GLOBAL__N_124fused_dropout_kernel_vecIN3c108BFloat16EfmLi1ELi8EbEEvNS_4cuda6detail10TensorInfoIKT_T1_EENS7_IS8_SA_EENS7_IT4_SA_EESA_T0_NS_15PhiloxCudaStateE, .Lfunc_end50-_ZN2at6native12_GLOBAL__N_124fused_dropout_kernel_vecIN3c108BFloat16EfmLi1ELi8EbEEvNS_4cuda6detail10TensorInfoIKT_T1_EENS7_IS8_SA_EENS7_IT4_SA_EESA_T0_NS_15PhiloxCudaStateE
                                        ; -- End function
	.section	.AMDGPU.csdata,"",@progbits
; Kernel info:
; codeLenInByte = 3444
; NumSgprs: 24
; NumVgprs: 58
; ScratchSize: 0
; MemoryBound: 0
; FloatMode: 240
; IeeeMode: 1
; LDSByteSize: 0 bytes/workgroup (compile time only)
; SGPRBlocks: 2
; VGPRBlocks: 7
; NumSGPRsForWavesPerEU: 24
; NumVGPRsForWavesPerEU: 58
; Occupancy: 16
; WaveLimiterHint : 1
; COMPUTE_PGM_RSRC2:SCRATCH_EN: 0
; COMPUTE_PGM_RSRC2:USER_SGPR: 15
; COMPUTE_PGM_RSRC2:TRAP_HANDLER: 0
; COMPUTE_PGM_RSRC2:TGID_X_EN: 1
; COMPUTE_PGM_RSRC2:TGID_Y_EN: 0
; COMPUTE_PGM_RSRC2:TGID_Z_EN: 0
; COMPUTE_PGM_RSRC2:TIDIG_COMP_CNT: 0
	.section	.text._ZN2at6native12_GLOBAL__N_124fused_dropout_kernel_vecIN3c108BFloat16EfmLi1ELi4EbEEvNS_4cuda6detail10TensorInfoIKT_T1_EENS7_IS8_SA_EENS7_IT4_SA_EESA_T0_NS_15PhiloxCudaStateE,"axG",@progbits,_ZN2at6native12_GLOBAL__N_124fused_dropout_kernel_vecIN3c108BFloat16EfmLi1ELi4EbEEvNS_4cuda6detail10TensorInfoIKT_T1_EENS7_IS8_SA_EENS7_IT4_SA_EESA_T0_NS_15PhiloxCudaStateE,comdat
	.globl	_ZN2at6native12_GLOBAL__N_124fused_dropout_kernel_vecIN3c108BFloat16EfmLi1ELi4EbEEvNS_4cuda6detail10TensorInfoIKT_T1_EENS7_IS8_SA_EENS7_IT4_SA_EESA_T0_NS_15PhiloxCudaStateE ; -- Begin function _ZN2at6native12_GLOBAL__N_124fused_dropout_kernel_vecIN3c108BFloat16EfmLi1ELi4EbEEvNS_4cuda6detail10TensorInfoIKT_T1_EENS7_IS8_SA_EENS7_IT4_SA_EESA_T0_NS_15PhiloxCudaStateE
	.p2align	8
	.type	_ZN2at6native12_GLOBAL__N_124fused_dropout_kernel_vecIN3c108BFloat16EfmLi1ELi4EbEEvNS_4cuda6detail10TensorInfoIKT_T1_EENS7_IS8_SA_EENS7_IT4_SA_EESA_T0_NS_15PhiloxCudaStateE,@function
_ZN2at6native12_GLOBAL__N_124fused_dropout_kernel_vecIN3c108BFloat16EfmLi1ELi4EbEEvNS_4cuda6detail10TensorInfoIKT_T1_EENS7_IS8_SA_EENS7_IT4_SA_EESA_T0_NS_15PhiloxCudaStateE: ; @_ZN2at6native12_GLOBAL__N_124fused_dropout_kernel_vecIN3c108BFloat16EfmLi1ELi4EbEEvNS_4cuda6detail10TensorInfoIKT_T1_EENS7_IS8_SA_EENS7_IT4_SA_EESA_T0_NS_15PhiloxCudaStateE
; %bb.0:
	s_clause 0x1
	s_load_b128 s[4:7], s[0:1], 0x4f0
	s_load_b32 s2, s[0:1], 0x508
	s_waitcnt lgkmcnt(0)
	v_dual_mov_b32 v1, s6 :: v_dual_mov_b32 v2, s7
	v_dual_mov_b32 v10, s5 :: v_dual_mov_b32 v9, s4
	s_bitcmp0_b32 s2, 0
	s_cbranch_scc1 .LBB51_2
; %bb.1:
	v_dual_mov_b32 v1, s6 :: v_dual_mov_b32 v2, s7
	v_dual_mov_b32 v3, s4 :: v_dual_mov_b32 v4, s5
	s_load_b64 s[2:3], s[0:1], 0x500
	flat_load_b64 v[1:2], v[1:2]
	flat_load_b64 v[9:10], v[3:4]
	s_waitcnt vmcnt(1) lgkmcnt(0)
	v_add_co_u32 v1, vcc_lo, v1, s2
	v_add_co_ci_u32_e32 v2, vcc_lo, s3, v2, vcc_lo
.LBB51_2:
	s_clause 0x1
	s_load_b32 s6, s[0:1], 0x51c
	s_load_b64 s[4:5], s[0:1], 0x4e0
	s_add_u32 s2, s0, 0x510
	s_addc_u32 s3, s1, 0
	s_waitcnt lgkmcnt(0)
	s_and_b32 s12, s6, 0xffff
	s_mov_b32 s6, exec_lo
	v_mad_u64_u32 v[11:12], null, s15, s12, v[0:1]
	v_mov_b32_e32 v12, 0
	s_delay_alu instid0(VALU_DEP_1) | instskip(NEXT) | instid1(VALU_DEP_1)
	v_lshlrev_b64 v[13:14], 2, v[11:12]
	v_cmpx_gt_u64_e64 s[4:5], v[13:14]
	s_cbranch_execz .LBB51_15
; %bb.3:
	v_alignbit_b32 v19, v2, v1, 2
	v_mad_u64_u32 v[3:4], null, 0xcd9e8d57, v11, 0
	v_lshrrev_b32_e32 v20, 2, v2
	s_waitcnt vmcnt(0)
	v_dual_mov_b32 v36, v10 :: v_dual_and_b32 v37, 3, v1
	v_mad_u64_u32 v[5:6], null, 0xd2511f53, v19, 0
	v_add_co_u32 v22, null, 0x9e3779b9, v9
	v_xor3_b32 v0, v9, v4, v20
	s_delay_alu instid0(VALU_DEP_4) | instskip(SKIP_2) | instid1(VALU_DEP_4)
	v_add_co_u32 v21, null, 0xbb67ae85, v36
	v_add_co_u32 v23, null, 0x3c6ef372, v9
	v_xor_b32_e32 v2, v6, v10
	v_mad_u64_u32 v[6:7], null, 0xd2511f53, v0, 0
	v_add_co_u32 v24, null, 0x76cf5d0a, v36
	s_delay_alu instid0(VALU_DEP_3) | instskip(SKIP_1) | instid1(VALU_DEP_4)
	v_mad_u64_u32 v[15:16], null, 0xcd9e8d57, v2, 0
	v_add_co_u32 v25, null, 0x32370b8f, v36
	v_xor3_b32 v0, v21, v7, v5
	v_add_co_u32 v26, null, 0xdaa66d2b, v9
	s_load_b32 s16, s[0:1], 0x4e8
	s_delay_alu instid0(VALU_DEP_4) | instskip(NEXT) | instid1(VALU_DEP_3)
	v_xor3_b32 v7, v16, v22, v3
	v_mad_u64_u32 v[2:3], null, 0xcd9e8d57, v0, 0
	v_add_co_u32 v27, null, 0x78dde6e4, v9
	s_delay_alu instid0(VALU_DEP_3) | instskip(SKIP_1) | instid1(VALU_DEP_4)
	v_mad_u64_u32 v[4:5], null, 0xd2511f53, v7, 0
	v_add_co_u32 v28, null, 0xed9eba14, v36
	v_xor3_b32 v0, v23, v3, v15
	v_add_co_u32 v29, null, 0xa9066899, v36
	v_add_co_u32 v30, null, 0x1715609d, v9
	v_xor3_b32 v3, v5, v24, v6
	s_delay_alu instid0(VALU_DEP_4) | instskip(SKIP_1) | instid1(VALU_DEP_3)
	v_mad_u64_u32 v[5:6], null, 0xd2511f53, v0, 0
	v_add_co_u32 v31, null, 0xb54cda56, v9
	v_mad_u64_u32 v[7:8], null, 0xcd9e8d57, v3, 0
	v_add_co_u32 v33, null, 0x646e171e, v36
	s_delay_alu instid0(VALU_DEP_4) | instskip(SKIP_3) | instid1(VALU_DEP_4)
	v_xor3_b32 v0, v25, v6, v4
	v_add_co_u32 v32, null, 0x5384540f, v9
	v_add_co_u32 v34, null, 0x1fd5c5a3, v36
	v_xor3_b32 v4, v8, v26, v2
	v_mad_u64_u32 v[2:3], null, 0xcd9e8d57, v0, 0
	s_waitcnt lgkmcnt(0)
	v_div_scale_f32 v39, vcc_lo, 1.0, s16, 1.0
	s_delay_alu instid0(VALU_DEP_3)
	v_mad_u64_u32 v[15:16], null, 0xd2511f53, v4, 0
	s_clause 0x2
	s_load_b64 s[6:7], s[0:1], 0x0
	s_load_b64 s[8:9], s[0:1], 0x1a0
	;; [unrolled: 1-line block ×3, first 2 shown]
	s_load_b32 s0, s[2:3], 0x0
	v_xor3_b32 v0, v27, v3, v7
	v_add_co_u32 v35, null, 0xf1bbcdc8, v9
	v_add_co_u32 v36, null, 0xdb3d7428, v36
	v_xor3_b32 v7, v16, v28, v5
	s_delay_alu instid0(VALU_DEP_4) | instskip(SKIP_1) | instid1(VALU_DEP_3)
	v_mad_u64_u32 v[3:4], null, 0xd2511f53, v0, 0
	v_div_scale_f32 v0, null, s16, s16, 1.0
	v_mad_u64_u32 v[5:6], null, 0xcd9e8d57, v7, 0
	s_mov_b32 s13, 0
	s_delay_alu instid0(VALU_DEP_2) | instskip(NEXT) | instid1(VALU_DEP_3)
	v_rcp_f32_e32 v38, v0
	v_xor3_b32 v4, v29, v4, v15
	s_delay_alu instid0(VALU_DEP_2) | instskip(NEXT) | instid1(VALU_DEP_2)
	v_xor3_b32 v2, v6, v30, v2
	v_mad_u64_u32 v[6:7], null, 0xcd9e8d57, v4, 0
	s_waitcnt lgkmcnt(0)
	s_mul_i32 s0, s0, s12
	s_delay_alu instid0(VALU_DEP_2)
	v_mad_u64_u32 v[15:16], null, 0xd2511f53, v2, 0
	s_waitcnt_depctr 0xfff
	v_fma_f32 v2, -v0, v38, 1.0
	s_lshl_b32 s12, s0, 2
	v_xor3_b32 v4, v31, v7, v5
	s_lshl_b64 s[14:15], s[12:13], 1
	s_delay_alu instid0(VALU_DEP_2) | instskip(SKIP_1) | instid1(VALU_DEP_3)
	v_fmac_f32_e32 v38, v2, v38
	v_xor3_b32 v7, v16, v33, v3
	v_mad_u64_u32 v[2:3], null, 0xd2511f53, v4, 0
	s_delay_alu instid0(VALU_DEP_3) | instskip(NEXT) | instid1(VALU_DEP_3)
	v_mul_f32_e32 v16, v39, v38
	v_mad_u64_u32 v[4:5], null, 0xcd9e8d57, v7, 0
	s_delay_alu instid0(VALU_DEP_3) | instskip(NEXT) | instid1(VALU_DEP_2)
	v_xor3_b32 v3, v34, v3, v15
	v_xor3_b32 v5, v5, v32, v6
	s_delay_alu instid0(VALU_DEP_2) | instskip(SKIP_1) | instid1(VALU_DEP_3)
	v_mad_u64_u32 v[7:8], null, 0xcd9e8d57, v3, 0
	v_fma_f32 v6, -v0, v16, v39
	v_mad_u64_u32 v[17:18], null, 0xd2511f53, v5, 0
	s_delay_alu instid0(VALU_DEP_2) | instskip(NEXT) | instid1(VALU_DEP_4)
	v_fmac_f32_e32 v16, v6, v38
	v_xor3_b32 v3, v35, v8, v4
	s_delay_alu instid0(VALU_DEP_3) | instskip(NEXT) | instid1(VALU_DEP_3)
	v_xor3_b32 v2, v18, v36, v2
	v_fma_f32 v4, -v0, v16, v39
	s_delay_alu instid0(VALU_DEP_3) | instskip(SKIP_1) | instid1(VALU_DEP_4)
	v_mad_u64_u32 v[0:1], null, 0xd2511f53, v3, 0
	v_add_nc_u32_e32 v39, 0x96a522ad, v10
	v_mad_u64_u32 v[5:6], null, 0xcd9e8d57, v2, 0
	s_delay_alu instid0(VALU_DEP_4) | instskip(SKIP_2) | instid1(VALU_DEP_3)
	v_div_fmas_f32 v2, v4, v38, v16
	v_add_nc_u32_e32 v38, 0x8ff34781, v9
	v_lshlrev_b64 v[15:16], 3, v[11:12]
	v_div_fixup_f32 v40, v2, s16, 1.0
	s_delay_alu instid0(VALU_DEP_3)
	v_xor3_b32 v4, v7, v6, v38
	v_mov_b32_e32 v7, v0
	v_xor3_b32 v6, v1, v17, v39
	s_branch .LBB51_6
.LBB51_4:                               ;   in Loop: Header=BB51_6 Depth=1
	s_or_b32 exec_lo, exec_lo, s1
.LBB51_5:                               ;   in Loop: Header=BB51_6 Depth=1
	s_delay_alu instid0(SALU_CYCLE_1)
	s_or_b32 exec_lo, exec_lo, s0
	v_add_co_u32 v41, vcc_lo, s6, v15
	v_add_co_ci_u32_e32 v42, vcc_lo, s7, v16, vcc_lo
	v_cvt_f32_u32_e32 v4, v4
	v_mov_b32_e32 v3, v17
	v_add_co_u32 v17, vcc_lo, s10, v13
	global_load_b64 v[41:42], v[41:42], off
	v_fmaak_f32 v4, 0x2f800000, v4, 0x2f800000
	v_cvt_f32_u32_e32 v5, v5
	v_cvt_f32_u32_e32 v6, v6
	v_add_co_ci_u32_e32 v18, vcc_lo, s11, v14, vcc_lo
	v_add_co_u32 v13, vcc_lo, v13, s12
	v_add_co_ci_u32_e32 v14, vcc_lo, 0, v14, vcc_lo
	s_delay_alu instid0(VALU_DEP_4) | instskip(SKIP_2) | instid1(VALU_DEP_3)
	v_dual_fmaak_f32 v5, 0x2f800000, v5, 0x2f800000 :: v_dual_fmaak_f32 v6, 0x2f800000, v6, 0x2f800000
	v_cmp_gt_f32_e32 vcc_lo, s16, v4
	v_cvt_f32_u32_e32 v7, v7
	v_cmp_gt_f32_e64 s0, s16, v5
	s_delay_alu instid0(VALU_DEP_4) | instskip(SKIP_2) | instid1(VALU_DEP_4)
	v_cmp_gt_f32_e64 s1, s16, v6
	v_cndmask_b32_e64 v4, 0, 1.0, vcc_lo
	v_cndmask_b32_e64 v43, 0, 1, vcc_lo
	v_cndmask_b32_e64 v8, 0, 1, s0
	s_delay_alu instid0(VALU_DEP_4) | instskip(SKIP_2) | instid1(VALU_DEP_4)
	v_cndmask_b32_e64 v6, 0, 1.0, s1
	v_cndmask_b32_e64 v5, 0, 1.0, s0
	v_cndmask_b32_e64 v44, 0, 1, s1
	v_lshlrev_b16 v8, 8, v8
	s_delay_alu instid0(VALU_DEP_1) | instskip(NEXT) | instid1(VALU_DEP_1)
	v_or_b32_e32 v8, v43, v8
	v_and_b32_e32 v8, 0xffff, v8
	s_waitcnt vmcnt(0)
	v_alignbit_b32 v45, v42, v41, 16
	v_lshlrev_b32_e32 v47, 16, v41
	s_delay_alu instid0(VALU_DEP_1) | instskip(NEXT) | instid1(VALU_DEP_1)
	v_dual_mul_f32 v4, v4, v47 :: v_dual_and_b32 v45, 0xffff0000, v45
	v_dual_fmaak_f32 v7, 0x2f800000, v7, 0x2f800000 :: v_dual_mul_f32 v6, v6, v45
	v_and_b32_e32 v41, 0xffff0000, v41
	s_delay_alu instid0(VALU_DEP_2) | instskip(NEXT) | instid1(VALU_DEP_4)
	v_cmp_gt_f32_e64 s2, s16, v7
	v_mul_f32_e32 v4, v40, v4
	s_delay_alu instid0(VALU_DEP_4) | instskip(NEXT) | instid1(VALU_DEP_4)
	v_mul_f32_e32 v6, v40, v6
	v_dual_mul_f32 v5, v5, v41 :: v_dual_and_b32 v42, 0xffff0000, v42
	s_delay_alu instid0(VALU_DEP_4) | instskip(SKIP_2) | instid1(VALU_DEP_3)
	v_cndmask_b32_e64 v7, 0, 1.0, s2
	v_cndmask_b32_e64 v46, 0, 1, s2
	v_bfe_u32 v43, v4, 16, 1
	v_mul_f32_e32 v7, v7, v42
	s_delay_alu instid0(VALU_DEP_3) | instskip(NEXT) | instid1(VALU_DEP_3)
	v_lshlrev_b16 v46, 8, v46
	v_add3_u32 v43, v4, v43, 0x7fff
	s_delay_alu instid0(VALU_DEP_2) | instskip(NEXT) | instid1(VALU_DEP_4)
	v_or_b32_e32 v41, v44, v46
	v_mul_f32_e32 v7, v40, v7
	v_bfe_u32 v44, v6, 16, 1
	s_delay_alu instid0(VALU_DEP_3) | instskip(NEXT) | instid1(VALU_DEP_3)
	v_lshlrev_b32_e32 v46, 16, v41
	v_bfe_u32 v42, v7, 16, 1
	s_delay_alu instid0(VALU_DEP_3) | instskip(SKIP_1) | instid1(VALU_DEP_4)
	v_add3_u32 v44, v6, v44, 0x7fff
	v_cmp_o_f32_e32 vcc_lo, v7, v7
	v_or_b32_e32 v8, v8, v46
	s_delay_alu instid0(VALU_DEP_4) | instskip(NEXT) | instid1(VALU_DEP_1)
	v_add3_u32 v42, v7, v42, 0x7fff
	v_and_b32_e32 v41, 0xffff0000, v42
	v_lshrrev_b32_e32 v42, 16, v43
	v_lshrrev_b32_e32 v43, 16, v44
	s_delay_alu instid0(VALU_DEP_3) | instskip(SKIP_1) | instid1(VALU_DEP_3)
	v_cndmask_b32_e32 v7, 0x7fc00000, v41, vcc_lo
	v_cmp_o_f32_e32 vcc_lo, v6, v6
	v_dual_mul_f32 v5, v40, v5 :: v_dual_cndmask_b32 v6, 0x7fc0, v43
	s_delay_alu instid0(VALU_DEP_1) | instskip(SKIP_1) | instid1(VALU_DEP_3)
	v_bfe_u32 v45, v5, 16, 1
	v_cmp_o_f32_e32 vcc_lo, v5, v5
	v_or_b32_e32 v6, v7, v6
	s_delay_alu instid0(VALU_DEP_3) | instskip(NEXT) | instid1(VALU_DEP_1)
	v_add3_u32 v45, v5, v45, 0x7fff
	v_and_b32_e32 v44, 0xffff0000, v45
	s_delay_alu instid0(VALU_DEP_1)
	v_cndmask_b32_e32 v5, 0x7fc00000, v44, vcc_lo
	v_cmp_o_f32_e32 vcc_lo, v4, v4
	v_or3_b32 v44, v6, 0, 0
	v_cndmask_b32_e32 v4, 0x7fc0, v42, vcc_lo
	v_add_co_u32 v41, vcc_lo, s8, v15
	v_add_co_ci_u32_e32 v42, vcc_lo, s9, v16, vcc_lo
	v_cmp_le_u64_e32 vcc_lo, s[4:5], v[13:14]
	v_add_co_u32 v15, s0, v15, s14
	v_or3_b32 v43, 0, v5, v4
	v_mov_b32_e32 v7, v3
	v_mov_b32_e32 v5, v1
	v_add_co_ci_u32_e64 v16, s0, s15, v16, s0
	v_mov_b32_e32 v6, v2
	v_mov_b32_e32 v4, v0
	s_or_b32 s13, vcc_lo, s13
	global_store_b64 v[41:42], v[43:44], off
	global_store_b32 v[17:18], v8, off
	s_waitcnt_vscnt null, 0x0
	s_barrier
	buffer_gl0_inv
	s_and_not1_b32 exec_lo, exec_lo, s13
	s_cbranch_execz .LBB51_15
.LBB51_6:                               ; =>This Inner Loop Header: Depth=1
	v_add_co_u32 v19, vcc_lo, v19, 1
	s_delay_alu instid0(VALU_DEP_1) | instskip(SKIP_2) | instid1(VALU_DEP_1)
	v_cndmask_b32_e64 v0, 0, 1, vcc_lo
	v_add_co_ci_u32_e32 v20, vcc_lo, 0, v20, vcc_lo
	s_mov_b32 s0, exec_lo
	v_cmp_eq_u32_e32 vcc_lo, 0, v20
	s_delay_alu instid0(VALU_DEP_3) | instskip(NEXT) | instid1(VALU_DEP_1)
	v_cndmask_b32_e32 v0, 0, v0, vcc_lo
	v_add_nc_u32_e32 v11, v0, v11
	s_delay_alu instid0(VALU_DEP_1) | instskip(SKIP_2) | instid1(VALU_DEP_2)
	v_cmp_eq_u32_e32 vcc_lo, 0, v11
	v_cndmask_b32_e32 v0, 0, v0, vcc_lo
	v_mad_u64_u32 v[2:3], null, 0xcd9e8d57, v11, 0
	v_add_nc_u32_e32 v12, v0, v12
	v_mad_u64_u32 v[0:1], null, 0xd2511f53, v19, 0
	s_delay_alu instid0(VALU_DEP_3) | instskip(NEXT) | instid1(VALU_DEP_2)
	v_xor3_b32 v3, v3, v9, v20
	v_xor_b32_e32 v1, v1, v10
	s_delay_alu instid0(VALU_DEP_2) | instskip(NEXT) | instid1(VALU_DEP_2)
	v_mad_u64_u32 v[17:18], null, 0xd2511f53, v3, 0
	v_xor_b32_e32 v1, v12, v1
	s_delay_alu instid0(VALU_DEP_2) | instskip(NEXT) | instid1(VALU_DEP_2)
	v_xor3_b32 v3, v21, v18, v0
	v_mad_u64_u32 v[41:42], null, 0xcd9e8d57, v1, 0
	s_delay_alu instid0(VALU_DEP_2) | instskip(NEXT) | instid1(VALU_DEP_2)
	v_mad_u64_u32 v[0:1], null, 0xcd9e8d57, v3, 0
	v_xor3_b32 v8, v22, v42, v2
	s_delay_alu instid0(VALU_DEP_2) | instskip(NEXT) | instid1(VALU_DEP_2)
	v_xor3_b32 v1, v23, v1, v41
	v_mad_u64_u32 v[2:3], null, 0xd2511f53, v8, 0
	s_delay_alu instid0(VALU_DEP_1) | instskip(NEXT) | instid1(VALU_DEP_3)
	v_xor3_b32 v3, v24, v3, v17
	v_mad_u64_u32 v[17:18], null, 0xd2511f53, v1, 0
	s_delay_alu instid0(VALU_DEP_2) | instskip(NEXT) | instid1(VALU_DEP_2)
	v_mad_u64_u32 v[41:42], null, 0xcd9e8d57, v3, 0
	v_xor3_b32 v2, v25, v18, v2
	s_delay_alu instid0(VALU_DEP_2) | instskip(NEXT) | instid1(VALU_DEP_2)
	v_xor3_b32 v8, v26, v42, v0
	v_mad_u64_u32 v[0:1], null, 0xcd9e8d57, v2, 0
	s_delay_alu instid0(VALU_DEP_2) | instskip(NEXT) | instid1(VALU_DEP_2)
	v_mad_u64_u32 v[2:3], null, 0xd2511f53, v8, 0
	v_xor3_b32 v1, v27, v1, v41
	s_delay_alu instid0(VALU_DEP_2) | instskip(NEXT) | instid1(VALU_DEP_2)
	;; [unrolled: 6-line block ×7, first 2 shown]
	v_xor3_b32 v0, v2, v0, v38
	v_mov_b32_e32 v2, v8
	v_cmpx_lt_i32_e32 1, v37
	s_xor_b32 s0, exec_lo, s0
	s_cbranch_execz .LBB51_12
; %bb.7:                                ;   in Loop: Header=BB51_6 Depth=1
	s_mov_b32 s1, exec_lo
	v_cmpx_lt_i32_e32 2, v37
	s_xor_b32 s1, exec_lo, s1
; %bb.8:                                ;   in Loop: Header=BB51_6 Depth=1
	v_dual_mov_b32 v5, v7 :: v_dual_mov_b32 v6, v0
	v_mov_b32_e32 v7, v1
	s_delay_alu instid0(VALU_DEP_2) | instskip(NEXT) | instid1(VALU_DEP_3)
	v_mov_b32_e32 v4, v5
	v_mov_b32_e32 v5, v6
	s_delay_alu instid0(VALU_DEP_3)
	v_mov_b32_e32 v6, v7
	v_mov_b32_e32 v7, v8
; %bb.9:                                ;   in Loop: Header=BB51_6 Depth=1
	s_and_not1_saveexec_b32 s1, s1
; %bb.10:                               ;   in Loop: Header=BB51_6 Depth=1
	s_delay_alu instid0(VALU_DEP_1)
	v_dual_mov_b32 v4, v6 :: v_dual_mov_b32 v5, v7
	v_dual_mov_b32 v6, v0 :: v_dual_mov_b32 v7, v1
; %bb.11:                               ;   in Loop: Header=BB51_6 Depth=1
	s_or_b32 exec_lo, exec_lo, s1
.LBB51_12:                              ;   in Loop: Header=BB51_6 Depth=1
	s_and_not1_saveexec_b32 s0, s0
	s_cbranch_execz .LBB51_5
; %bb.13:                               ;   in Loop: Header=BB51_6 Depth=1
	s_mov_b32 s1, exec_lo
	v_cmpx_eq_u32_e32 1, v37
	s_cbranch_execz .LBB51_4
; %bb.14:                               ;   in Loop: Header=BB51_6 Depth=1
	v_dual_mov_b32 v4, v5 :: v_dual_mov_b32 v5, v6
	v_dual_mov_b32 v6, v7 :: v_dual_mov_b32 v7, v0
	s_branch .LBB51_4
.LBB51_15:
	s_endpgm
	.section	.rodata,"a",@progbits
	.p2align	6, 0x0
	.amdhsa_kernel _ZN2at6native12_GLOBAL__N_124fused_dropout_kernel_vecIN3c108BFloat16EfmLi1ELi4EbEEvNS_4cuda6detail10TensorInfoIKT_T1_EENS7_IS8_SA_EENS7_IT4_SA_EESA_T0_NS_15PhiloxCudaStateE
		.amdhsa_group_segment_fixed_size 0
		.amdhsa_private_segment_fixed_size 0
		.amdhsa_kernarg_size 1552
		.amdhsa_user_sgpr_count 15
		.amdhsa_user_sgpr_dispatch_ptr 0
		.amdhsa_user_sgpr_queue_ptr 0
		.amdhsa_user_sgpr_kernarg_segment_ptr 1
		.amdhsa_user_sgpr_dispatch_id 0
		.amdhsa_user_sgpr_private_segment_size 0
		.amdhsa_wavefront_size32 1
		.amdhsa_uses_dynamic_stack 0
		.amdhsa_enable_private_segment 0
		.amdhsa_system_sgpr_workgroup_id_x 1
		.amdhsa_system_sgpr_workgroup_id_y 0
		.amdhsa_system_sgpr_workgroup_id_z 0
		.amdhsa_system_sgpr_workgroup_info 0
		.amdhsa_system_vgpr_workitem_id 0
		.amdhsa_next_free_vgpr 48
		.amdhsa_next_free_sgpr 17
		.amdhsa_reserve_vcc 1
		.amdhsa_float_round_mode_32 0
		.amdhsa_float_round_mode_16_64 0
		.amdhsa_float_denorm_mode_32 3
		.amdhsa_float_denorm_mode_16_64 3
		.amdhsa_dx10_clamp 1
		.amdhsa_ieee_mode 1
		.amdhsa_fp16_overflow 0
		.amdhsa_workgroup_processor_mode 1
		.amdhsa_memory_ordered 1
		.amdhsa_forward_progress 0
		.amdhsa_shared_vgpr_count 0
		.amdhsa_exception_fp_ieee_invalid_op 0
		.amdhsa_exception_fp_denorm_src 0
		.amdhsa_exception_fp_ieee_div_zero 0
		.amdhsa_exception_fp_ieee_overflow 0
		.amdhsa_exception_fp_ieee_underflow 0
		.amdhsa_exception_fp_ieee_inexact 0
		.amdhsa_exception_int_div_zero 0
	.end_amdhsa_kernel
	.section	.text._ZN2at6native12_GLOBAL__N_124fused_dropout_kernel_vecIN3c108BFloat16EfmLi1ELi4EbEEvNS_4cuda6detail10TensorInfoIKT_T1_EENS7_IS8_SA_EENS7_IT4_SA_EESA_T0_NS_15PhiloxCudaStateE,"axG",@progbits,_ZN2at6native12_GLOBAL__N_124fused_dropout_kernel_vecIN3c108BFloat16EfmLi1ELi4EbEEvNS_4cuda6detail10TensorInfoIKT_T1_EENS7_IS8_SA_EENS7_IT4_SA_EESA_T0_NS_15PhiloxCudaStateE,comdat
.Lfunc_end51:
	.size	_ZN2at6native12_GLOBAL__N_124fused_dropout_kernel_vecIN3c108BFloat16EfmLi1ELi4EbEEvNS_4cuda6detail10TensorInfoIKT_T1_EENS7_IS8_SA_EENS7_IT4_SA_EESA_T0_NS_15PhiloxCudaStateE, .Lfunc_end51-_ZN2at6native12_GLOBAL__N_124fused_dropout_kernel_vecIN3c108BFloat16EfmLi1ELi4EbEEvNS_4cuda6detail10TensorInfoIKT_T1_EENS7_IS8_SA_EENS7_IT4_SA_EESA_T0_NS_15PhiloxCudaStateE
                                        ; -- End function
	.section	.AMDGPU.csdata,"",@progbits
; Kernel info:
; codeLenInByte = 2372
; NumSgprs: 19
; NumVgprs: 48
; ScratchSize: 0
; MemoryBound: 0
; FloatMode: 240
; IeeeMode: 1
; LDSByteSize: 0 bytes/workgroup (compile time only)
; SGPRBlocks: 2
; VGPRBlocks: 5
; NumSGPRsForWavesPerEU: 19
; NumVGPRsForWavesPerEU: 48
; Occupancy: 16
; WaveLimiterHint : 1
; COMPUTE_PGM_RSRC2:SCRATCH_EN: 0
; COMPUTE_PGM_RSRC2:USER_SGPR: 15
; COMPUTE_PGM_RSRC2:TRAP_HANDLER: 0
; COMPUTE_PGM_RSRC2:TGID_X_EN: 1
; COMPUTE_PGM_RSRC2:TGID_Y_EN: 0
; COMPUTE_PGM_RSRC2:TGID_Z_EN: 0
; COMPUTE_PGM_RSRC2:TIDIG_COMP_CNT: 0
	.section	.text._ZN2at6native12_GLOBAL__N_124fused_dropout_kernel_vecIN3c108BFloat16EfmLi1ELi2EbEEvNS_4cuda6detail10TensorInfoIKT_T1_EENS7_IS8_SA_EENS7_IT4_SA_EESA_T0_NS_15PhiloxCudaStateE,"axG",@progbits,_ZN2at6native12_GLOBAL__N_124fused_dropout_kernel_vecIN3c108BFloat16EfmLi1ELi2EbEEvNS_4cuda6detail10TensorInfoIKT_T1_EENS7_IS8_SA_EENS7_IT4_SA_EESA_T0_NS_15PhiloxCudaStateE,comdat
	.globl	_ZN2at6native12_GLOBAL__N_124fused_dropout_kernel_vecIN3c108BFloat16EfmLi1ELi2EbEEvNS_4cuda6detail10TensorInfoIKT_T1_EENS7_IS8_SA_EENS7_IT4_SA_EESA_T0_NS_15PhiloxCudaStateE ; -- Begin function _ZN2at6native12_GLOBAL__N_124fused_dropout_kernel_vecIN3c108BFloat16EfmLi1ELi2EbEEvNS_4cuda6detail10TensorInfoIKT_T1_EENS7_IS8_SA_EENS7_IT4_SA_EESA_T0_NS_15PhiloxCudaStateE
	.p2align	8
	.type	_ZN2at6native12_GLOBAL__N_124fused_dropout_kernel_vecIN3c108BFloat16EfmLi1ELi2EbEEvNS_4cuda6detail10TensorInfoIKT_T1_EENS7_IS8_SA_EENS7_IT4_SA_EESA_T0_NS_15PhiloxCudaStateE,@function
_ZN2at6native12_GLOBAL__N_124fused_dropout_kernel_vecIN3c108BFloat16EfmLi1ELi2EbEEvNS_4cuda6detail10TensorInfoIKT_T1_EENS7_IS8_SA_EENS7_IT4_SA_EESA_T0_NS_15PhiloxCudaStateE: ; @_ZN2at6native12_GLOBAL__N_124fused_dropout_kernel_vecIN3c108BFloat16EfmLi1ELi2EbEEvNS_4cuda6detail10TensorInfoIKT_T1_EENS7_IS8_SA_EENS7_IT4_SA_EESA_T0_NS_15PhiloxCudaStateE
; %bb.0:
	s_clause 0x1
	s_load_b128 s[4:7], s[0:1], 0x4f0
	s_load_b32 s2, s[0:1], 0x508
	s_waitcnt lgkmcnt(0)
	v_dual_mov_b32 v1, s6 :: v_dual_mov_b32 v2, s7
	v_dual_mov_b32 v9, s5 :: v_dual_mov_b32 v8, s4
	s_bitcmp0_b32 s2, 0
	s_cbranch_scc1 .LBB52_2
; %bb.1:
	v_dual_mov_b32 v1, s6 :: v_dual_mov_b32 v2, s7
	v_dual_mov_b32 v3, s4 :: v_dual_mov_b32 v4, s5
	s_load_b64 s[2:3], s[0:1], 0x500
	flat_load_b64 v[1:2], v[1:2]
	flat_load_b64 v[8:9], v[3:4]
	s_waitcnt vmcnt(1) lgkmcnt(0)
	v_add_co_u32 v1, vcc_lo, v1, s2
	v_add_co_ci_u32_e32 v2, vcc_lo, s3, v2, vcc_lo
.LBB52_2:
	s_clause 0x1
	s_load_b32 s4, s[0:1], 0x51c
	s_load_b64 s[2:3], s[0:1], 0x4e0
	s_add_u32 s10, s0, 0x510
	s_addc_u32 s11, s1, 0
	s_waitcnt lgkmcnt(0)
	s_and_b32 s12, s4, 0xffff
	s_mov_b32 s4, exec_lo
	v_mad_u64_u32 v[10:11], null, s15, s12, v[0:1]
	v_mov_b32_e32 v11, 0
	s_delay_alu instid0(VALU_DEP_1) | instskip(NEXT) | instid1(VALU_DEP_1)
	v_lshlrev_b64 v[12:13], 1, v[10:11]
	v_cmpx_gt_u64_e64 s[2:3], v[12:13]
	s_cbranch_execz .LBB52_15
; %bb.3:
	v_alignbit_b32 v18, v2, v1, 2
	v_mad_u64_u32 v[3:4], null, 0xcd9e8d57, v10, 0
	v_lshrrev_b32_e32 v19, 2, v2
	s_waitcnt vmcnt(0)
	v_mov_b32_e32 v16, v9
	v_mad_u64_u32 v[5:6], null, 0xd2511f53, v18, 0
	v_add_co_u32 v21, null, 0x9e3779b9, v8
	v_xor3_b32 v0, v8, v4, v19
	s_delay_alu instid0(VALU_DEP_4) | instskip(SKIP_2) | instid1(VALU_DEP_4)
	v_add_co_u32 v20, null, 0xbb67ae85, v16
	v_add_co_u32 v22, null, 0x3c6ef372, v8
	v_xor_b32_e32 v2, v6, v9
	v_mad_u64_u32 v[6:7], null, 0xd2511f53, v0, 0
	v_add_co_u32 v23, null, 0x76cf5d0a, v16
	s_delay_alu instid0(VALU_DEP_3) | instskip(SKIP_1) | instid1(VALU_DEP_4)
	v_mad_u64_u32 v[14:15], null, 0xcd9e8d57, v2, 0
	v_add_co_u32 v24, null, 0x32370b8f, v16
	v_xor3_b32 v0, v20, v7, v5
	v_add_co_u32 v25, null, 0xdaa66d2b, v8
	s_load_b32 s14, s[0:1], 0x4e8
	s_delay_alu instid0(VALU_DEP_4) | instskip(NEXT) | instid1(VALU_DEP_3)
	v_xor3_b32 v7, v15, v21, v3
	v_mad_u64_u32 v[2:3], null, 0xcd9e8d57, v0, 0
	v_add_co_u32 v26, null, 0x78dde6e4, v8
	s_delay_alu instid0(VALU_DEP_3) | instskip(SKIP_1) | instid1(VALU_DEP_4)
	v_mad_u64_u32 v[4:5], null, 0xd2511f53, v7, 0
	v_add_co_u32 v27, null, 0xed9eba14, v16
	v_xor3_b32 v0, v22, v3, v14
	v_add_co_u32 v28, null, 0xa9066899, v16
	v_add_co_u32 v29, null, 0x1715609d, v8
	v_xor3_b32 v3, v5, v23, v6
	s_delay_alu instid0(VALU_DEP_4) | instskip(SKIP_1) | instid1(VALU_DEP_3)
	v_mad_u64_u32 v[5:6], null, 0xd2511f53, v0, 0
	v_add_co_u32 v30, null, 0xb54cda56, v8
	v_mad_u64_u32 v[14:15], null, 0xcd9e8d57, v3, 0
	v_add_co_u32 v31, null, 0x5384540f, v8
	s_delay_alu instid0(VALU_DEP_4)
	v_xor3_b32 v0, v24, v6, v4
	s_waitcnt lgkmcnt(0)
	v_div_scale_f32 v37, vcc_lo, 1.0, s14, 1.0
	v_add_co_u32 v34, null, 0xf1bbcdc8, v8
	v_xor3_b32 v4, v15, v25, v2
	v_mad_u64_u32 v[2:3], null, 0xcd9e8d57, v0, 0
	s_clause 0x2
	s_load_b64 s[4:5], s[0:1], 0x0
	s_load_b64 s[6:7], s[0:1], 0x1a0
	;; [unrolled: 1-line block ×3, first 2 shown]
	s_load_b32 s0, s[10:11], 0x0
	v_mad_u64_u32 v[6:7], null, 0xd2511f53, v4, 0
	v_and_b32_e32 v36, 3, v1
	s_mov_b32 s11, 0
	v_xor3_b32 v0, v26, v3, v14
	s_delay_alu instid0(VALU_DEP_3) | instskip(NEXT) | instid1(VALU_DEP_2)
	v_xor3_b32 v5, v7, v27, v5
	v_mad_u64_u32 v[3:4], null, 0xd2511f53, v0, 0
	v_div_scale_f32 v0, null, s14, s14, 1.0
	s_delay_alu instid0(VALU_DEP_3) | instskip(NEXT) | instid1(VALU_DEP_2)
	v_mad_u64_u32 v[14:15], null, 0xcd9e8d57, v5, 0
	v_rcp_f32_e32 v17, v0
	s_delay_alu instid0(VALU_DEP_3) | instskip(SKIP_2) | instid1(VALU_DEP_2)
	v_xor3_b32 v6, v28, v4, v6
	s_waitcnt lgkmcnt(0)
	s_mul_i32 s0, s0, s12
	v_xor3_b32 v2, v15, v29, v2
	s_delay_alu instid0(VALU_DEP_2) | instskip(SKIP_1) | instid1(VALU_DEP_2)
	v_mad_u64_u32 v[4:5], null, 0xcd9e8d57, v6, 0
	s_lshl_b32 s10, s0, 1
	v_mad_u64_u32 v[6:7], null, 0xd2511f53, v2, 0
	s_waitcnt_depctr 0xfff
	v_fma_f32 v2, -v0, v17, 1.0
	s_lshl_b64 s[12:13], s[10:11], 1
	v_xor3_b32 v5, v30, v5, v14
	s_delay_alu instid0(VALU_DEP_2) | instskip(SKIP_2) | instid1(VALU_DEP_3)
	v_fmac_f32_e32 v17, v2, v17
	v_add_co_u32 v32, null, 0x646e171e, v16
	v_add_co_u32 v33, null, 0x1fd5c5a3, v16
	v_mul_f32_e32 v38, v37, v17
	s_delay_alu instid0(VALU_DEP_3) | instskip(SKIP_2) | instid1(VALU_DEP_3)
	v_xor3_b32 v7, v7, v32, v3
	v_mad_u64_u32 v[2:3], null, 0xd2511f53, v5, 0
	v_add_co_u32 v35, null, 0xdb3d7428, v16
	v_mad_u64_u32 v[14:15], null, 0xcd9e8d57, v7, 0
	s_delay_alu instid0(VALU_DEP_3) | instskip(NEXT) | instid1(VALU_DEP_2)
	v_xor3_b32 v5, v33, v3, v6
	v_xor3_b32 v7, v15, v31, v4
	s_delay_alu instid0(VALU_DEP_2) | instskip(SKIP_1) | instid1(VALU_DEP_3)
	v_mad_u64_u32 v[3:4], null, 0xcd9e8d57, v5, 0
	v_fma_f32 v15, -v0, v38, v37
	v_mad_u64_u32 v[5:6], null, 0xd2511f53, v7, 0
	s_delay_alu instid0(VALU_DEP_3) | instskip(NEXT) | instid1(VALU_DEP_2)
	v_xor3_b32 v4, v34, v4, v14
	v_xor3_b32 v14, v6, v35, v2
	s_delay_alu instid0(VALU_DEP_2) | instskip(SKIP_1) | instid1(VALU_DEP_3)
	v_mad_u64_u32 v[6:7], null, 0xd2511f53, v4, 0
	v_fmac_f32_e32 v38, v15, v17
	v_mad_u64_u32 v[1:2], null, 0xcd9e8d57, v14, 0
	v_lshlrev_b64 v[14:15], 2, v[10:11]
	s_delay_alu instid0(VALU_DEP_3) | instskip(SKIP_1) | instid1(VALU_DEP_2)
	v_fma_f32 v0, -v0, v38, v37
	v_add_nc_u32_e32 v37, 0x8ff34781, v8
	v_div_fmas_f32 v0, v0, v17, v38
	v_add_nc_u32_e32 v38, 0x96a522ad, v9
	s_delay_alu instid0(VALU_DEP_2) | instskip(NEXT) | instid1(VALU_DEP_4)
	v_div_fixup_f32 v39, v0, s14, 1.0
	v_xor3_b32 v0, v3, v2, v37
	v_mov_b32_e32 v3, v6
	s_delay_alu instid0(VALU_DEP_4)
	v_xor3_b32 v2, v7, v5, v38
	s_branch .LBB52_6
.LBB52_4:                               ;   in Loop: Header=BB52_6 Depth=1
	s_or_b32 exec_lo, exec_lo, s1
.LBB52_5:                               ;   in Loop: Header=BB52_6 Depth=1
	s_delay_alu instid0(SALU_CYCLE_1)
	s_or_b32 exec_lo, exec_lo, s0
	v_add_co_u32 v2, vcc_lo, s4, v14
	v_add_co_ci_u32_e32 v3, vcc_lo, s5, v15, vcc_lo
	v_cvt_f32_u32_e32 v0, v0
	v_cvt_f32_u32_e32 v1, v1
	global_load_b32 v2, v[2:3], off
	v_dual_fmaak_f32 v0, 0x2f800000, v0, 0x2f800000 :: v_dual_fmaak_f32 v1, 0x2f800000, v1, 0x2f800000
	s_delay_alu instid0(VALU_DEP_1) | instskip(NEXT) | instid1(VALU_DEP_2)
	v_cmp_gt_f32_e32 vcc_lo, s14, v0
	v_cmp_gt_f32_e64 s0, s14, v1
	v_cndmask_b32_e64 v0, 0, 1.0, vcc_lo
	s_delay_alu instid0(VALU_DEP_2) | instskip(SKIP_2) | instid1(VALU_DEP_1)
	v_cndmask_b32_e64 v1, 0, 1.0, s0
	v_cndmask_b32_e64 v42, 0, 1, vcc_lo
	v_cndmask_b32_e64 v40, 0, 1, s0
	v_lshlrev_b16 v43, 8, v40
	s_delay_alu instid0(VALU_DEP_1) | instskip(SKIP_3) | instid1(VALU_DEP_1)
	v_or_b32_e32 v42, v42, v43
	s_waitcnt vmcnt(0)
	v_lshlrev_b32_e32 v3, 16, v2
	v_and_b32_e32 v2, 0xffff0000, v2
	v_dual_mul_f32 v0, v0, v3 :: v_dual_mul_f32 v1, v1, v2
	s_delay_alu instid0(VALU_DEP_1) | instskip(NEXT) | instid1(VALU_DEP_2)
	v_mul_f32_e32 v0, v39, v0
	v_mul_f32_e32 v1, v39, v1
	s_delay_alu instid0(VALU_DEP_2) | instskip(NEXT) | instid1(VALU_DEP_2)
	v_bfe_u32 v2, v0, 16, 1
	v_bfe_u32 v3, v1, 16, 1
	v_cmp_o_f32_e32 vcc_lo, v1, v1
	s_delay_alu instid0(VALU_DEP_3) | instskip(NEXT) | instid1(VALU_DEP_3)
	v_add3_u32 v2, v0, v2, 0x7fff
	v_add3_u32 v3, v1, v3, 0x7fff
	s_delay_alu instid0(VALU_DEP_2) | instskip(NEXT) | instid1(VALU_DEP_2)
	v_lshrrev_b32_e32 v2, 16, v2
	v_and_b32_e32 v3, 0xffff0000, v3
	s_delay_alu instid0(VALU_DEP_1)
	v_cndmask_b32_e32 v1, 0x7fc00000, v3, vcc_lo
	v_cmp_o_f32_e32 vcc_lo, v0, v0
	v_mov_b32_e32 v7, v16
	v_add_co_u32 v16, s1, s8, v12
	v_add_co_u32 v12, s0, v12, s10
	v_cndmask_b32_e32 v0, 0x7fc0, v2, vcc_lo
	v_add_co_ci_u32_e64 v17, s1, s9, v13, s1
	v_add_co_ci_u32_e64 v13, s0, 0, v13, s0
	v_add_co_u32 v40, vcc_lo, s6, v14
	v_add_co_ci_u32_e32 v41, vcc_lo, s7, v15, vcc_lo
	s_delay_alu instid0(VALU_DEP_3)
	v_cmp_le_u64_e32 vcc_lo, s[2:3], v[12:13]
	v_add_co_u32 v14, s0, v14, s12
	v_or_b32_e32 v43, v1, v0
	v_dual_mov_b32 v0, v4 :: v_dual_mov_b32 v1, v5
	v_add_co_ci_u32_e64 v15, s0, s13, v15, s0
	v_dual_mov_b32 v2, v6 :: v_dual_mov_b32 v3, v7
	s_or_b32 s11, vcc_lo, s11
	global_store_b32 v[40:41], v43, off
	global_store_b16 v[16:17], v42, off
	s_waitcnt_vscnt null, 0x0
	s_barrier
	buffer_gl0_inv
	s_and_not1_b32 exec_lo, exec_lo, s11
	s_cbranch_execz .LBB52_15
.LBB52_6:                               ; =>This Inner Loop Header: Depth=1
	v_add_co_u32 v18, vcc_lo, v18, 1
	s_delay_alu instid0(VALU_DEP_1) | instskip(SKIP_2) | instid1(VALU_DEP_1)
	v_cndmask_b32_e64 v4, 0, 1, vcc_lo
	v_add_co_ci_u32_e32 v19, vcc_lo, 0, v19, vcc_lo
	s_mov_b32 s0, exec_lo
	v_cmp_eq_u32_e32 vcc_lo, 0, v19
	s_delay_alu instid0(VALU_DEP_3) | instskip(NEXT) | instid1(VALU_DEP_1)
	v_cndmask_b32_e32 v4, 0, v4, vcc_lo
	v_add_nc_u32_e32 v10, v4, v10
	s_delay_alu instid0(VALU_DEP_1) | instskip(SKIP_2) | instid1(VALU_DEP_2)
	v_cmp_eq_u32_e32 vcc_lo, 0, v10
	v_mad_u64_u32 v[6:7], null, 0xcd9e8d57, v10, 0
	v_cndmask_b32_e32 v4, 0, v4, vcc_lo
	v_xor3_b32 v7, v7, v8, v19
	s_delay_alu instid0(VALU_DEP_2) | instskip(SKIP_1) | instid1(VALU_DEP_3)
	v_add_nc_u32_e32 v11, v4, v11
	v_mad_u64_u32 v[4:5], null, 0xd2511f53, v18, 0
	v_mad_u64_u32 v[40:41], null, 0xd2511f53, v7, 0
	s_delay_alu instid0(VALU_DEP_2) | instskip(NEXT) | instid1(VALU_DEP_1)
	v_xor_b32_e32 v5, v5, v9
	v_xor_b32_e32 v5, v11, v5
	s_delay_alu instid0(VALU_DEP_1) | instskip(NEXT) | instid1(VALU_DEP_1)
	v_mad_u64_u32 v[16:17], null, 0xcd9e8d57, v5, 0
	v_xor3_b32 v6, v21, v17, v6
	v_xor3_b32 v17, v20, v41, v4
	s_delay_alu instid0(VALU_DEP_2) | instskip(NEXT) | instid1(VALU_DEP_2)
	v_mad_u64_u32 v[4:5], null, 0xd2511f53, v6, 0
	v_mad_u64_u32 v[6:7], null, 0xcd9e8d57, v17, 0
	s_delay_alu instid0(VALU_DEP_2) | instskip(NEXT) | instid1(VALU_DEP_2)
	v_xor3_b32 v5, v23, v5, v40
	v_xor3_b32 v7, v22, v7, v16
	s_delay_alu instid0(VALU_DEP_2) | instskip(NEXT) | instid1(VALU_DEP_2)
	v_mad_u64_u32 v[16:17], null, 0xcd9e8d57, v5, 0
	v_mad_u64_u32 v[40:41], null, 0xd2511f53, v7, 0
	s_delay_alu instid0(VALU_DEP_2) | instskip(NEXT) | instid1(VALU_DEP_2)
	;; [unrolled: 6-line block ×8, first 2 shown]
	v_xor3_b32 v4, v6, v4, v37
	v_xor3_b32 v6, v17, v41, v38
	v_cmpx_lt_i32_e32 1, v36
	s_xor_b32 s0, exec_lo, s0
	s_cbranch_execz .LBB52_12
; %bb.7:                                ;   in Loop: Header=BB52_6 Depth=1
	s_mov_b32 s1, exec_lo
	v_cmpx_lt_i32_e32 2, v36
	s_xor_b32 s1, exec_lo, s1
; %bb.8:                                ;   in Loop: Header=BB52_6 Depth=1
	v_dual_mov_b32 v0, v3 :: v_dual_mov_b32 v1, v4
; %bb.9:                                ;   in Loop: Header=BB52_6 Depth=1
	s_and_not1_saveexec_b32 s1, s1
; %bb.10:                               ;   in Loop: Header=BB52_6 Depth=1
	v_dual_mov_b32 v0, v2 :: v_dual_mov_b32 v1, v3
; %bb.11:                               ;   in Loop: Header=BB52_6 Depth=1
	s_or_b32 exec_lo, exec_lo, s1
.LBB52_12:                              ;   in Loop: Header=BB52_6 Depth=1
	s_and_not1_saveexec_b32 s0, s0
	s_cbranch_execz .LBB52_5
; %bb.13:                               ;   in Loop: Header=BB52_6 Depth=1
	s_mov_b32 s1, exec_lo
	v_cmpx_eq_u32_e32 1, v36
	s_cbranch_execz .LBB52_4
; %bb.14:                               ;   in Loop: Header=BB52_6 Depth=1
	v_dual_mov_b32 v0, v1 :: v_dual_mov_b32 v1, v2
	s_branch .LBB52_4
.LBB52_15:
	s_endpgm
	.section	.rodata,"a",@progbits
	.p2align	6, 0x0
	.amdhsa_kernel _ZN2at6native12_GLOBAL__N_124fused_dropout_kernel_vecIN3c108BFloat16EfmLi1ELi2EbEEvNS_4cuda6detail10TensorInfoIKT_T1_EENS7_IS8_SA_EENS7_IT4_SA_EESA_T0_NS_15PhiloxCudaStateE
		.amdhsa_group_segment_fixed_size 0
		.amdhsa_private_segment_fixed_size 0
		.amdhsa_kernarg_size 1552
		.amdhsa_user_sgpr_count 15
		.amdhsa_user_sgpr_dispatch_ptr 0
		.amdhsa_user_sgpr_queue_ptr 0
		.amdhsa_user_sgpr_kernarg_segment_ptr 1
		.amdhsa_user_sgpr_dispatch_id 0
		.amdhsa_user_sgpr_private_segment_size 0
		.amdhsa_wavefront_size32 1
		.amdhsa_uses_dynamic_stack 0
		.amdhsa_enable_private_segment 0
		.amdhsa_system_sgpr_workgroup_id_x 1
		.amdhsa_system_sgpr_workgroup_id_y 0
		.amdhsa_system_sgpr_workgroup_id_z 0
		.amdhsa_system_sgpr_workgroup_info 0
		.amdhsa_system_vgpr_workitem_id 0
		.amdhsa_next_free_vgpr 44
		.amdhsa_next_free_sgpr 16
		.amdhsa_reserve_vcc 1
		.amdhsa_float_round_mode_32 0
		.amdhsa_float_round_mode_16_64 0
		.amdhsa_float_denorm_mode_32 3
		.amdhsa_float_denorm_mode_16_64 3
		.amdhsa_dx10_clamp 1
		.amdhsa_ieee_mode 1
		.amdhsa_fp16_overflow 0
		.amdhsa_workgroup_processor_mode 1
		.amdhsa_memory_ordered 1
		.amdhsa_forward_progress 0
		.amdhsa_shared_vgpr_count 0
		.amdhsa_exception_fp_ieee_invalid_op 0
		.amdhsa_exception_fp_denorm_src 0
		.amdhsa_exception_fp_ieee_div_zero 0
		.amdhsa_exception_fp_ieee_overflow 0
		.amdhsa_exception_fp_ieee_underflow 0
		.amdhsa_exception_fp_ieee_inexact 0
		.amdhsa_exception_int_div_zero 0
	.end_amdhsa_kernel
	.section	.text._ZN2at6native12_GLOBAL__N_124fused_dropout_kernel_vecIN3c108BFloat16EfmLi1ELi2EbEEvNS_4cuda6detail10TensorInfoIKT_T1_EENS7_IS8_SA_EENS7_IT4_SA_EESA_T0_NS_15PhiloxCudaStateE,"axG",@progbits,_ZN2at6native12_GLOBAL__N_124fused_dropout_kernel_vecIN3c108BFloat16EfmLi1ELi2EbEEvNS_4cuda6detail10TensorInfoIKT_T1_EENS7_IS8_SA_EENS7_IT4_SA_EESA_T0_NS_15PhiloxCudaStateE,comdat
.Lfunc_end52:
	.size	_ZN2at6native12_GLOBAL__N_124fused_dropout_kernel_vecIN3c108BFloat16EfmLi1ELi2EbEEvNS_4cuda6detail10TensorInfoIKT_T1_EENS7_IS8_SA_EENS7_IT4_SA_EESA_T0_NS_15PhiloxCudaStateE, .Lfunc_end52-_ZN2at6native12_GLOBAL__N_124fused_dropout_kernel_vecIN3c108BFloat16EfmLi1ELi2EbEEvNS_4cuda6detail10TensorInfoIKT_T1_EENS7_IS8_SA_EENS7_IT4_SA_EESA_T0_NS_15PhiloxCudaStateE
                                        ; -- End function
	.section	.AMDGPU.csdata,"",@progbits
; Kernel info:
; codeLenInByte = 2056
; NumSgprs: 18
; NumVgprs: 44
; ScratchSize: 0
; MemoryBound: 0
; FloatMode: 240
; IeeeMode: 1
; LDSByteSize: 0 bytes/workgroup (compile time only)
; SGPRBlocks: 2
; VGPRBlocks: 5
; NumSGPRsForWavesPerEU: 18
; NumVGPRsForWavesPerEU: 44
; Occupancy: 16
; WaveLimiterHint : 1
; COMPUTE_PGM_RSRC2:SCRATCH_EN: 0
; COMPUTE_PGM_RSRC2:USER_SGPR: 15
; COMPUTE_PGM_RSRC2:TRAP_HANDLER: 0
; COMPUTE_PGM_RSRC2:TGID_X_EN: 1
; COMPUTE_PGM_RSRC2:TGID_Y_EN: 0
; COMPUTE_PGM_RSRC2:TGID_Z_EN: 0
; COMPUTE_PGM_RSRC2:TIDIG_COMP_CNT: 0
	.section	.text._ZN2at6native12_GLOBAL__N_120fused_dropout_kernelIN3c108BFloat16EfmLi1ELi1EbEEvNS_4cuda6detail10TensorInfoIKT_T1_EENS7_IS8_SA_EENS7_IT4_SA_EESA_T0_NS_15PhiloxCudaStateE,"axG",@progbits,_ZN2at6native12_GLOBAL__N_120fused_dropout_kernelIN3c108BFloat16EfmLi1ELi1EbEEvNS_4cuda6detail10TensorInfoIKT_T1_EENS7_IS8_SA_EENS7_IT4_SA_EESA_T0_NS_15PhiloxCudaStateE,comdat
	.globl	_ZN2at6native12_GLOBAL__N_120fused_dropout_kernelIN3c108BFloat16EfmLi1ELi1EbEEvNS_4cuda6detail10TensorInfoIKT_T1_EENS7_IS8_SA_EENS7_IT4_SA_EESA_T0_NS_15PhiloxCudaStateE ; -- Begin function _ZN2at6native12_GLOBAL__N_120fused_dropout_kernelIN3c108BFloat16EfmLi1ELi1EbEEvNS_4cuda6detail10TensorInfoIKT_T1_EENS7_IS8_SA_EENS7_IT4_SA_EESA_T0_NS_15PhiloxCudaStateE
	.p2align	8
	.type	_ZN2at6native12_GLOBAL__N_120fused_dropout_kernelIN3c108BFloat16EfmLi1ELi1EbEEvNS_4cuda6detail10TensorInfoIKT_T1_EENS7_IS8_SA_EENS7_IT4_SA_EESA_T0_NS_15PhiloxCudaStateE,@function
_ZN2at6native12_GLOBAL__N_120fused_dropout_kernelIN3c108BFloat16EfmLi1ELi1EbEEvNS_4cuda6detail10TensorInfoIKT_T1_EENS7_IS8_SA_EENS7_IT4_SA_EESA_T0_NS_15PhiloxCudaStateE: ; @_ZN2at6native12_GLOBAL__N_120fused_dropout_kernelIN3c108BFloat16EfmLi1ELi1EbEEvNS_4cuda6detail10TensorInfoIKT_T1_EENS7_IS8_SA_EENS7_IT4_SA_EESA_T0_NS_15PhiloxCudaStateE
; %bb.0:
	s_clause 0x1
	s_load_b128 s[4:7], s[0:1], 0x4f0
	s_load_b32 s2, s[0:1], 0x508
	s_waitcnt lgkmcnt(0)
	v_dual_mov_b32 v1, s6 :: v_dual_mov_b32 v2, s7
	v_dual_mov_b32 v12, s5 :: v_dual_mov_b32 v11, s4
	s_bitcmp0_b32 s2, 0
	s_mov_b32 s2, 0
	s_cbranch_scc1 .LBB53_2
; %bb.1:
	v_dual_mov_b32 v1, s6 :: v_dual_mov_b32 v2, s7
	v_dual_mov_b32 v3, s4 :: v_dual_mov_b32 v4, s5
	s_load_b64 s[4:5], s[0:1], 0x500
	flat_load_b64 v[1:2], v[1:2]
	flat_load_b64 v[11:12], v[3:4]
	s_waitcnt vmcnt(1) lgkmcnt(0)
	v_add_co_u32 v1, vcc_lo, v1, s4
	v_add_co_ci_u32_e32 v2, vcc_lo, s5, v2, vcc_lo
.LBB53_2:
	s_clause 0x2
	s_load_b32 s3, s[0:1], 0x51c
	s_load_b64 s[4:5], s[0:1], 0x4e0
	s_load_b32 s6, s[0:1], 0x510
	s_waitcnt lgkmcnt(0)
	s_and_b32 s7, s3, 0xffff
	s_add_u32 s8, s4, -1
	s_mul_i32 s20, s6, s7
	s_addc_u32 s3, s5, -1
	s_lshl_b32 s21, s20, 2
	s_cmp_lg_u64 s[2:3], 0
	s_cbranch_scc0 .LBB53_35
; %bb.3:
	v_cvt_f32_u32_e32 v3, s21
	s_sub_u32 s10, 0, s21
	s_subb_u32 s11, 0, 0
	s_delay_alu instid0(VALU_DEP_1) | instskip(NEXT) | instid1(VALU_DEP_1)
	v_fmamk_f32 v3, 0, 0x4f800000, v3
	v_rcp_f32_e32 v3, v3
	s_waitcnt_depctr 0xfff
	v_mul_f32_e32 v3, 0x5f7ffffc, v3
	s_delay_alu instid0(VALU_DEP_1) | instskip(NEXT) | instid1(VALU_DEP_1)
	v_mul_f32_e32 v4, 0x2f800000, v3
	v_trunc_f32_e32 v4, v4
	s_delay_alu instid0(VALU_DEP_1) | instskip(SKIP_1) | instid1(VALU_DEP_2)
	v_fmamk_f32 v3, v4, 0xcf800000, v3
	v_cvt_u32_f32_e32 v4, v4
	v_cvt_u32_f32_e32 v3, v3
	s_delay_alu instid0(VALU_DEP_2) | instskip(NEXT) | instid1(VALU_DEP_2)
	v_readfirstlane_b32 s2, v4
	v_readfirstlane_b32 s9, v3
	s_delay_alu instid0(VALU_DEP_2) | instskip(NEXT) | instid1(VALU_DEP_1)
	s_mul_i32 s12, s10, s2
	s_mul_hi_u32 s14, s10, s9
	s_mul_i32 s13, s11, s9
	s_add_i32 s12, s14, s12
	s_mul_i32 s16, s10, s9
	s_add_i32 s12, s12, s13
	s_mul_hi_u32 s14, s9, s16
	s_mul_hi_u32 s17, s2, s16
	s_mul_i32 s13, s2, s16
	s_mul_hi_u32 s16, s9, s12
	s_mul_i32 s9, s9, s12
	s_mul_hi_u32 s18, s2, s12
	s_add_u32 s9, s14, s9
	s_addc_u32 s14, 0, s16
	s_add_u32 s9, s9, s13
	s_mul_i32 s12, s2, s12
	s_addc_u32 s9, s14, s17
	s_addc_u32 s13, s18, 0
	s_add_u32 s9, s9, s12
	s_addc_u32 s12, 0, s13
	v_add_co_u32 v3, s9, v3, s9
	s_delay_alu instid0(VALU_DEP_1) | instskip(SKIP_1) | instid1(VALU_DEP_1)
	s_cmp_lg_u32 s9, 0
	s_addc_u32 s2, s2, s12
	v_readfirstlane_b32 s9, v3
	s_mul_i32 s12, s10, s2
	s_delay_alu instid0(VALU_DEP_1)
	s_mul_hi_u32 s13, s10, s9
	s_mul_i32 s11, s11, s9
	s_add_i32 s12, s13, s12
	s_mul_i32 s10, s10, s9
	s_add_i32 s12, s12, s11
	s_mul_hi_u32 s13, s2, s10
	s_mul_i32 s14, s2, s10
	s_mul_hi_u32 s10, s9, s10
	s_mul_hi_u32 s16, s9, s12
	s_mul_i32 s9, s9, s12
	s_mul_hi_u32 s11, s2, s12
	s_add_u32 s9, s10, s9
	s_addc_u32 s10, 0, s16
	s_add_u32 s9, s9, s14
	s_mul_i32 s12, s2, s12
	s_addc_u32 s9, s10, s13
	s_addc_u32 s10, s11, 0
	s_add_u32 s9, s9, s12
	s_addc_u32 s10, 0, s10
	v_add_co_u32 v3, s9, v3, s9
	s_delay_alu instid0(VALU_DEP_1) | instskip(SKIP_1) | instid1(VALU_DEP_1)
	s_cmp_lg_u32 s9, 0
	s_addc_u32 s2, s2, s10
	v_readfirstlane_b32 s9, v3
	s_mul_i32 s11, s8, s2
	s_mul_hi_u32 s10, s8, s2
	s_mul_hi_u32 s12, s3, s2
	s_mul_i32 s2, s3, s2
	s_mul_hi_u32 s13, s8, s9
	s_mul_hi_u32 s14, s3, s9
	s_mul_i32 s9, s3, s9
	s_add_u32 s11, s13, s11
	s_addc_u32 s10, 0, s10
	s_add_u32 s9, s11, s9
	s_addc_u32 s9, s10, s14
	s_addc_u32 s10, s12, 0
	s_add_u32 s2, s9, s2
	s_addc_u32 s10, 0, s10
	s_mul_i32 s11, s21, s2
	s_add_u32 s9, s2, 1
	v_sub_co_u32 v3, s11, s8, s11
	s_mul_hi_u32 s12, s21, s2
	s_addc_u32 s13, s10, 0
	s_mul_i32 s14, s21, s10
	s_delay_alu instid0(VALU_DEP_1)
	v_sub_co_u32 v4, s16, v3, s21
	s_add_u32 s17, s2, 2
	s_addc_u32 s18, s10, 0
	s_add_i32 s12, s12, s14
	s_cmp_lg_u32 s11, 0
	v_readfirstlane_b32 s11, v4
	s_subb_u32 s3, s3, s12
	s_cmp_lg_u32 s16, 0
	s_subb_u32 s12, s3, 0
	s_delay_alu instid0(VALU_DEP_1) | instskip(SKIP_4) | instid1(SALU_CYCLE_1)
	s_cmp_ge_u32 s11, s21
	s_cselect_b32 s11, -1, 0
	s_cmp_eq_u32 s12, 0
	v_readfirstlane_b32 s12, v3
	s_cselect_b32 s11, s11, -1
	s_cmp_lg_u32 s11, 0
	s_cselect_b32 s11, s17, s9
	s_cselect_b32 s13, s18, s13
	s_cmp_ge_u32 s12, s21
	s_cselect_b32 s9, -1, 0
	s_cmp_eq_u32 s3, 0
	s_cselect_b32 s3, s9, -1
	s_delay_alu instid0(SALU_CYCLE_1)
	s_cmp_lg_u32 s3, 0
	s_cselect_b32 s3, s13, s10
	s_cselect_b32 s2, s11, s2
	s_cbranch_execnz .LBB53_5
.LBB53_4:
	v_cvt_f32_u32_e32 v3, s21
	s_sub_i32 s3, 0, s21
	s_delay_alu instid0(VALU_DEP_1) | instskip(SKIP_2) | instid1(VALU_DEP_1)
	v_rcp_iflag_f32_e32 v3, v3
	s_waitcnt_depctr 0xfff
	v_mul_f32_e32 v3, 0x4f7ffffe, v3
	v_cvt_u32_f32_e32 v3, v3
	s_delay_alu instid0(VALU_DEP_1) | instskip(NEXT) | instid1(VALU_DEP_1)
	v_readfirstlane_b32 s2, v3
	s_mul_i32 s3, s3, s2
	s_delay_alu instid0(SALU_CYCLE_1) | instskip(NEXT) | instid1(SALU_CYCLE_1)
	s_mul_hi_u32 s3, s2, s3
	s_add_i32 s2, s2, s3
	s_delay_alu instid0(SALU_CYCLE_1) | instskip(NEXT) | instid1(SALU_CYCLE_1)
	s_mul_hi_u32 s2, s8, s2
	s_mul_i32 s3, s2, s21
	s_delay_alu instid0(SALU_CYCLE_1)
	s_sub_i32 s3, s8, s3
	s_add_i32 s8, s2, 1
	s_sub_i32 s9, s3, s21
	s_cmp_ge_u32 s3, s21
	s_cselect_b32 s2, s8, s2
	s_cselect_b32 s3, s9, s3
	s_add_i32 s8, s2, 1
	s_cmp_ge_u32 s3, s21
	s_mov_b32 s3, 0
	s_cselect_b32 s2, s8, s2
.LBB53_5:
	s_delay_alu instid0(SALU_CYCLE_1)
	s_add_u32 s2, s2, 1
	s_addc_u32 s3, s3, 0
	v_mad_u64_u32 v[13:14], null, s15, s7, v[0:1]
	s_mul_i32 s3, s20, s3
	s_mul_hi_u32 s8, s20, s2
	s_mul_hi_u32 s6, s6, s7
	s_add_i32 s3, s8, s3
	s_mul_i32 s6, s6, s2
	v_mov_b32_e32 v14, 0
	s_add_i32 s3, s3, s6
	s_mul_i32 s2, s20, s2
	s_delay_alu instid0(SALU_CYCLE_1)
	s_lshl_b64 s[6:7], s[2:3], 2
	s_mov_b32 s2, exec_lo
	v_cmpx_gt_u64_e64 s[6:7], v[13:14]
	s_cbranch_execz .LBB53_34
; %bb.6:
	v_alignbit_b32 v43, v2, v1, 2
	v_mad_u64_u32 v[3:4], null, 0xcd9e8d57, v13, 0
	v_lshrrev_b32_e32 v44, 2, v2
	s_waitcnt vmcnt(0)
	v_dual_mov_b32 v10, v12 :: v_dual_and_b32 v53, 3, v1
	v_mad_u64_u32 v[5:6], null, 0xd2511f53, v43, 0
	v_add_co_u32 v46, null, 0x9e3779b9, v11
	v_xor3_b32 v0, v11, v4, v44
	s_delay_alu instid0(VALU_DEP_4) | instskip(SKIP_2) | instid1(VALU_DEP_4)
	v_add_co_u32 v45, null, 0xbb67ae85, v10
	v_add_co_u32 v47, null, 0x3c6ef372, v11
	v_xor_b32_e32 v2, v6, v12
	v_mad_u64_u32 v[6:7], null, 0xd2511f53, v0, 0
	v_add_co_u32 v48, null, 0x76cf5d0a, v10
	s_delay_alu instid0(VALU_DEP_3) | instskip(SKIP_1) | instid1(VALU_DEP_4)
	v_mad_u64_u32 v[8:9], null, 0xcd9e8d57, v2, 0
	v_add_co_u32 v50, null, 0x32370b8f, v10
	v_xor3_b32 v0, v45, v7, v5
	v_add_co_u32 v49, null, 0xdaa66d2b, v11
	v_add_co_u32 v51, null, 0x78dde6e4, v11
	v_xor3_b32 v7, v9, v46, v3
	s_delay_alu instid0(VALU_DEP_4)
	v_mad_u64_u32 v[2:3], null, 0xcd9e8d57, v0, 0
	s_clause 0x5
	s_load_b64 s[8:9], s[0:1], 0x0
	s_load_b64 s[2:3], s[0:1], 0xd0
	s_load_b64 s[10:11], s[0:1], 0x1a0
	s_load_b64 s[16:17], s[0:1], 0x270
	s_load_b64 s[12:13], s[0:1], 0x340
	s_load_b32 s22, s[0:1], 0x4e8
	v_mad_u64_u32 v[4:5], null, 0xd2511f53, v7, 0
	v_add_co_u32 v52, null, 0xed9eba14, v10
	v_xor3_b32 v0, v47, v3, v8
	v_add_co_u32 v56, null, 0xa9066899, v10
	v_add_co_u32 v57, null, 0x1715609d, v11
	v_xor3_b32 v3, v5, v48, v6
	s_delay_alu instid0(VALU_DEP_4) | instskip(SKIP_1) | instid1(VALU_DEP_3)
	v_mad_u64_u32 v[5:6], null, 0xd2511f53, v0, 0
	v_add_co_u32 v58, null, 0xb54cda56, v11
	v_mad_u64_u32 v[7:8], null, 0xcd9e8d57, v3, 0
	v_add_co_u32 v61, null, 0x646e171e, v10
	s_delay_alu instid0(VALU_DEP_4)
	v_xor3_b32 v0, v50, v6, v4
	s_waitcnt lgkmcnt(0)
	v_div_scale_f32 v17, null, s22, s22, 1.0
	v_add_co_u32 v60, null, 0x1fd5c5a3, v10
	v_xor3_b32 v4, v8, v49, v2
	v_mad_u64_u32 v[2:3], null, 0xcd9e8d57, v0, 0
	s_delay_alu instid0(VALU_DEP_4) | instskip(SKIP_1) | instid1(VALU_DEP_3)
	v_rcp_f32_e32 v19, v17
	v_add_co_u32 v59, null, 0x5384540f, v11
	v_mad_u64_u32 v[8:9], null, 0xd2511f53, v4, 0
	v_mad_u64_u32 v[15:16], null, s16, v13, 0
	s_delay_alu instid0(VALU_DEP_4) | instskip(SKIP_3) | instid1(VALU_DEP_4)
	v_xor3_b32 v3, v51, v3, v7
	v_add_nc_u32_e32 v54, 0x8ff34781, v11
	v_add_co_u32 v62, null, 0xf1bbcdc8, v11
	v_xor3_b32 v5, v9, v52, v5
	v_mad_u64_u32 v[0:1], null, 0xd2511f53, v3, 0
	v_div_scale_f32 v18, vcc_lo, 1.0, s22, 1.0
	s_delay_alu instid0(VALU_DEP_3) | instskip(SKIP_1) | instid1(VALU_DEP_4)
	v_mad_u64_u32 v[3:4], null, 0xcd9e8d57, v5, 0
	v_add_co_u32 v63, null, 0xdb3d7428, v10
	v_xor3_b32 v5, v56, v1, v8
	v_mad_u64_u32 v[8:9], null, s2, v13, 0
	s_mul_i32 s25, s20, 3
	s_delay_alu instid0(VALU_DEP_4) | instskip(NEXT) | instid1(VALU_DEP_3)
	v_xor3_b32 v6, v4, v57, v2
	v_mad_u64_u32 v[1:2], null, 0xcd9e8d57, v5, 0
	s_lshl_b32 s24, s20, 1
	s_mul_hi_u32 s1, s16, s21
	s_delay_alu instid0(VALU_DEP_2) | instskip(SKIP_2) | instid1(VALU_DEP_4)
	v_mad_u64_u32 v[4:5], null, 0xd2511f53, v6, 0
	v_fma_f32 v6, -v17, v19, 1.0
	v_add_co_u32 v23, s18, s24, v13
	v_xor3_b32 v7, v58, v2, v3
	s_mul_i32 s14, s16, s21
	s_delay_alu instid0(VALU_DEP_3) | instskip(SKIP_3) | instid1(VALU_DEP_3)
	v_fmac_f32_e32 v19, v6, v19
	v_xor3_b32 v0, v5, v61, v0
	v_mad_u64_u32 v[21:22], null, s16, v23, 0
	v_mad_u64_u32 v[2:3], null, 0xd2511f53, v7, 0
	v_mad_u64_u32 v[5:6], null, 0xcd9e8d57, v0, 0
	v_mul_lo_u32 v32, s3, v23
	s_mov_b32 s23, 0
                                        ; implicit-def: $vgpr65
                                        ; implicit-def: $vgpr66
                                        ; implicit-def: $vgpr67
                                        ; implicit-def: $vgpr68
	s_delay_alu instid0(VALU_DEP_3) | instskip(NEXT) | instid1(VALU_DEP_3)
	v_xor3_b32 v3, v60, v3, v4
	v_xor3_b32 v4, v6, v59, v1
	s_delay_alu instid0(VALU_DEP_2) | instskip(SKIP_1) | instid1(VALU_DEP_3)
	v_mad_u64_u32 v[0:1], null, 0xcd9e8d57, v3, 0
	v_mov_b32_e32 v3, v16
	v_mad_u64_u32 v[6:7], null, 0xd2511f53, v4, 0
	s_delay_alu instid0(VALU_DEP_3) | instskip(NEXT) | instid1(VALU_DEP_3)
	v_xor3_b32 v1, v62, v1, v5
	v_mad_u64_u32 v[4:5], null, s17, v13, v[3:4]
	s_delay_alu instid0(VALU_DEP_3) | instskip(NEXT) | instid1(VALU_DEP_2)
	v_xor3_b32 v3, v7, v63, v2
	v_dual_mov_b32 v16, v4 :: v_dual_add_nc_u32 v55, 0x96a522ad, v12
	v_mul_f32_e32 v20, v18, v19
	s_delay_alu instid0(VALU_DEP_1) | instskip(NEXT) | instid1(VALU_DEP_1)
	v_fma_f32 v10, -v17, v20, v18
	v_fmac_f32_e32 v20, v10, v19
	v_add_co_u32 v10, s0, s25, v13
	s_delay_alu instid0(VALU_DEP_1) | instskip(NEXT) | instid1(VALU_DEP_3)
	v_add_co_ci_u32_e64 v4, null, 0, 0, s0
	v_fma_f32 v5, -v17, v20, v18
	v_mad_u64_u32 v[17:18], null, 0xd2511f53, v1, 0
	v_mad_u64_u32 v[1:2], null, 0xcd9e8d57, v3, 0
	s_delay_alu instid0(VALU_DEP_3)
	v_div_fmas_f32 v3, v5, v19, v20
	v_mov_b32_e32 v5, v9
	v_mul_lo_u32 v29, s3, v10
	v_mul_lo_u32 v30, s2, v4
	s_mul_i32 s0, s17, s21
	v_div_fixup_f32 v64, v3, s22, 1.0
	v_xor3_b32 v0, v0, v2, v54
	v_xor3_b32 v2, v18, v6, v55
	v_mad_u64_u32 v[6:7], null, s3, v13, v[5:6]
	v_mov_b32_e32 v3, v17
	v_mul_lo_u32 v5, s17, v10
	v_mul_lo_u32 v7, s16, v4
	v_mad_u64_u32 v[17:18], null, s16, v10, 0
	v_lshlrev_b64 v[19:20], 1, v[15:16]
	v_mov_b32_e32 v9, v6
	v_add_co_ci_u32_e64 v6, null, 0, 0, s18
	v_add_co_u32 v25, s18, s20, v13
	s_delay_alu instid0(VALU_DEP_1)
	v_add_co_ci_u32_e64 v26, null, 0, 0, s18
	v_add3_u32 v18, v18, v7, v5
	v_mad_u64_u32 v[4:5], null, s2, v10, 0
	v_mul_lo_u32 v10, s17, v23
	v_mul_lo_u32 v31, s16, v6
	;; [unrolled: 1-line block ×3, first 2 shown]
	v_mad_u64_u32 v[6:7], null, s2, v23, 0
	v_mul_lo_u32 v34, s17, v25
	v_mul_lo_u32 v35, s16, v26
	v_mad_u64_u32 v[23:24], null, s16, v25, 0
	v_mul_lo_u32 v36, s3, v25
	v_mul_lo_u32 v39, s2, v26
	v_mad_u64_u32 v[37:38], null, s2, v25, 0
	v_add3_u32 v5, v5, v30, v29
	v_add3_u32 v22, v22, v31, v10
	;; [unrolled: 1-line block ×4, first 2 shown]
	s_add_i32 s15, s1, s0
	s_mul_i32 s0, s3, s21
	v_add3_u32 v38, v38, v39, v36
	v_mov_b32_e32 v40, v14
	s_mul_hi_u32 s1, s2, s21
	v_lshlrev_b64 v[25:26], 1, v[8:9]
	v_lshlrev_b64 v[27:28], 1, v[17:18]
	;; [unrolled: 1-line block ×7, first 2 shown]
	v_mov_b32_e32 v39, v13
	s_add_i32 s1, s1, s0
	s_mul_i32 s0, s2, s21
	s_lshl_b64 s[16:17], s[14:15], 1
	s_lshl_b64 s[18:19], s[0:1], 1
	s_branch .LBB53_8
.LBB53_7:                               ;   in Loop: Header=BB53_8 Depth=1
	s_or_b32 exec_lo, exec_lo, s1
	v_add_co_u32 v39, vcc_lo, v39, s21
	v_add_co_ci_u32_e32 v40, vcc_lo, 0, v40, vcc_lo
	v_mov_b32_e32 v7, v41
	s_add_u32 s10, s10, s16
	s_addc_u32 s11, s11, s17
	s_delay_alu instid0(VALU_DEP_2)
	v_cmp_le_u64_e32 vcc_lo, s[6:7], v[39:40]
	s_add_u32 s12, s12, s14
	v_dual_mov_b32 v0, v4 :: v_dual_mov_b32 v1, v5
	s_addc_u32 s13, s13, s15
	v_dual_mov_b32 v2, v6 :: v_dual_mov_b32 v3, v7
	s_add_u32 s8, s8, s18
	s_addc_u32 s9, s9, s19
	s_or_b32 s23, vcc_lo, s23
	s_waitcnt vmcnt(0)
	s_waitcnt_vscnt null, 0x0
	s_barrier
	buffer_gl0_inv
	s_and_not1_b32 exec_lo, exec_lo, s23
	s_cbranch_execz .LBB53_34
.LBB53_8:                               ; =>This Inner Loop Header: Depth=1
	v_add_co_u32 v43, vcc_lo, v43, 1
	s_delay_alu instid0(VALU_DEP_1) | instskip(SKIP_2) | instid1(VALU_DEP_1)
	v_cndmask_b32_e64 v4, 0, 1, vcc_lo
	v_add_co_ci_u32_e32 v44, vcc_lo, 0, v44, vcc_lo
	s_mov_b32 s0, exec_lo
	v_cmp_eq_u32_e32 vcc_lo, 0, v44
	s_delay_alu instid0(VALU_DEP_3) | instskip(NEXT) | instid1(VALU_DEP_1)
	v_cndmask_b32_e32 v4, 0, v4, vcc_lo
	v_add_nc_u32_e32 v13, v4, v13
	s_delay_alu instid0(VALU_DEP_1) | instskip(SKIP_2) | instid1(VALU_DEP_2)
	v_cmp_eq_u32_e32 vcc_lo, 0, v13
	v_cndmask_b32_e32 v4, 0, v4, vcc_lo
	v_mad_u64_u32 v[6:7], null, 0xcd9e8d57, v13, 0
	v_add_nc_u32_e32 v14, v4, v14
	v_mad_u64_u32 v[4:5], null, 0xd2511f53, v43, 0
	s_delay_alu instid0(VALU_DEP_3) | instskip(NEXT) | instid1(VALU_DEP_2)
	v_xor3_b32 v9, v7, v11, v44
	v_xor_b32_e32 v5, v5, v12
	s_delay_alu instid0(VALU_DEP_2) | instskip(NEXT) | instid1(VALU_DEP_2)
	v_mad_u64_u32 v[7:8], null, 0xd2511f53, v9, 0
	v_xor_b32_e32 v5, v14, v5
	s_delay_alu instid0(VALU_DEP_2) | instskip(NEXT) | instid1(VALU_DEP_2)
	v_xor3_b32 v8, v45, v8, v4
	v_mad_u64_u32 v[9:10], null, 0xcd9e8d57, v5, 0
	s_delay_alu instid0(VALU_DEP_2) | instskip(NEXT) | instid1(VALU_DEP_2)
	v_mad_u64_u32 v[4:5], null, 0xcd9e8d57, v8, 0
	v_xor3_b32 v6, v46, v10, v6
	s_delay_alu instid0(VALU_DEP_2) | instskip(NEXT) | instid1(VALU_DEP_2)
	v_xor3_b32 v8, v47, v5, v9
	v_mad_u64_u32 v[41:42], null, 0xd2511f53, v6, 0
	s_delay_alu instid0(VALU_DEP_2) | instskip(NEXT) | instid1(VALU_DEP_2)
	v_mad_u64_u32 v[5:6], null, 0xd2511f53, v8, 0
	v_xor3_b32 v9, v48, v42, v7
	s_delay_alu instid0(VALU_DEP_2) | instskip(NEXT) | instid1(VALU_DEP_2)
	v_xor3_b32 v6, v50, v6, v41
	v_mad_u64_u32 v[7:8], null, 0xcd9e8d57, v9, 0
	s_delay_alu instid0(VALU_DEP_1) | instskip(NEXT) | instid1(VALU_DEP_3)
	v_xor3_b32 v4, v49, v8, v4
	v_mad_u64_u32 v[8:9], null, 0xcd9e8d57, v6, 0
	s_delay_alu instid0(VALU_DEP_2) | instskip(NEXT) | instid1(VALU_DEP_2)
	v_mad_u64_u32 v[41:42], null, 0xd2511f53, v4, 0
	v_xor3_b32 v6, v51, v9, v7
	s_delay_alu instid0(VALU_DEP_2) | instskip(NEXT) | instid1(VALU_DEP_2)
	v_xor3_b32 v9, v52, v42, v5
	v_mad_u64_u32 v[4:5], null, 0xd2511f53, v6, 0
	s_delay_alu instid0(VALU_DEP_2) | instskip(NEXT) | instid1(VALU_DEP_2)
	v_mad_u64_u32 v[6:7], null, 0xcd9e8d57, v9, 0
	v_xor3_b32 v5, v56, v5, v41
	s_delay_alu instid0(VALU_DEP_2) | instskip(NEXT) | instid1(VALU_DEP_2)
	;; [unrolled: 6-line block ×6, first 2 shown]
	v_xor3_b32 v4, v6, v7, v54
	v_mov_b32_e32 v6, v10
	v_cmpx_lt_i32_e32 1, v53
	s_xor_b32 s0, exec_lo, s0
	s_cbranch_execnz .LBB53_21
; %bb.9:                                ;   in Loop: Header=BB53_8 Depth=1
	s_and_not1_saveexec_b32 s0, s0
	s_cbranch_execnz .LBB53_26
.LBB53_10:                              ;   in Loop: Header=BB53_8 Depth=1
	s_or_b32 exec_lo, exec_lo, s0
	v_cmp_gt_u64_e64 s2, s[4:5], v[39:40]
	s_delay_alu instid0(VALU_DEP_1)
	s_and_saveexec_b32 s0, s2
	s_cbranch_execz .LBB53_12
.LBB53_11:                              ;   in Loop: Header=BB53_8 Depth=1
	v_add_co_u32 v7, vcc_lo, s8, v25
	v_add_co_ci_u32_e32 v8, vcc_lo, s9, v26, vcc_lo
	global_load_u16 v68, v[7:8], off
.LBB53_12:                              ;   in Loop: Header=BB53_8 Depth=1
	s_or_b32 exec_lo, exec_lo, s0
	v_add_co_u32 v7, vcc_lo, s20, v39
	v_add_co_ci_u32_e32 v8, vcc_lo, 0, v40, vcc_lo
	s_delay_alu instid0(VALU_DEP_1) | instskip(NEXT) | instid1(VALU_DEP_1)
	v_cmp_gt_u64_e64 s1, s[4:5], v[7:8]
	s_and_saveexec_b32 s0, s1
	s_cbranch_execz .LBB53_14
; %bb.13:                               ;   in Loop: Header=BB53_8 Depth=1
	v_add_co_u32 v7, vcc_lo, s8, v37
	v_add_co_ci_u32_e32 v8, vcc_lo, s9, v38, vcc_lo
	global_load_u16 v67, v[7:8], off
.LBB53_14:                              ;   in Loop: Header=BB53_8 Depth=1
	s_or_b32 exec_lo, exec_lo, s0
	v_add_co_u32 v7, vcc_lo, s24, v39
	v_add_co_ci_u32_e32 v8, vcc_lo, 0, v40, vcc_lo
	s_delay_alu instid0(VALU_DEP_1) | instskip(NEXT) | instid1(VALU_DEP_1)
	v_cmp_gt_u64_e64 s0, s[4:5], v[7:8]
	s_and_saveexec_b32 s3, s0
	s_cbranch_execz .LBB53_16
; %bb.15:                               ;   in Loop: Header=BB53_8 Depth=1
	v_add_co_u32 v7, vcc_lo, s8, v33
	v_add_co_ci_u32_e32 v8, vcc_lo, s9, v34, vcc_lo
	global_load_u16 v66, v[7:8], off
.LBB53_16:                              ;   in Loop: Header=BB53_8 Depth=1
	s_or_b32 exec_lo, exec_lo, s3
	v_add_co_u32 v7, vcc_lo, s25, v39
	v_add_co_ci_u32_e32 v8, vcc_lo, 0, v40, vcc_lo
	s_delay_alu instid0(VALU_DEP_1)
	v_cmp_gt_u64_e32 vcc_lo, s[4:5], v[7:8]
	s_and_saveexec_b32 s26, vcc_lo
	s_cbranch_execnz .LBB53_29
; %bb.17:                               ;   in Loop: Header=BB53_8 Depth=1
	s_or_b32 exec_lo, exec_lo, s26
	s_and_saveexec_b32 s26, s2
	s_cbranch_execnz .LBB53_30
.LBB53_18:                              ;   in Loop: Header=BB53_8 Depth=1
	s_or_b32 exec_lo, exec_lo, s26
	s_and_saveexec_b32 s3, s1
	s_cbranch_execnz .LBB53_31
.LBB53_19:                              ;   in Loop: Header=BB53_8 Depth=1
	s_or_b32 exec_lo, exec_lo, s3
	s_and_saveexec_b32 s2, s0
	s_cbranch_execnz .LBB53_32
.LBB53_20:                              ;   in Loop: Header=BB53_8 Depth=1
	s_or_b32 exec_lo, exec_lo, s2
	s_and_saveexec_b32 s1, vcc_lo
	s_cbranch_execz .LBB53_7
	s_branch .LBB53_33
.LBB53_21:                              ;   in Loop: Header=BB53_8 Depth=1
	s_mov_b32 s1, exec_lo
	v_cmpx_lt_i32_e32 2, v53
	s_xor_b32 s1, exec_lo, s1
; %bb.22:                               ;   in Loop: Header=BB53_8 Depth=1
	v_dual_mov_b32 v7, v3 :: v_dual_mov_b32 v8, v4
	v_mov_b32_e32 v9, v5
	s_delay_alu instid0(VALU_DEP_2) | instskip(NEXT) | instid1(VALU_DEP_2)
	v_dual_mov_b32 v0, v7 :: v_dual_mov_b32 v1, v8
	v_dual_mov_b32 v2, v9 :: v_dual_mov_b32 v3, v10
; %bb.23:                               ;   in Loop: Header=BB53_8 Depth=1
	s_and_not1_saveexec_b32 s1, s1
; %bb.24:                               ;   in Loop: Header=BB53_8 Depth=1
	s_delay_alu instid0(VALU_DEP_1)
	v_dual_mov_b32 v0, v2 :: v_dual_mov_b32 v1, v3
	v_dual_mov_b32 v2, v4 :: v_dual_mov_b32 v3, v5
; %bb.25:                               ;   in Loop: Header=BB53_8 Depth=1
	s_or_b32 exec_lo, exec_lo, s1
	s_and_not1_saveexec_b32 s0, s0
	s_cbranch_execz .LBB53_10
.LBB53_26:                              ;   in Loop: Header=BB53_8 Depth=1
	s_mov_b32 s1, exec_lo
	v_cmpx_eq_u32_e32 1, v53
; %bb.27:                               ;   in Loop: Header=BB53_8 Depth=1
	v_dual_mov_b32 v0, v1 :: v_dual_mov_b32 v1, v2
	v_dual_mov_b32 v2, v3 :: v_dual_mov_b32 v3, v4
; %bb.28:                               ;   in Loop: Header=BB53_8 Depth=1
	s_or_b32 exec_lo, exec_lo, s1
	s_delay_alu instid0(SALU_CYCLE_1) | instskip(SKIP_1) | instid1(VALU_DEP_1)
	s_or_b32 exec_lo, exec_lo, s0
	v_cmp_gt_u64_e64 s2, s[4:5], v[39:40]
	s_and_saveexec_b32 s0, s2
	s_cbranch_execnz .LBB53_11
	s_branch .LBB53_12
.LBB53_29:                              ;   in Loop: Header=BB53_8 Depth=1
	v_add_co_u32 v7, s3, s8, v29
	s_delay_alu instid0(VALU_DEP_1)
	v_add_co_ci_u32_e64 v8, s3, s9, v30, s3
	global_load_u16 v65, v[7:8], off
	s_or_b32 exec_lo, exec_lo, s26
	s_and_saveexec_b32 s26, s2
	s_cbranch_execz .LBB53_18
.LBB53_30:                              ;   in Loop: Header=BB53_8 Depth=1
	v_cvt_f32_u32_e32 v0, v0
	s_waitcnt vmcnt(0)
	v_lshlrev_b32_e32 v7, 16, v68
	s_delay_alu instid0(VALU_DEP_2) | instskip(NEXT) | instid1(VALU_DEP_1)
	v_fmaak_f32 v0, 0x2f800000, v0, 0x2f800000
	v_cmp_gt_f32_e64 s2, s22, v0
	s_delay_alu instid0(VALU_DEP_1) | instskip(NEXT) | instid1(VALU_DEP_1)
	v_cndmask_b32_e64 v0, 0, 1.0, s2
	v_mul_f32_e32 v0, v0, v7
	s_delay_alu instid0(VALU_DEP_1) | instskip(NEXT) | instid1(VALU_DEP_1)
	v_mul_f32_e32 v0, v64, v0
	v_bfe_u32 v7, v0, 16, 1
	s_delay_alu instid0(VALU_DEP_1) | instskip(SKIP_1) | instid1(VALU_DEP_1)
	v_add3_u32 v9, v0, v7, 0x7fff
	v_add_co_u32 v7, s3, s10, v19
	v_add_co_ci_u32_e64 v8, s3, s11, v20, s3
	s_delay_alu instid0(VALU_DEP_3) | instskip(SKIP_1) | instid1(VALU_DEP_1)
	v_lshrrev_b32_e32 v42, 16, v9
	v_add_co_u32 v9, s3, s12, v15
	v_add_co_ci_u32_e64 v10, s3, s13, v16, s3
	v_cmp_o_f32_e64 s3, v0, v0
	s_delay_alu instid0(VALU_DEP_1)
	v_cndmask_b32_e64 v0, 0x7fc0, v42, s3
	v_cndmask_b32_e64 v42, 0, 1, s2
	global_store_b16 v[7:8], v0, off
	global_store_b8 v[9:10], v42, off
	s_or_b32 exec_lo, exec_lo, s26
	s_and_saveexec_b32 s3, s1
	s_cbranch_execz .LBB53_19
.LBB53_31:                              ;   in Loop: Header=BB53_8 Depth=1
	v_cvt_f32_u32_e32 v0, v1
	s_waitcnt vmcnt(0)
	s_delay_alu instid0(VALU_DEP_1) | instskip(NEXT) | instid1(VALU_DEP_1)
	v_dual_fmaak_f32 v0, 0x2f800000, v0, 0x2f800000 :: v_dual_lshlrev_b32 v1, 16, v67
	v_cmp_gt_f32_e64 s1, s22, v0
	s_delay_alu instid0(VALU_DEP_1) | instskip(NEXT) | instid1(VALU_DEP_1)
	v_cndmask_b32_e64 v0, 0, 1.0, s1
	v_mul_f32_e32 v0, v0, v1
	s_delay_alu instid0(VALU_DEP_1) | instskip(NEXT) | instid1(VALU_DEP_1)
	v_mul_f32_e32 v9, v64, v0
	v_bfe_u32 v0, v9, 16, 1
	s_delay_alu instid0(VALU_DEP_1) | instskip(SKIP_1) | instid1(VALU_DEP_1)
	v_add3_u32 v7, v9, v0, 0x7fff
	v_add_co_u32 v0, s2, s10, v35
	v_add_co_ci_u32_e64 v1, s2, s11, v36, s2
	s_delay_alu instid0(VALU_DEP_3) | instskip(SKIP_1) | instid1(VALU_DEP_1)
	v_lshrrev_b32_e32 v10, 16, v7
	v_add_co_u32 v7, s2, s12, v23
	v_add_co_ci_u32_e64 v8, s2, s13, v24, s2
	v_cmp_o_f32_e64 s2, v9, v9
	s_delay_alu instid0(VALU_DEP_1)
	v_cndmask_b32_e64 v9, 0x7fc0, v10, s2
	v_cndmask_b32_e64 v10, 0, 1, s1
	global_store_b16 v[0:1], v9, off
	global_store_b8 v[7:8], v10, off
	s_or_b32 exec_lo, exec_lo, s3
	s_and_saveexec_b32 s2, s0
	s_cbranch_execz .LBB53_20
.LBB53_32:                              ;   in Loop: Header=BB53_8 Depth=1
	v_cvt_f32_u32_e32 v0, v2
	s_waitcnt vmcnt(0)
	s_delay_alu instid0(VALU_DEP_1) | instskip(NEXT) | instid1(VALU_DEP_1)
	v_dual_fmaak_f32 v0, 0x2f800000, v0, 0x2f800000 :: v_dual_lshlrev_b32 v1, 16, v66
	v_cmp_gt_f32_e64 s0, s22, v0
	s_delay_alu instid0(VALU_DEP_1) | instskip(NEXT) | instid1(VALU_DEP_1)
	v_cndmask_b32_e64 v0, 0, 1.0, s0
	v_mul_f32_e32 v0, v0, v1
	s_delay_alu instid0(VALU_DEP_1) | instskip(NEXT) | instid1(VALU_DEP_1)
	v_mul_f32_e32 v2, v64, v0
	v_bfe_u32 v0, v2, 16, 1
	s_delay_alu instid0(VALU_DEP_1) | instskip(SKIP_1) | instid1(VALU_DEP_1)
	v_add3_u32 v7, v2, v0, 0x7fff
	v_add_co_u32 v0, s1, s10, v31
	v_add_co_ci_u32_e64 v1, s1, s11, v32, s1
	s_delay_alu instid0(VALU_DEP_3) | instskip(SKIP_1) | instid1(VALU_DEP_1)
	v_lshrrev_b32_e32 v9, 16, v7
	v_add_co_u32 v7, s1, s12, v21
	v_add_co_ci_u32_e64 v8, s1, s13, v22, s1
	v_cmp_o_f32_e64 s1, v2, v2
	s_delay_alu instid0(VALU_DEP_1)
	v_cndmask_b32_e64 v2, 0x7fc0, v9, s1
	v_cndmask_b32_e64 v9, 0, 1, s0
	global_store_b16 v[0:1], v2, off
	global_store_b8 v[7:8], v9, off
	s_or_b32 exec_lo, exec_lo, s2
	s_and_saveexec_b32 s1, vcc_lo
	s_cbranch_execz .LBB53_7
.LBB53_33:                              ;   in Loop: Header=BB53_8 Depth=1
	v_cvt_f32_u32_e32 v0, v3
	s_waitcnt vmcnt(0)
	s_delay_alu instid0(VALU_DEP_1) | instskip(NEXT) | instid1(VALU_DEP_1)
	v_dual_fmaak_f32 v0, 0x2f800000, v0, 0x2f800000 :: v_dual_lshlrev_b32 v1, 16, v65
	v_cmp_gt_f32_e32 vcc_lo, s22, v0
	v_cndmask_b32_e64 v0, 0, 1.0, vcc_lo
	s_delay_alu instid0(VALU_DEP_1) | instskip(NEXT) | instid1(VALU_DEP_1)
	v_mul_f32_e32 v0, v0, v1
	v_mul_f32_e32 v7, v64, v0
	s_delay_alu instid0(VALU_DEP_1) | instskip(NEXT) | instid1(VALU_DEP_1)
	v_bfe_u32 v0, v7, 16, 1
	v_add3_u32 v2, v7, v0, 0x7fff
	v_add_co_u32 v0, s0, s10, v27
	s_delay_alu instid0(VALU_DEP_1) | instskip(NEXT) | instid1(VALU_DEP_3)
	v_add_co_ci_u32_e64 v1, s0, s11, v28, s0
	v_lshrrev_b32_e32 v8, 16, v2
	v_add_co_u32 v2, s0, s12, v17
	s_delay_alu instid0(VALU_DEP_1) | instskip(SKIP_1) | instid1(VALU_DEP_1)
	v_add_co_ci_u32_e64 v3, s0, s13, v18, s0
	v_cmp_o_f32_e64 s0, v7, v7
	v_cndmask_b32_e64 v7, 0x7fc0, v8, s0
	v_cndmask_b32_e64 v8, 0, 1, vcc_lo
	global_store_b16 v[0:1], v7, off
	global_store_b8 v[2:3], v8, off
	s_branch .LBB53_7
.LBB53_34:
	s_endpgm
.LBB53_35:
                                        ; implicit-def: $sgpr2_sgpr3
	s_branch .LBB53_4
	.section	.rodata,"a",@progbits
	.p2align	6, 0x0
	.amdhsa_kernel _ZN2at6native12_GLOBAL__N_120fused_dropout_kernelIN3c108BFloat16EfmLi1ELi1EbEEvNS_4cuda6detail10TensorInfoIKT_T1_EENS7_IS8_SA_EENS7_IT4_SA_EESA_T0_NS_15PhiloxCudaStateE
		.amdhsa_group_segment_fixed_size 0
		.amdhsa_private_segment_fixed_size 0
		.amdhsa_kernarg_size 1552
		.amdhsa_user_sgpr_count 15
		.amdhsa_user_sgpr_dispatch_ptr 0
		.amdhsa_user_sgpr_queue_ptr 0
		.amdhsa_user_sgpr_kernarg_segment_ptr 1
		.amdhsa_user_sgpr_dispatch_id 0
		.amdhsa_user_sgpr_private_segment_size 0
		.amdhsa_wavefront_size32 1
		.amdhsa_uses_dynamic_stack 0
		.amdhsa_enable_private_segment 0
		.amdhsa_system_sgpr_workgroup_id_x 1
		.amdhsa_system_sgpr_workgroup_id_y 0
		.amdhsa_system_sgpr_workgroup_id_z 0
		.amdhsa_system_sgpr_workgroup_info 0
		.amdhsa_system_vgpr_workitem_id 0
		.amdhsa_next_free_vgpr 69
		.amdhsa_next_free_sgpr 27
		.amdhsa_reserve_vcc 1
		.amdhsa_float_round_mode_32 0
		.amdhsa_float_round_mode_16_64 0
		.amdhsa_float_denorm_mode_32 3
		.amdhsa_float_denorm_mode_16_64 3
		.amdhsa_dx10_clamp 1
		.amdhsa_ieee_mode 1
		.amdhsa_fp16_overflow 0
		.amdhsa_workgroup_processor_mode 1
		.amdhsa_memory_ordered 1
		.amdhsa_forward_progress 0
		.amdhsa_shared_vgpr_count 0
		.amdhsa_exception_fp_ieee_invalid_op 0
		.amdhsa_exception_fp_denorm_src 0
		.amdhsa_exception_fp_ieee_div_zero 0
		.amdhsa_exception_fp_ieee_overflow 0
		.amdhsa_exception_fp_ieee_underflow 0
		.amdhsa_exception_fp_ieee_inexact 0
		.amdhsa_exception_int_div_zero 0
	.end_amdhsa_kernel
	.section	.text._ZN2at6native12_GLOBAL__N_120fused_dropout_kernelIN3c108BFloat16EfmLi1ELi1EbEEvNS_4cuda6detail10TensorInfoIKT_T1_EENS7_IS8_SA_EENS7_IT4_SA_EESA_T0_NS_15PhiloxCudaStateE,"axG",@progbits,_ZN2at6native12_GLOBAL__N_120fused_dropout_kernelIN3c108BFloat16EfmLi1ELi1EbEEvNS_4cuda6detail10TensorInfoIKT_T1_EENS7_IS8_SA_EENS7_IT4_SA_EESA_T0_NS_15PhiloxCudaStateE,comdat
.Lfunc_end53:
	.size	_ZN2at6native12_GLOBAL__N_120fused_dropout_kernelIN3c108BFloat16EfmLi1ELi1EbEEvNS_4cuda6detail10TensorInfoIKT_T1_EENS7_IS8_SA_EENS7_IT4_SA_EESA_T0_NS_15PhiloxCudaStateE, .Lfunc_end53-_ZN2at6native12_GLOBAL__N_120fused_dropout_kernelIN3c108BFloat16EfmLi1ELi1EbEEvNS_4cuda6detail10TensorInfoIKT_T1_EENS7_IS8_SA_EENS7_IT4_SA_EESA_T0_NS_15PhiloxCudaStateE
                                        ; -- End function
	.section	.AMDGPU.csdata,"",@progbits
; Kernel info:
; codeLenInByte = 3908
; NumSgprs: 29
; NumVgprs: 69
; ScratchSize: 0
; MemoryBound: 0
; FloatMode: 240
; IeeeMode: 1
; LDSByteSize: 0 bytes/workgroup (compile time only)
; SGPRBlocks: 3
; VGPRBlocks: 8
; NumSGPRsForWavesPerEU: 29
; NumVGPRsForWavesPerEU: 69
; Occupancy: 16
; WaveLimiterHint : 1
; COMPUTE_PGM_RSRC2:SCRATCH_EN: 0
; COMPUTE_PGM_RSRC2:USER_SGPR: 15
; COMPUTE_PGM_RSRC2:TRAP_HANDLER: 0
; COMPUTE_PGM_RSRC2:TGID_X_EN: 1
; COMPUTE_PGM_RSRC2:TGID_Y_EN: 0
; COMPUTE_PGM_RSRC2:TGID_Z_EN: 0
; COMPUTE_PGM_RSRC2:TIDIG_COMP_CNT: 0
	.section	.text._ZN2at6native12_GLOBAL__N_120fused_dropout_kernelIN3c108BFloat16EfmLin1ELi1EbEEvNS_4cuda6detail10TensorInfoIKT_T1_EENS7_IS8_SA_EENS7_IT4_SA_EESA_T0_NS_15PhiloxCudaStateE,"axG",@progbits,_ZN2at6native12_GLOBAL__N_120fused_dropout_kernelIN3c108BFloat16EfmLin1ELi1EbEEvNS_4cuda6detail10TensorInfoIKT_T1_EENS7_IS8_SA_EENS7_IT4_SA_EESA_T0_NS_15PhiloxCudaStateE,comdat
	.globl	_ZN2at6native12_GLOBAL__N_120fused_dropout_kernelIN3c108BFloat16EfmLin1ELi1EbEEvNS_4cuda6detail10TensorInfoIKT_T1_EENS7_IS8_SA_EENS7_IT4_SA_EESA_T0_NS_15PhiloxCudaStateE ; -- Begin function _ZN2at6native12_GLOBAL__N_120fused_dropout_kernelIN3c108BFloat16EfmLin1ELi1EbEEvNS_4cuda6detail10TensorInfoIKT_T1_EENS7_IS8_SA_EENS7_IT4_SA_EESA_T0_NS_15PhiloxCudaStateE
	.p2align	8
	.type	_ZN2at6native12_GLOBAL__N_120fused_dropout_kernelIN3c108BFloat16EfmLin1ELi1EbEEvNS_4cuda6detail10TensorInfoIKT_T1_EENS7_IS8_SA_EENS7_IT4_SA_EESA_T0_NS_15PhiloxCudaStateE,@function
_ZN2at6native12_GLOBAL__N_120fused_dropout_kernelIN3c108BFloat16EfmLin1ELi1EbEEvNS_4cuda6detail10TensorInfoIKT_T1_EENS7_IS8_SA_EENS7_IT4_SA_EESA_T0_NS_15PhiloxCudaStateE: ; @_ZN2at6native12_GLOBAL__N_120fused_dropout_kernelIN3c108BFloat16EfmLin1ELi1EbEEvNS_4cuda6detail10TensorInfoIKT_T1_EENS7_IS8_SA_EENS7_IT4_SA_EESA_T0_NS_15PhiloxCudaStateE
; %bb.0:
	s_clause 0x1
	s_load_b128 s[4:7], s[0:1], 0x4f0
	s_load_b32 s2, s[0:1], 0x508
	s_waitcnt lgkmcnt(0)
	v_dual_mov_b32 v1, s6 :: v_dual_mov_b32 v2, s7
	v_dual_mov_b32 v12, s5 :: v_dual_mov_b32 v11, s4
	s_bitcmp0_b32 s2, 0
	s_mov_b32 s2, 0
	s_cbranch_scc1 .LBB54_2
; %bb.1:
	v_dual_mov_b32 v1, s6 :: v_dual_mov_b32 v2, s7
	v_dual_mov_b32 v3, s4 :: v_dual_mov_b32 v4, s5
	s_load_b64 s[4:5], s[0:1], 0x500
	flat_load_b64 v[1:2], v[1:2]
	flat_load_b64 v[11:12], v[3:4]
	s_waitcnt vmcnt(1) lgkmcnt(0)
	v_add_co_u32 v1, vcc_lo, v1, s4
	v_add_co_ci_u32_e32 v2, vcc_lo, s5, v2, vcc_lo
.LBB54_2:
	s_clause 0x2
	s_load_b32 s3, s[0:1], 0x51c
	s_load_b64 s[6:7], s[0:1], 0x4e0
	s_load_b32 s4, s[0:1], 0x510
	s_waitcnt lgkmcnt(0)
	s_and_b32 s5, s3, 0xffff
	s_add_u32 s8, s6, -1
	s_mul_i32 s26, s4, s5
	s_addc_u32 s3, s7, -1
	s_lshl_b32 s27, s26, 2
	s_cmp_lg_u64 s[2:3], 0
	s_cbranch_scc0 .LBB54_63
; %bb.3:
	v_cvt_f32_u32_e32 v3, s27
	s_sub_u32 s10, 0, s27
	s_subb_u32 s11, 0, 0
	s_delay_alu instid0(VALU_DEP_1) | instskip(NEXT) | instid1(VALU_DEP_1)
	v_fmamk_f32 v3, 0, 0x4f800000, v3
	v_rcp_f32_e32 v3, v3
	s_waitcnt_depctr 0xfff
	v_mul_f32_e32 v3, 0x5f7ffffc, v3
	s_delay_alu instid0(VALU_DEP_1) | instskip(NEXT) | instid1(VALU_DEP_1)
	v_mul_f32_e32 v4, 0x2f800000, v3
	v_trunc_f32_e32 v4, v4
	s_delay_alu instid0(VALU_DEP_1) | instskip(SKIP_1) | instid1(VALU_DEP_2)
	v_fmamk_f32 v3, v4, 0xcf800000, v3
	v_cvt_u32_f32_e32 v4, v4
	v_cvt_u32_f32_e32 v3, v3
	s_delay_alu instid0(VALU_DEP_2) | instskip(NEXT) | instid1(VALU_DEP_2)
	v_readfirstlane_b32 s2, v4
	v_readfirstlane_b32 s9, v3
	s_delay_alu instid0(VALU_DEP_2) | instskip(NEXT) | instid1(VALU_DEP_1)
	s_mul_i32 s12, s10, s2
	s_mul_hi_u32 s14, s10, s9
	s_mul_i32 s13, s11, s9
	s_add_i32 s12, s14, s12
	s_mul_i32 s16, s10, s9
	s_add_i32 s12, s12, s13
	s_mul_hi_u32 s14, s9, s16
	s_mul_hi_u32 s17, s2, s16
	s_mul_i32 s13, s2, s16
	s_mul_hi_u32 s16, s9, s12
	s_mul_i32 s9, s9, s12
	s_mul_hi_u32 s18, s2, s12
	s_add_u32 s9, s14, s9
	s_addc_u32 s14, 0, s16
	s_add_u32 s9, s9, s13
	s_mul_i32 s12, s2, s12
	s_addc_u32 s9, s14, s17
	s_addc_u32 s13, s18, 0
	s_add_u32 s9, s9, s12
	s_addc_u32 s12, 0, s13
	v_add_co_u32 v3, s9, v3, s9
	s_delay_alu instid0(VALU_DEP_1) | instskip(SKIP_1) | instid1(VALU_DEP_1)
	s_cmp_lg_u32 s9, 0
	s_addc_u32 s2, s2, s12
	v_readfirstlane_b32 s9, v3
	s_mul_i32 s12, s10, s2
	s_delay_alu instid0(VALU_DEP_1)
	s_mul_hi_u32 s13, s10, s9
	s_mul_i32 s11, s11, s9
	s_add_i32 s12, s13, s12
	s_mul_i32 s10, s10, s9
	s_add_i32 s12, s12, s11
	s_mul_hi_u32 s13, s2, s10
	s_mul_i32 s14, s2, s10
	s_mul_hi_u32 s10, s9, s10
	s_mul_hi_u32 s16, s9, s12
	s_mul_i32 s9, s9, s12
	s_mul_hi_u32 s11, s2, s12
	s_add_u32 s9, s10, s9
	s_addc_u32 s10, 0, s16
	s_add_u32 s9, s9, s14
	s_mul_i32 s12, s2, s12
	s_addc_u32 s9, s10, s13
	s_addc_u32 s10, s11, 0
	s_add_u32 s9, s9, s12
	s_addc_u32 s10, 0, s10
	v_add_co_u32 v3, s9, v3, s9
	s_delay_alu instid0(VALU_DEP_1) | instskip(SKIP_1) | instid1(VALU_DEP_1)
	s_cmp_lg_u32 s9, 0
	s_addc_u32 s2, s2, s10
	v_readfirstlane_b32 s9, v3
	s_mul_i32 s11, s8, s2
	s_mul_hi_u32 s10, s8, s2
	s_mul_hi_u32 s12, s3, s2
	s_mul_i32 s2, s3, s2
	s_mul_hi_u32 s13, s8, s9
	s_mul_hi_u32 s14, s3, s9
	s_mul_i32 s9, s3, s9
	s_add_u32 s11, s13, s11
	s_addc_u32 s10, 0, s10
	s_add_u32 s9, s11, s9
	s_addc_u32 s9, s10, s14
	s_addc_u32 s10, s12, 0
	s_add_u32 s2, s9, s2
	s_addc_u32 s10, 0, s10
	s_mul_i32 s11, s27, s2
	s_add_u32 s9, s2, 1
	v_sub_co_u32 v3, s11, s8, s11
	s_mul_hi_u32 s12, s27, s2
	s_addc_u32 s13, s10, 0
	s_mul_i32 s14, s27, s10
	s_delay_alu instid0(VALU_DEP_1)
	v_sub_co_u32 v4, s16, v3, s27
	s_add_u32 s17, s2, 2
	s_addc_u32 s18, s10, 0
	s_add_i32 s12, s12, s14
	s_cmp_lg_u32 s11, 0
	v_readfirstlane_b32 s11, v4
	s_subb_u32 s3, s3, s12
	s_cmp_lg_u32 s16, 0
	s_subb_u32 s12, s3, 0
	s_delay_alu instid0(VALU_DEP_1) | instskip(SKIP_4) | instid1(SALU_CYCLE_1)
	s_cmp_ge_u32 s11, s27
	s_cselect_b32 s11, -1, 0
	s_cmp_eq_u32 s12, 0
	v_readfirstlane_b32 s12, v3
	s_cselect_b32 s11, s11, -1
	s_cmp_lg_u32 s11, 0
	s_cselect_b32 s11, s17, s9
	s_cselect_b32 s13, s18, s13
	s_cmp_ge_u32 s12, s27
	s_cselect_b32 s9, -1, 0
	s_cmp_eq_u32 s3, 0
	s_cselect_b32 s3, s9, -1
	s_delay_alu instid0(SALU_CYCLE_1)
	s_cmp_lg_u32 s3, 0
	s_cselect_b32 s3, s13, s10
	s_cselect_b32 s2, s11, s2
	s_cbranch_execnz .LBB54_5
.LBB54_4:
	v_cvt_f32_u32_e32 v3, s27
	s_sub_i32 s3, 0, s27
	s_delay_alu instid0(VALU_DEP_1) | instskip(SKIP_2) | instid1(VALU_DEP_1)
	v_rcp_iflag_f32_e32 v3, v3
	s_waitcnt_depctr 0xfff
	v_mul_f32_e32 v3, 0x4f7ffffe, v3
	v_cvt_u32_f32_e32 v3, v3
	s_delay_alu instid0(VALU_DEP_1) | instskip(NEXT) | instid1(VALU_DEP_1)
	v_readfirstlane_b32 s2, v3
	s_mul_i32 s3, s3, s2
	s_delay_alu instid0(SALU_CYCLE_1) | instskip(NEXT) | instid1(SALU_CYCLE_1)
	s_mul_hi_u32 s3, s2, s3
	s_add_i32 s2, s2, s3
	s_delay_alu instid0(SALU_CYCLE_1) | instskip(NEXT) | instid1(SALU_CYCLE_1)
	s_mul_hi_u32 s2, s8, s2
	s_mul_i32 s3, s2, s27
	s_delay_alu instid0(SALU_CYCLE_1)
	s_sub_i32 s3, s8, s3
	s_add_i32 s8, s2, 1
	s_sub_i32 s9, s3, s27
	s_cmp_ge_u32 s3, s27
	s_cselect_b32 s2, s8, s2
	s_cselect_b32 s3, s9, s3
	s_add_i32 s8, s2, 1
	s_cmp_ge_u32 s3, s27
	s_mov_b32 s3, 0
	s_cselect_b32 s2, s8, s2
.LBB54_5:
	s_delay_alu instid0(SALU_CYCLE_1)
	s_add_u32 s2, s2, 1
	s_addc_u32 s3, s3, 0
	v_mov_b32_e32 v15, 0
	v_mad_u64_u32 v[13:14], null, s15, s5, v[0:1]
	s_mul_i32 s3, s26, s3
	s_mul_hi_u32 s8, s26, s2
	s_mul_hi_u32 s4, s4, s5
	s_add_i32 s3, s8, s3
	s_mul_i32 s4, s4, s2
	v_mov_b32_e32 v14, v15
	s_add_i32 s3, s3, s4
	s_mul_i32 s2, s26, s2
	s_delay_alu instid0(SALU_CYCLE_1)
	s_lshl_b64 s[8:9], s[2:3], 2
	s_mov_b32 s2, exec_lo
	v_cmpx_gt_u64_e64 s[8:9], v[13:14]
	s_cbranch_execz .LBB54_62
; %bb.6:
	v_alignbit_b32 v28, v2, v1, 2
	v_mad_u64_u32 v[3:4], null, 0xcd9e8d57, v13, 0
	v_lshrrev_b32_e32 v29, 2, v2
	s_waitcnt vmcnt(0)
	v_dual_mov_b32 v10, v12 :: v_dual_add_nc_u32 v37, 0x8ff34781, v11
	v_mad_u64_u32 v[5:6], null, 0xd2511f53, v28, 0
	v_add_co_u32 v31, null, 0x9e3779b9, v11
	v_xor3_b32 v0, v11, v4, v29
	s_delay_alu instid0(VALU_DEP_4) | instskip(SKIP_2) | instid1(VALU_DEP_4)
	v_add_co_u32 v30, null, 0xbb67ae85, v10
	v_add_co_u32 v32, null, 0x3c6ef372, v11
	v_xor_b32_e32 v2, v6, v12
	v_mad_u64_u32 v[6:7], null, 0xd2511f53, v0, 0
	v_add_co_u32 v33, null, 0x76cf5d0a, v10
	s_delay_alu instid0(VALU_DEP_3) | instskip(SKIP_1) | instid1(VALU_DEP_4)
	v_mad_u64_u32 v[8:9], null, 0xcd9e8d57, v2, 0
	v_add_co_u32 v34, null, 0xdaa66d2b, v11
	v_xor3_b32 v0, v30, v7, v5
	v_add_co_u32 v35, null, 0x32370b8f, v10
	s_clause 0x2
	s_load_b64 s[10:11], s[0:1], 0x270
	s_load_b64 s[12:13], s[0:1], 0x340
	s_load_b32 s28, s[0:1], 0x4e8
	v_xor3_b32 v7, v9, v31, v3
	v_mad_u64_u32 v[2:3], null, 0xcd9e8d57, v0, 0
	v_and_b32_e32 v36, 3, v1
	v_add_co_u32 v38, null, 0x78dde6e4, v11
	s_delay_alu instid0(VALU_DEP_4)
	v_mad_u64_u32 v[4:5], null, 0xd2511f53, v7, 0
	v_add_co_u32 v39, null, 0xed9eba14, v10
	v_xor3_b32 v0, v32, v3, v8
	v_add_co_u32 v42, null, 0xa9066899, v10
	v_add_co_u32 v43, null, 0x1715609d, v11
	v_xor3_b32 v3, v5, v33, v6
	s_delay_alu instid0(VALU_DEP_4) | instskip(SKIP_1) | instid1(VALU_DEP_3)
	v_mad_u64_u32 v[5:6], null, 0xd2511f53, v0, 0
	v_add_co_u32 v41, null, 0xb54cda56, v11
	v_mad_u64_u32 v[7:8], null, 0xcd9e8d57, v3, 0
	v_add_co_u32 v46, null, 0x646e171e, v10
	s_delay_alu instid0(VALU_DEP_4) | instskip(SKIP_3) | instid1(VALU_DEP_4)
	v_xor3_b32 v3, v35, v6, v4
	v_add_co_u32 v44, null, 0x5384540f, v11
	v_add_co_u32 v47, null, 0x1fd5c5a3, v10
	v_xor3_b32 v4, v8, v34, v2
	v_mad_u64_u32 v[0:1], null, 0xcd9e8d57, v3, 0
	s_waitcnt lgkmcnt(0)
	v_div_scale_f32 v8, null, s28, s28, 1.0
	s_delay_alu instid0(VALU_DEP_3) | instskip(SKIP_1) | instid1(VALU_DEP_4)
	v_mad_u64_u32 v[2:3], null, 0xd2511f53, v4, 0
	v_div_scale_f32 v16, vcc_lo, 1.0, s28, 1.0
	v_xor3_b32 v1, v38, v1, v7
	s_delay_alu instid0(VALU_DEP_4)
	v_rcp_f32_e32 v9, v8
	s_clause 0x1
	s_load_b64 s[14:15], s[0:1], 0x1a0
	s_load_b32 s20, s[0:1], 0x198
	v_add_co_u32 v45, null, 0xf1bbcdc8, v11
	v_xor3_b32 v7, v3, v39, v5
	v_mad_u64_u32 v[3:4], null, 0xd2511f53, v1, 0
	s_clause 0x1
	s_load_b64 s[16:17], s[0:1], 0xd0
	s_load_b64 s[18:19], s[0:1], 0x0
	s_mov_b32 s5, 0
	v_mad_u64_u32 v[5:6], null, 0xcd9e8d57, v7, 0
	v_mov_b32_e32 v49, 0
	s_mul_i32 s29, s26, 3
	v_xor3_b32 v2, v42, v4, v2
                                        ; implicit-def: $vgpr26
                                        ; implicit-def: $vgpr50
                                        ; implicit-def: $vgpr51
                                        ; implicit-def: $vgpr52
	v_dual_mov_b32 v18, v14 :: v_dual_mov_b32 v17, v13
	v_add_co_u32 v14, null, 0xdb3d7428, v10
	v_xor3_b32 v4, v6, v43, v0
	s_delay_alu instid0(VALU_DEP_4) | instskip(SKIP_2) | instid1(VALU_DEP_4)
	v_mad_u64_u32 v[0:1], null, 0xcd9e8d57, v2, 0
	v_fma_f32 v2, -v8, v9, 1.0
	v_add_nc_u32_e32 v40, 0x96a522ad, v12
	v_mad_u64_u32 v[6:7], null, 0xd2511f53, v4, 0
	s_waitcnt lgkmcnt(0)
	s_cmp_gt_i32 s20, 1
	v_fmac_f32_e32 v9, v2, v9
	v_xor3_b32 v4, v41, v1, v5
	s_cselect_b32 s30, -1, 0
	s_add_i32 s4, s20, -1
	s_lshl_b32 s31, s26, 1
	v_xor3_b32 v5, v7, v46, v3
	v_mad_u64_u32 v[1:2], null, 0xd2511f53, v4, 0
	v_mul_f32_e32 v19, v16, v9
	s_lshl_b64 s[2:3], s[4:5], 3
	s_delay_alu instid0(VALU_DEP_3) | instskip(SKIP_1) | instid1(VALU_DEP_2)
	v_mad_u64_u32 v[3:4], null, 0xcd9e8d57, v5, 0
	s_add_i32 s33, s20, 1
	v_fma_f32 v20, -v8, v19, v16
	s_delay_alu instid0(VALU_DEP_4) | instskip(SKIP_3) | instid1(VALU_DEP_3)
	v_xor3_b32 v2, v47, v2, v6
	s_add_u32 s0, s2, s0
	s_addc_u32 s1, s3, s1
	s_add_u32 s20, s0, 8
	v_xor3_b32 v0, v4, v44, v0
	v_mad_u64_u32 v[4:5], null, 0xcd9e8d57, v2, 0
	v_fmac_f32_e32 v19, v20, v9
	s_addc_u32 s21, s1, 0
	s_delay_alu instid0(VALU_DEP_3) | instskip(NEXT) | instid1(VALU_DEP_3)
	v_mad_u64_u32 v[6:7], null, 0xd2511f53, v0, 0
	v_xor3_b32 v0, v45, v5, v3
	s_delay_alu instid0(VALU_DEP_3) | instskip(NEXT) | instid1(VALU_DEP_3)
	v_fma_f32 v5, -v8, v19, v16
	v_xor3_b32 v3, v7, v14, v1
	s_delay_alu instid0(VALU_DEP_3) | instskip(NEXT) | instid1(VALU_DEP_3)
	v_mad_u64_u32 v[7:8], null, 0xd2511f53, v0, 0
	v_div_fmas_f32 v0, v5, v9, v19
	s_delay_alu instid0(VALU_DEP_3) | instskip(NEXT) | instid1(VALU_DEP_2)
	v_mad_u64_u32 v[1:2], null, 0xcd9e8d57, v3, 0
	v_div_fixup_f32 v48, v0, s28, 1.0
	s_delay_alu instid0(VALU_DEP_4) | instskip(NEXT) | instid1(VALU_DEP_3)
	v_mov_b32_e32 v3, v7
	v_xor3_b32 v0, v4, v2, v37
	v_xor3_b32 v2, v8, v6, v40
	s_branch .LBB54_8
.LBB54_7:                               ;   in Loop: Header=BB54_8 Depth=1
	s_or_b32 exec_lo, exec_lo, s1
	v_add_co_u32 v17, vcc_lo, v17, s27
	v_add_co_ci_u32_e32 v18, vcc_lo, 0, v18, vcc_lo
	v_mov_b32_e32 v7, v19
	v_dual_mov_b32 v0, v4 :: v_dual_mov_b32 v1, v5
	s_delay_alu instid0(VALU_DEP_3) | instskip(NEXT) | instid1(VALU_DEP_3)
	v_cmp_le_u64_e32 vcc_lo, s[8:9], v[17:18]
	v_dual_mov_b32 v2, v6 :: v_dual_mov_b32 v3, v7
	s_waitcnt vmcnt(0)
	s_waitcnt_vscnt null, 0x0
	s_barrier
	buffer_gl0_inv
	s_or_b32 s5, vcc_lo, s5
	s_delay_alu instid0(SALU_CYCLE_1)
	s_and_not1_b32 exec_lo, exec_lo, s5
	s_cbranch_execz .LBB54_62
.LBB54_8:                               ; =>This Loop Header: Depth=1
                                        ;     Child Loop BB54_20 Depth 2
                                        ;     Child Loop BB54_29 Depth 2
	;; [unrolled: 1-line block ×4, first 2 shown]
	v_add_co_u32 v28, vcc_lo, v28, 1
	s_delay_alu instid0(VALU_DEP_1) | instskip(SKIP_2) | instid1(VALU_DEP_1)
	v_cndmask_b32_e64 v4, 0, 1, vcc_lo
	v_add_co_ci_u32_e32 v29, vcc_lo, 0, v29, vcc_lo
	s_mov_b32 s0, exec_lo
	v_cmp_eq_u32_e32 vcc_lo, 0, v29
	s_delay_alu instid0(VALU_DEP_3) | instskip(NEXT) | instid1(VALU_DEP_1)
	v_cndmask_b32_e32 v4, 0, v4, vcc_lo
	v_add_nc_u32_e32 v13, v4, v13
	s_delay_alu instid0(VALU_DEP_1) | instskip(SKIP_2) | instid1(VALU_DEP_2)
	v_cmp_eq_u32_e32 vcc_lo, 0, v13
	v_cndmask_b32_e32 v4, 0, v4, vcc_lo
	v_mad_u64_u32 v[6:7], null, 0xcd9e8d57, v13, 0
	v_add_nc_u32_e32 v49, v4, v49
	v_mad_u64_u32 v[4:5], null, 0xd2511f53, v28, 0
	s_delay_alu instid0(VALU_DEP_3) | instskip(NEXT) | instid1(VALU_DEP_2)
	v_xor3_b32 v9, v7, v11, v29
	v_xor_b32_e32 v5, v5, v12
	s_delay_alu instid0(VALU_DEP_2) | instskip(NEXT) | instid1(VALU_DEP_2)
	v_mad_u64_u32 v[7:8], null, 0xd2511f53, v9, 0
	v_xor_b32_e32 v5, v49, v5
	s_delay_alu instid0(VALU_DEP_2) | instskip(NEXT) | instid1(VALU_DEP_2)
	v_xor3_b32 v8, v30, v8, v4
	v_mad_u64_u32 v[9:10], null, 0xcd9e8d57, v5, 0
	s_delay_alu instid0(VALU_DEP_2) | instskip(NEXT) | instid1(VALU_DEP_2)
	v_mad_u64_u32 v[4:5], null, 0xcd9e8d57, v8, 0
	v_xor3_b32 v6, v31, v10, v6
	s_delay_alu instid0(VALU_DEP_2) | instskip(NEXT) | instid1(VALU_DEP_2)
	v_xor3_b32 v8, v32, v5, v9
	v_mad_u64_u32 v[19:20], null, 0xd2511f53, v6, 0
	s_delay_alu instid0(VALU_DEP_2) | instskip(NEXT) | instid1(VALU_DEP_2)
	v_mad_u64_u32 v[5:6], null, 0xd2511f53, v8, 0
	v_xor3_b32 v9, v33, v20, v7
	s_delay_alu instid0(VALU_DEP_2) | instskip(NEXT) | instid1(VALU_DEP_2)
	v_xor3_b32 v6, v35, v6, v19
	v_mad_u64_u32 v[7:8], null, 0xcd9e8d57, v9, 0
	s_delay_alu instid0(VALU_DEP_1) | instskip(NEXT) | instid1(VALU_DEP_3)
	v_xor3_b32 v4, v34, v8, v4
	v_mad_u64_u32 v[8:9], null, 0xcd9e8d57, v6, 0
	s_delay_alu instid0(VALU_DEP_2) | instskip(NEXT) | instid1(VALU_DEP_2)
	v_mad_u64_u32 v[19:20], null, 0xd2511f53, v4, 0
	v_xor3_b32 v6, v38, v9, v7
	s_delay_alu instid0(VALU_DEP_2) | instskip(NEXT) | instid1(VALU_DEP_2)
	v_xor3_b32 v9, v39, v20, v5
	v_mad_u64_u32 v[4:5], null, 0xd2511f53, v6, 0
	s_delay_alu instid0(VALU_DEP_2) | instskip(NEXT) | instid1(VALU_DEP_2)
	v_mad_u64_u32 v[6:7], null, 0xcd9e8d57, v9, 0
	v_xor3_b32 v5, v42, v5, v19
	s_delay_alu instid0(VALU_DEP_2) | instskip(NEXT) | instid1(VALU_DEP_2)
	;; [unrolled: 6-line block ×6, first 2 shown]
	v_xor3_b32 v4, v6, v7, v37
	v_mov_b32_e32 v6, v10
	v_cmpx_lt_i32_e32 1, v36
	s_xor_b32 s0, exec_lo, s0
	s_cbranch_execnz .LBB54_11
; %bb.9:                                ;   in Loop: Header=BB54_8 Depth=1
	s_and_not1_saveexec_b32 s0, s0
	s_cbranch_execnz .LBB54_16
.LBB54_10:                              ;   in Loop: Header=BB54_8 Depth=1
	s_or_b32 exec_lo, exec_lo, s0
	v_cmp_gt_u64_e64 s0, s[6:7], v[17:18]
	s_delay_alu instid0(VALU_DEP_1)
	s_and_saveexec_b32 s4, s0
	s_cbranch_execnz .LBB54_19
	s_branch .LBB54_27
.LBB54_11:                              ;   in Loop: Header=BB54_8 Depth=1
	s_mov_b32 s1, exec_lo
	v_cmpx_lt_i32_e32 2, v36
	s_xor_b32 s1, exec_lo, s1
; %bb.12:                               ;   in Loop: Header=BB54_8 Depth=1
	v_dual_mov_b32 v7, v3 :: v_dual_mov_b32 v8, v4
	v_mov_b32_e32 v9, v5
	s_delay_alu instid0(VALU_DEP_2) | instskip(NEXT) | instid1(VALU_DEP_2)
	v_dual_mov_b32 v0, v7 :: v_dual_mov_b32 v1, v8
	v_dual_mov_b32 v2, v9 :: v_dual_mov_b32 v3, v10
; %bb.13:                               ;   in Loop: Header=BB54_8 Depth=1
	s_and_not1_saveexec_b32 s1, s1
; %bb.14:                               ;   in Loop: Header=BB54_8 Depth=1
	s_delay_alu instid0(VALU_DEP_1)
	v_dual_mov_b32 v0, v2 :: v_dual_mov_b32 v1, v3
	v_dual_mov_b32 v2, v4 :: v_dual_mov_b32 v3, v5
; %bb.15:                               ;   in Loop: Header=BB54_8 Depth=1
	s_or_b32 exec_lo, exec_lo, s1
	s_and_not1_saveexec_b32 s0, s0
	s_cbranch_execz .LBB54_10
.LBB54_16:                              ;   in Loop: Header=BB54_8 Depth=1
	s_mov_b32 s1, exec_lo
	v_cmpx_eq_u32_e32 1, v36
; %bb.17:                               ;   in Loop: Header=BB54_8 Depth=1
	v_dual_mov_b32 v0, v1 :: v_dual_mov_b32 v1, v2
	v_dual_mov_b32 v2, v3 :: v_dual_mov_b32 v3, v4
; %bb.18:                               ;   in Loop: Header=BB54_8 Depth=1
	s_or_b32 exec_lo, exec_lo, s1
	s_delay_alu instid0(SALU_CYCLE_1) | instskip(SKIP_1) | instid1(VALU_DEP_1)
	s_or_b32 exec_lo, exec_lo, s0
	v_cmp_gt_u64_e64 s0, s[6:7], v[17:18]
	s_and_saveexec_b32 s4, s0
	s_cbranch_execz .LBB54_27
.LBB54_19:                              ;   in Loop: Header=BB54_8 Depth=1
	v_mov_b32_e32 v7, 0
	v_dual_mov_b32 v8, 0 :: v_dual_mov_b32 v9, v17
	v_mov_b32_e32 v10, v18
	v_dual_mov_b32 v21, v18 :: v_dual_mov_b32 v20, v17
	s_and_not1_b32 vcc_lo, exec_lo, s30
	s_mov_b64 s[2:3], s[20:21]
	s_mov_b32 s24, s33
	s_cbranch_vccnz .LBB54_26
.LBB54_20:                              ;   Parent Loop BB54_8 Depth=1
                                        ; =>  This Inner Loop Header: Depth=2
	s_load_b64 s[22:23], s[2:3], 0x0
                                        ; implicit-def: $vgpr20_vgpr21
	s_mov_b32 s1, exec_lo
	s_waitcnt lgkmcnt(0)
	v_or_b32_e32 v16, s23, v10
	s_delay_alu instid0(VALU_DEP_1)
	v_cmpx_ne_u64_e32 0, v[15:16]
	s_xor_b32 s25, exec_lo, s1
	s_cbranch_execz .LBB54_22
; %bb.21:                               ;   in Loop: Header=BB54_20 Depth=2
	v_cvt_f32_u32_e32 v16, s22
	v_cvt_f32_u32_e32 v20, s23
	s_sub_u32 s1, 0, s22
	s_subb_u32 s34, 0, s23
	s_delay_alu instid0(VALU_DEP_1) | instskip(NEXT) | instid1(VALU_DEP_1)
	v_fmac_f32_e32 v16, 0x4f800000, v20
	v_rcp_f32_e32 v16, v16
	s_waitcnt_depctr 0xfff
	v_mul_f32_e32 v16, 0x5f7ffffc, v16
	s_delay_alu instid0(VALU_DEP_1) | instskip(NEXT) | instid1(VALU_DEP_1)
	v_mul_f32_e32 v20, 0x2f800000, v16
	v_trunc_f32_e32 v20, v20
	s_delay_alu instid0(VALU_DEP_1) | instskip(SKIP_1) | instid1(VALU_DEP_2)
	v_fmac_f32_e32 v16, 0xcf800000, v20
	v_cvt_u32_f32_e32 v20, v20
	v_cvt_u32_f32_e32 v16, v16
	s_delay_alu instid0(VALU_DEP_2) | instskip(NEXT) | instid1(VALU_DEP_2)
	v_mul_lo_u32 v21, s1, v20
	v_mul_hi_u32 v22, s1, v16
	v_mul_lo_u32 v23, s34, v16
	s_delay_alu instid0(VALU_DEP_2) | instskip(SKIP_1) | instid1(VALU_DEP_2)
	v_add_nc_u32_e32 v21, v22, v21
	v_mul_lo_u32 v22, s1, v16
	v_add_nc_u32_e32 v21, v21, v23
	s_delay_alu instid0(VALU_DEP_2) | instskip(NEXT) | instid1(VALU_DEP_2)
	v_mul_hi_u32 v23, v16, v22
	v_mul_lo_u32 v24, v16, v21
	v_mul_hi_u32 v25, v16, v21
	v_mul_hi_u32 v27, v20, v22
	v_mul_lo_u32 v22, v20, v22
	v_mul_hi_u32 v52, v20, v21
	v_mul_lo_u32 v21, v20, v21
	v_add_co_u32 v23, vcc_lo, v23, v24
	v_add_co_ci_u32_e32 v24, vcc_lo, 0, v25, vcc_lo
	s_delay_alu instid0(VALU_DEP_2) | instskip(NEXT) | instid1(VALU_DEP_2)
	v_add_co_u32 v22, vcc_lo, v23, v22
	v_add_co_ci_u32_e32 v22, vcc_lo, v24, v27, vcc_lo
	v_add_co_ci_u32_e32 v23, vcc_lo, 0, v52, vcc_lo
	s_delay_alu instid0(VALU_DEP_2) | instskip(NEXT) | instid1(VALU_DEP_2)
	v_add_co_u32 v21, vcc_lo, v22, v21
	v_add_co_ci_u32_e32 v22, vcc_lo, 0, v23, vcc_lo
	s_delay_alu instid0(VALU_DEP_2) | instskip(NEXT) | instid1(VALU_DEP_2)
	v_add_co_u32 v16, vcc_lo, v16, v21
	v_add_co_ci_u32_e32 v20, vcc_lo, v20, v22, vcc_lo
	s_delay_alu instid0(VALU_DEP_2) | instskip(SKIP_1) | instid1(VALU_DEP_3)
	v_mul_hi_u32 v21, s1, v16
	v_mul_lo_u32 v23, s34, v16
	v_mul_lo_u32 v22, s1, v20
	s_delay_alu instid0(VALU_DEP_1) | instskip(SKIP_1) | instid1(VALU_DEP_2)
	v_add_nc_u32_e32 v21, v21, v22
	v_mul_lo_u32 v22, s1, v16
	v_add_nc_u32_e32 v21, v21, v23
	s_delay_alu instid0(VALU_DEP_2) | instskip(NEXT) | instid1(VALU_DEP_2)
	v_mul_hi_u32 v23, v16, v22
	v_mul_lo_u32 v24, v16, v21
	v_mul_hi_u32 v25, v16, v21
	v_mul_hi_u32 v27, v20, v22
	v_mul_lo_u32 v22, v20, v22
	v_mul_hi_u32 v52, v20, v21
	v_mul_lo_u32 v21, v20, v21
	v_add_co_u32 v23, vcc_lo, v23, v24
	v_add_co_ci_u32_e32 v24, vcc_lo, 0, v25, vcc_lo
	s_delay_alu instid0(VALU_DEP_2) | instskip(NEXT) | instid1(VALU_DEP_2)
	v_add_co_u32 v22, vcc_lo, v23, v22
	v_add_co_ci_u32_e32 v22, vcc_lo, v24, v27, vcc_lo
	v_add_co_ci_u32_e32 v23, vcc_lo, 0, v52, vcc_lo
	s_delay_alu instid0(VALU_DEP_2) | instskip(NEXT) | instid1(VALU_DEP_2)
	v_add_co_u32 v21, vcc_lo, v22, v21
	v_add_co_ci_u32_e32 v22, vcc_lo, 0, v23, vcc_lo
	s_delay_alu instid0(VALU_DEP_2) | instskip(NEXT) | instid1(VALU_DEP_2)
	v_add_co_u32 v16, vcc_lo, v16, v21
	v_add_co_ci_u32_e32 v27, vcc_lo, v20, v22, vcc_lo
	s_delay_alu instid0(VALU_DEP_2) | instskip(SKIP_1) | instid1(VALU_DEP_3)
	v_mul_hi_u32 v52, v9, v16
	v_mad_u64_u32 v[22:23], null, v10, v16, 0
	v_mad_u64_u32 v[20:21], null, v9, v27, 0
	;; [unrolled: 1-line block ×3, first 2 shown]
	s_delay_alu instid0(VALU_DEP_2) | instskip(NEXT) | instid1(VALU_DEP_3)
	v_add_co_u32 v16, vcc_lo, v52, v20
	v_add_co_ci_u32_e32 v20, vcc_lo, 0, v21, vcc_lo
	s_delay_alu instid0(VALU_DEP_2) | instskip(NEXT) | instid1(VALU_DEP_2)
	v_add_co_u32 v16, vcc_lo, v16, v22
	v_add_co_ci_u32_e32 v16, vcc_lo, v20, v23, vcc_lo
	v_add_co_ci_u32_e32 v20, vcc_lo, 0, v25, vcc_lo
	s_delay_alu instid0(VALU_DEP_2) | instskip(NEXT) | instid1(VALU_DEP_2)
	v_add_co_u32 v16, vcc_lo, v16, v24
	v_add_co_ci_u32_e32 v22, vcc_lo, 0, v20, vcc_lo
	s_delay_alu instid0(VALU_DEP_2) | instskip(SKIP_1) | instid1(VALU_DEP_3)
	v_mul_lo_u32 v23, s23, v16
	v_mad_u64_u32 v[20:21], null, s22, v16, 0
	v_mul_lo_u32 v24, s22, v22
	s_delay_alu instid0(VALU_DEP_2) | instskip(NEXT) | instid1(VALU_DEP_2)
	v_sub_co_u32 v20, vcc_lo, v9, v20
	v_add3_u32 v21, v21, v24, v23
	s_delay_alu instid0(VALU_DEP_1) | instskip(NEXT) | instid1(VALU_DEP_1)
	v_sub_nc_u32_e32 v23, v10, v21
	v_subrev_co_ci_u32_e64 v23, s1, s23, v23, vcc_lo
	v_add_co_u32 v24, s1, v16, 2
	s_delay_alu instid0(VALU_DEP_1) | instskip(SKIP_3) | instid1(VALU_DEP_3)
	v_add_co_ci_u32_e64 v25, s1, 0, v22, s1
	v_sub_co_u32 v27, s1, v20, s22
	v_sub_co_ci_u32_e32 v21, vcc_lo, v10, v21, vcc_lo
	v_subrev_co_ci_u32_e64 v23, s1, 0, v23, s1
	v_cmp_le_u32_e32 vcc_lo, s22, v27
	s_delay_alu instid0(VALU_DEP_3) | instskip(SKIP_1) | instid1(VALU_DEP_4)
	v_cmp_eq_u32_e64 s1, s23, v21
	v_cndmask_b32_e64 v27, 0, -1, vcc_lo
	v_cmp_le_u32_e32 vcc_lo, s23, v23
	v_cndmask_b32_e64 v52, 0, -1, vcc_lo
	v_cmp_le_u32_e32 vcc_lo, s22, v20
	;; [unrolled: 2-line block ×3, first 2 shown]
	v_cndmask_b32_e64 v53, 0, -1, vcc_lo
	v_cmp_eq_u32_e32 vcc_lo, s23, v23
	s_delay_alu instid0(VALU_DEP_2) | instskip(SKIP_3) | instid1(VALU_DEP_3)
	v_cndmask_b32_e64 v20, v53, v20, s1
	v_cndmask_b32_e32 v23, v52, v27, vcc_lo
	v_add_co_u32 v27, vcc_lo, v16, 1
	v_add_co_ci_u32_e32 v52, vcc_lo, 0, v22, vcc_lo
	v_cmp_ne_u32_e32 vcc_lo, 0, v23
	s_delay_alu instid0(VALU_DEP_2) | instskip(NEXT) | instid1(VALU_DEP_4)
	v_cndmask_b32_e32 v21, v52, v25, vcc_lo
	v_cndmask_b32_e32 v23, v27, v24, vcc_lo
	v_cmp_ne_u32_e32 vcc_lo, 0, v20
	s_delay_alu instid0(VALU_DEP_2)
	v_dual_cndmask_b32 v21, v22, v21 :: v_dual_cndmask_b32 v20, v16, v23
.LBB54_22:                              ;   in Loop: Header=BB54_20 Depth=2
	s_and_not1_saveexec_b32 s1, s25
	s_cbranch_execz .LBB54_24
; %bb.23:                               ;   in Loop: Header=BB54_20 Depth=2
	v_cvt_f32_u32_e32 v16, s22
	s_sub_i32 s25, 0, s22
	s_delay_alu instid0(VALU_DEP_1) | instskip(SKIP_2) | instid1(VALU_DEP_1)
	v_rcp_iflag_f32_e32 v16, v16
	s_waitcnt_depctr 0xfff
	v_mul_f32_e32 v16, 0x4f7ffffe, v16
	v_cvt_u32_f32_e32 v16, v16
	s_delay_alu instid0(VALU_DEP_1) | instskip(NEXT) | instid1(VALU_DEP_1)
	v_mul_lo_u32 v20, s25, v16
	v_mul_hi_u32 v20, v16, v20
	s_delay_alu instid0(VALU_DEP_1) | instskip(NEXT) | instid1(VALU_DEP_1)
	v_add_nc_u32_e32 v16, v16, v20
	v_mul_hi_u32 v16, v9, v16
	s_delay_alu instid0(VALU_DEP_1) | instskip(NEXT) | instid1(VALU_DEP_1)
	v_mul_lo_u32 v20, v16, s22
	v_sub_nc_u32_e32 v20, v9, v20
	s_delay_alu instid0(VALU_DEP_1) | instskip(SKIP_1) | instid1(VALU_DEP_2)
	v_subrev_nc_u32_e32 v22, s22, v20
	v_cmp_le_u32_e32 vcc_lo, s22, v20
	v_dual_cndmask_b32 v20, v20, v22 :: v_dual_add_nc_u32 v21, 1, v16
	s_delay_alu instid0(VALU_DEP_1) | instskip(NEXT) | instid1(VALU_DEP_2)
	v_cndmask_b32_e32 v16, v16, v21, vcc_lo
	v_cmp_le_u32_e32 vcc_lo, s22, v20
	s_delay_alu instid0(VALU_DEP_2) | instskip(NEXT) | instid1(VALU_DEP_1)
	v_add_nc_u32_e32 v21, 1, v16
	v_dual_cndmask_b32 v20, v16, v21 :: v_dual_mov_b32 v21, v15
.LBB54_24:                              ;   in Loop: Header=BB54_20 Depth=2
	s_or_b32 exec_lo, exec_lo, s1
	s_load_b64 s[34:35], s[2:3], 0xc8
	s_delay_alu instid0(VALU_DEP_1) | instskip(NEXT) | instid1(VALU_DEP_2)
	v_mul_lo_u32 v16, v21, s22
	v_mul_lo_u32 v24, v20, s23
	v_mad_u64_u32 v[22:23], null, v20, s22, 0
	s_add_i32 s24, s24, -1
	s_add_u32 s2, s2, -8
	s_addc_u32 s3, s3, -1
	s_cmp_gt_u32 s24, 2
	s_delay_alu instid0(VALU_DEP_1) | instskip(NEXT) | instid1(VALU_DEP_2)
	v_add3_u32 v16, v23, v24, v16
	v_sub_co_u32 v22, vcc_lo, v9, v22
	s_delay_alu instid0(VALU_DEP_2) | instskip(SKIP_1) | instid1(VALU_DEP_2)
	v_sub_co_ci_u32_e32 v9, vcc_lo, v10, v16, vcc_lo
	s_waitcnt lgkmcnt(0)
	v_mul_lo_u32 v23, s35, v22
	s_delay_alu instid0(VALU_DEP_2) | instskip(SKIP_1) | instid1(VALU_DEP_1)
	v_mul_lo_u32 v16, s34, v9
	v_mad_u64_u32 v[9:10], null, s34, v22, v[7:8]
	v_add3_u32 v8, v23, v10, v16
	s_delay_alu instid0(VALU_DEP_2)
	v_mov_b32_e32 v7, v9
	s_cbranch_scc0 .LBB54_26
; %bb.25:                               ;   in Loop: Header=BB54_20 Depth=2
	v_dual_mov_b32 v9, v20 :: v_dual_mov_b32 v10, v21
	s_branch .LBB54_20
.LBB54_26:                              ;   in Loop: Header=BB54_8 Depth=1
	v_mul_lo_u32 v16, s17, v20
	v_mul_lo_u32 v21, s16, v21
	v_mad_u64_u32 v[9:10], null, s16, v20, 0
	v_lshlrev_b64 v[7:8], 1, v[7:8]
	s_delay_alu instid0(VALU_DEP_2) | instskip(NEXT) | instid1(VALU_DEP_1)
	v_add3_u32 v10, v10, v21, v16
	v_lshlrev_b64 v[9:10], 1, v[9:10]
	s_delay_alu instid0(VALU_DEP_1) | instskip(NEXT) | instid1(VALU_DEP_2)
	v_add_co_u32 v9, vcc_lo, s18, v9
	v_add_co_ci_u32_e32 v10, vcc_lo, s19, v10, vcc_lo
	s_delay_alu instid0(VALU_DEP_2) | instskip(NEXT) | instid1(VALU_DEP_2)
	v_add_co_u32 v7, vcc_lo, v9, v7
	v_add_co_ci_u32_e32 v8, vcc_lo, v10, v8, vcc_lo
	global_load_u16 v52, v[7:8], off
.LBB54_27:                              ;   in Loop: Header=BB54_8 Depth=1
	s_or_b32 exec_lo, exec_lo, s4
	v_add_co_u32 v7, vcc_lo, v17, s26
	v_add_co_ci_u32_e32 v8, vcc_lo, 0, v18, vcc_lo
	s_delay_alu instid0(VALU_DEP_1) | instskip(NEXT) | instid1(VALU_DEP_1)
	v_cmp_gt_u64_e64 s1, s[6:7], v[7:8]
	s_and_saveexec_b32 s3, s1
	s_cbranch_execz .LBB54_36
; %bb.28:                               ;   in Loop: Header=BB54_8 Depth=1
	v_mov_b32_e32 v9, 0
	v_dual_mov_b32 v10, 0 :: v_dual_mov_b32 v21, v8
	v_dual_mov_b32 v20, v7 :: v_dual_mov_b32 v23, v8
	v_mov_b32_e32 v22, v7
	s_and_not1_b32 vcc_lo, exec_lo, s30
	s_mov_b64 s[22:23], s[20:21]
	s_mov_b32 s4, s33
	s_cbranch_vccnz .LBB54_35
.LBB54_29:                              ;   Parent Loop BB54_8 Depth=1
                                        ; =>  This Inner Loop Header: Depth=2
	s_load_b64 s[24:25], s[22:23], 0x0
                                        ; implicit-def: $vgpr22_vgpr23
	s_mov_b32 s2, exec_lo
	s_waitcnt lgkmcnt(0)
	v_or_b32_e32 v16, s25, v21
	s_delay_alu instid0(VALU_DEP_1)
	v_cmpx_ne_u64_e32 0, v[15:16]
	s_xor_b32 s34, exec_lo, s2
	s_cbranch_execz .LBB54_31
; %bb.30:                               ;   in Loop: Header=BB54_29 Depth=2
	v_cvt_f32_u32_e32 v16, s24
	v_cvt_f32_u32_e32 v22, s25
	s_sub_u32 s2, 0, s24
	s_subb_u32 s35, 0, s25
	s_delay_alu instid0(VALU_DEP_1) | instskip(NEXT) | instid1(VALU_DEP_1)
	v_fmac_f32_e32 v16, 0x4f800000, v22
	v_rcp_f32_e32 v16, v16
	s_waitcnt_depctr 0xfff
	v_mul_f32_e32 v16, 0x5f7ffffc, v16
	s_delay_alu instid0(VALU_DEP_1) | instskip(NEXT) | instid1(VALU_DEP_1)
	v_mul_f32_e32 v22, 0x2f800000, v16
	v_trunc_f32_e32 v22, v22
	s_delay_alu instid0(VALU_DEP_1) | instskip(SKIP_1) | instid1(VALU_DEP_2)
	v_fmac_f32_e32 v16, 0xcf800000, v22
	v_cvt_u32_f32_e32 v22, v22
	v_cvt_u32_f32_e32 v16, v16
	s_delay_alu instid0(VALU_DEP_2) | instskip(NEXT) | instid1(VALU_DEP_2)
	v_mul_lo_u32 v23, s2, v22
	v_mul_hi_u32 v24, s2, v16
	v_mul_lo_u32 v25, s35, v16
	s_delay_alu instid0(VALU_DEP_2) | instskip(SKIP_1) | instid1(VALU_DEP_2)
	v_add_nc_u32_e32 v23, v24, v23
	v_mul_lo_u32 v24, s2, v16
	v_add_nc_u32_e32 v23, v23, v25
	s_delay_alu instid0(VALU_DEP_2) | instskip(NEXT) | instid1(VALU_DEP_2)
	v_mul_hi_u32 v25, v16, v24
	v_mul_lo_u32 v27, v16, v23
	v_mul_hi_u32 v51, v16, v23
	v_mul_hi_u32 v53, v22, v24
	v_mul_lo_u32 v24, v22, v24
	v_mul_hi_u32 v54, v22, v23
	v_mul_lo_u32 v23, v22, v23
	v_add_co_u32 v25, vcc_lo, v25, v27
	v_add_co_ci_u32_e32 v27, vcc_lo, 0, v51, vcc_lo
	s_delay_alu instid0(VALU_DEP_2) | instskip(NEXT) | instid1(VALU_DEP_2)
	v_add_co_u32 v24, vcc_lo, v25, v24
	v_add_co_ci_u32_e32 v24, vcc_lo, v27, v53, vcc_lo
	v_add_co_ci_u32_e32 v25, vcc_lo, 0, v54, vcc_lo
	s_delay_alu instid0(VALU_DEP_2) | instskip(NEXT) | instid1(VALU_DEP_2)
	v_add_co_u32 v23, vcc_lo, v24, v23
	v_add_co_ci_u32_e32 v24, vcc_lo, 0, v25, vcc_lo
	s_delay_alu instid0(VALU_DEP_2) | instskip(NEXT) | instid1(VALU_DEP_2)
	v_add_co_u32 v16, vcc_lo, v16, v23
	v_add_co_ci_u32_e32 v22, vcc_lo, v22, v24, vcc_lo
	s_delay_alu instid0(VALU_DEP_2) | instskip(SKIP_1) | instid1(VALU_DEP_3)
	v_mul_hi_u32 v23, s2, v16
	v_mul_lo_u32 v25, s35, v16
	v_mul_lo_u32 v24, s2, v22
	s_delay_alu instid0(VALU_DEP_1) | instskip(SKIP_1) | instid1(VALU_DEP_2)
	v_add_nc_u32_e32 v23, v23, v24
	v_mul_lo_u32 v24, s2, v16
	v_add_nc_u32_e32 v23, v23, v25
	s_delay_alu instid0(VALU_DEP_2) | instskip(NEXT) | instid1(VALU_DEP_2)
	v_mul_hi_u32 v25, v16, v24
	v_mul_lo_u32 v27, v16, v23
	v_mul_hi_u32 v51, v16, v23
	v_mul_hi_u32 v53, v22, v24
	v_mul_lo_u32 v24, v22, v24
	v_mul_hi_u32 v54, v22, v23
	v_mul_lo_u32 v23, v22, v23
	v_add_co_u32 v25, vcc_lo, v25, v27
	v_add_co_ci_u32_e32 v27, vcc_lo, 0, v51, vcc_lo
	s_delay_alu instid0(VALU_DEP_2) | instskip(NEXT) | instid1(VALU_DEP_2)
	v_add_co_u32 v24, vcc_lo, v25, v24
	v_add_co_ci_u32_e32 v24, vcc_lo, v27, v53, vcc_lo
	v_add_co_ci_u32_e32 v25, vcc_lo, 0, v54, vcc_lo
	s_delay_alu instid0(VALU_DEP_2) | instskip(NEXT) | instid1(VALU_DEP_2)
	v_add_co_u32 v23, vcc_lo, v24, v23
	v_add_co_ci_u32_e32 v24, vcc_lo, 0, v25, vcc_lo
	s_delay_alu instid0(VALU_DEP_2) | instskip(NEXT) | instid1(VALU_DEP_2)
	v_add_co_u32 v16, vcc_lo, v16, v23
	v_add_co_ci_u32_e32 v27, vcc_lo, v22, v24, vcc_lo
	s_delay_alu instid0(VALU_DEP_2) | instskip(SKIP_1) | instid1(VALU_DEP_3)
	v_mul_hi_u32 v51, v20, v16
	v_mad_u64_u32 v[24:25], null, v21, v16, 0
	v_mad_u64_u32 v[22:23], null, v20, v27, 0
	;; [unrolled: 1-line block ×3, first 2 shown]
	s_delay_alu instid0(VALU_DEP_2) | instskip(NEXT) | instid1(VALU_DEP_3)
	v_add_co_u32 v16, vcc_lo, v51, v22
	v_add_co_ci_u32_e32 v22, vcc_lo, 0, v23, vcc_lo
	s_delay_alu instid0(VALU_DEP_2) | instskip(NEXT) | instid1(VALU_DEP_2)
	v_add_co_u32 v16, vcc_lo, v16, v24
	v_add_co_ci_u32_e32 v16, vcc_lo, v22, v25, vcc_lo
	v_add_co_ci_u32_e32 v22, vcc_lo, 0, v54, vcc_lo
	s_delay_alu instid0(VALU_DEP_2) | instskip(NEXT) | instid1(VALU_DEP_2)
	v_add_co_u32 v16, vcc_lo, v16, v53
	v_add_co_ci_u32_e32 v24, vcc_lo, 0, v22, vcc_lo
	s_delay_alu instid0(VALU_DEP_2) | instskip(SKIP_1) | instid1(VALU_DEP_3)
	v_mul_lo_u32 v25, s25, v16
	v_mad_u64_u32 v[22:23], null, s24, v16, 0
	v_mul_lo_u32 v27, s24, v24
	s_delay_alu instid0(VALU_DEP_2) | instskip(NEXT) | instid1(VALU_DEP_2)
	v_sub_co_u32 v22, vcc_lo, v20, v22
	v_add3_u32 v23, v23, v27, v25
	s_delay_alu instid0(VALU_DEP_1) | instskip(NEXT) | instid1(VALU_DEP_1)
	v_sub_nc_u32_e32 v25, v21, v23
	v_subrev_co_ci_u32_e64 v25, s2, s25, v25, vcc_lo
	v_add_co_u32 v27, s2, v16, 2
	s_delay_alu instid0(VALU_DEP_1) | instskip(SKIP_3) | instid1(VALU_DEP_3)
	v_add_co_ci_u32_e64 v51, s2, 0, v24, s2
	v_sub_co_u32 v53, s2, v22, s24
	v_sub_co_ci_u32_e32 v23, vcc_lo, v21, v23, vcc_lo
	v_subrev_co_ci_u32_e64 v25, s2, 0, v25, s2
	v_cmp_le_u32_e32 vcc_lo, s24, v53
	s_delay_alu instid0(VALU_DEP_3) | instskip(SKIP_1) | instid1(VALU_DEP_4)
	v_cmp_eq_u32_e64 s2, s25, v23
	v_cndmask_b32_e64 v53, 0, -1, vcc_lo
	v_cmp_le_u32_e32 vcc_lo, s25, v25
	v_cndmask_b32_e64 v54, 0, -1, vcc_lo
	v_cmp_le_u32_e32 vcc_lo, s24, v22
	v_cndmask_b32_e64 v22, 0, -1, vcc_lo
	v_cmp_le_u32_e32 vcc_lo, s25, v23
	v_cndmask_b32_e64 v55, 0, -1, vcc_lo
	v_cmp_eq_u32_e32 vcc_lo, s25, v25
	s_delay_alu instid0(VALU_DEP_2) | instskip(SKIP_3) | instid1(VALU_DEP_3)
	v_cndmask_b32_e64 v22, v55, v22, s2
	v_cndmask_b32_e32 v25, v54, v53, vcc_lo
	v_add_co_u32 v53, vcc_lo, v16, 1
	v_add_co_ci_u32_e32 v54, vcc_lo, 0, v24, vcc_lo
	v_cmp_ne_u32_e32 vcc_lo, 0, v25
	s_delay_alu instid0(VALU_DEP_3) | instskip(NEXT) | instid1(VALU_DEP_3)
	v_cndmask_b32_e32 v25, v53, v27, vcc_lo
	v_cndmask_b32_e32 v23, v54, v51, vcc_lo
	v_cmp_ne_u32_e32 vcc_lo, 0, v22
	s_delay_alu instid0(VALU_DEP_3) | instskip(NEXT) | instid1(VALU_DEP_3)
	v_cndmask_b32_e32 v22, v16, v25, vcc_lo
	v_cndmask_b32_e32 v23, v24, v23, vcc_lo
.LBB54_31:                              ;   in Loop: Header=BB54_29 Depth=2
	s_and_not1_saveexec_b32 s2, s34
	s_cbranch_execz .LBB54_33
; %bb.32:                               ;   in Loop: Header=BB54_29 Depth=2
	v_cvt_f32_u32_e32 v16, s24
	s_sub_i32 s34, 0, s24
	s_delay_alu instid0(VALU_DEP_1) | instskip(SKIP_2) | instid1(VALU_DEP_1)
	v_rcp_iflag_f32_e32 v16, v16
	s_waitcnt_depctr 0xfff
	v_mul_f32_e32 v16, 0x4f7ffffe, v16
	v_cvt_u32_f32_e32 v16, v16
	s_delay_alu instid0(VALU_DEP_1) | instskip(NEXT) | instid1(VALU_DEP_1)
	v_mul_lo_u32 v22, s34, v16
	v_mul_hi_u32 v22, v16, v22
	s_delay_alu instid0(VALU_DEP_1) | instskip(NEXT) | instid1(VALU_DEP_1)
	v_add_nc_u32_e32 v16, v16, v22
	v_mul_hi_u32 v16, v20, v16
	s_delay_alu instid0(VALU_DEP_1) | instskip(SKIP_1) | instid1(VALU_DEP_2)
	v_mul_lo_u32 v22, v16, s24
	v_add_nc_u32_e32 v23, 1, v16
	v_sub_nc_u32_e32 v22, v20, v22
	s_delay_alu instid0(VALU_DEP_1) | instskip(SKIP_1) | instid1(VALU_DEP_2)
	v_subrev_nc_u32_e32 v24, s24, v22
	v_cmp_le_u32_e32 vcc_lo, s24, v22
	v_cndmask_b32_e32 v22, v22, v24, vcc_lo
	v_cndmask_b32_e32 v16, v16, v23, vcc_lo
	s_delay_alu instid0(VALU_DEP_2) | instskip(NEXT) | instid1(VALU_DEP_2)
	v_cmp_le_u32_e32 vcc_lo, s24, v22
	v_add_nc_u32_e32 v23, 1, v16
	s_delay_alu instid0(VALU_DEP_1)
	v_dual_cndmask_b32 v22, v16, v23 :: v_dual_mov_b32 v23, v15
.LBB54_33:                              ;   in Loop: Header=BB54_29 Depth=2
	s_or_b32 exec_lo, exec_lo, s2
	s_load_b64 s[34:35], s[22:23], 0xc8
	s_delay_alu instid0(VALU_DEP_1) | instskip(NEXT) | instid1(VALU_DEP_2)
	v_mul_lo_u32 v16, v23, s24
	v_mul_lo_u32 v27, v22, s25
	v_mad_u64_u32 v[24:25], null, v22, s24, 0
	s_add_i32 s4, s4, -1
	s_add_u32 s22, s22, -8
	s_addc_u32 s23, s23, -1
	s_cmp_gt_u32 s4, 2
	s_delay_alu instid0(VALU_DEP_1) | instskip(NEXT) | instid1(VALU_DEP_2)
	v_add3_u32 v16, v25, v27, v16
	v_sub_co_u32 v24, vcc_lo, v20, v24
	s_delay_alu instid0(VALU_DEP_2) | instskip(SKIP_1) | instid1(VALU_DEP_2)
	v_sub_co_ci_u32_e32 v16, vcc_lo, v21, v16, vcc_lo
	s_waitcnt lgkmcnt(0)
	v_mul_lo_u32 v25, s35, v24
	s_delay_alu instid0(VALU_DEP_2) | instskip(SKIP_1) | instid1(VALU_DEP_1)
	v_mul_lo_u32 v16, s34, v16
	v_mad_u64_u32 v[20:21], null, s34, v24, v[9:10]
	v_add3_u32 v10, v25, v21, v16
	s_delay_alu instid0(VALU_DEP_2)
	v_mov_b32_e32 v9, v20
	s_cbranch_scc0 .LBB54_35
; %bb.34:                               ;   in Loop: Header=BB54_29 Depth=2
	v_dual_mov_b32 v20, v22 :: v_dual_mov_b32 v21, v23
	s_branch .LBB54_29
.LBB54_35:                              ;   in Loop: Header=BB54_8 Depth=1
	v_mul_lo_u32 v16, s17, v22
	v_mul_lo_u32 v23, s16, v23
	v_mad_u64_u32 v[20:21], null, s16, v22, 0
	v_lshlrev_b64 v[9:10], 1, v[9:10]
	s_delay_alu instid0(VALU_DEP_2) | instskip(NEXT) | instid1(VALU_DEP_1)
	v_add3_u32 v21, v21, v23, v16
	v_lshlrev_b64 v[20:21], 1, v[20:21]
	s_delay_alu instid0(VALU_DEP_1) | instskip(NEXT) | instid1(VALU_DEP_2)
	v_add_co_u32 v16, vcc_lo, s18, v20
	v_add_co_ci_u32_e32 v20, vcc_lo, s19, v21, vcc_lo
	s_delay_alu instid0(VALU_DEP_2) | instskip(NEXT) | instid1(VALU_DEP_2)
	v_add_co_u32 v9, vcc_lo, v16, v9
	v_add_co_ci_u32_e32 v10, vcc_lo, v20, v10, vcc_lo
	global_load_u16 v51, v[9:10], off
.LBB54_36:                              ;   in Loop: Header=BB54_8 Depth=1
	s_or_b32 exec_lo, exec_lo, s3
	v_add_co_u32 v9, vcc_lo, v17, s31
	v_add_co_ci_u32_e32 v10, vcc_lo, 0, v18, vcc_lo
	s_delay_alu instid0(VALU_DEP_1) | instskip(NEXT) | instid1(VALU_DEP_1)
	v_cmp_gt_u64_e64 s2, s[6:7], v[9:10]
	s_and_saveexec_b32 s4, s2
	s_cbranch_execz .LBB54_45
; %bb.37:                               ;   in Loop: Header=BB54_8 Depth=1
	v_dual_mov_b32 v20, 0 :: v_dual_mov_b32 v23, v10
	v_dual_mov_b32 v21, 0 :: v_dual_mov_b32 v22, v9
	;; [unrolled: 1-line block ×3, first 2 shown]
	s_and_not1_b32 vcc_lo, exec_lo, s30
	s_mov_b64 s[22:23], s[20:21]
	s_mov_b32 s34, s33
	s_cbranch_vccnz .LBB54_44
.LBB54_38:                              ;   Parent Loop BB54_8 Depth=1
                                        ; =>  This Inner Loop Header: Depth=2
	s_load_b64 s[24:25], s[22:23], 0x0
                                        ; implicit-def: $vgpr24_vgpr25
	s_mov_b32 s3, exec_lo
	s_waitcnt lgkmcnt(0)
	v_or_b32_e32 v16, s25, v23
	s_delay_alu instid0(VALU_DEP_1)
	v_cmpx_ne_u64_e32 0, v[15:16]
	s_xor_b32 s35, exec_lo, s3
	s_cbranch_execz .LBB54_40
; %bb.39:                               ;   in Loop: Header=BB54_38 Depth=2
	v_cvt_f32_u32_e32 v16, s24
	v_cvt_f32_u32_e32 v24, s25
	s_sub_u32 s3, 0, s24
	s_subb_u32 s36, 0, s25
	s_delay_alu instid0(VALU_DEP_1) | instskip(NEXT) | instid1(VALU_DEP_1)
	v_fmac_f32_e32 v16, 0x4f800000, v24
	v_rcp_f32_e32 v16, v16
	s_waitcnt_depctr 0xfff
	v_mul_f32_e32 v16, 0x5f7ffffc, v16
	s_delay_alu instid0(VALU_DEP_1) | instskip(NEXT) | instid1(VALU_DEP_1)
	v_mul_f32_e32 v24, 0x2f800000, v16
	v_trunc_f32_e32 v24, v24
	s_delay_alu instid0(VALU_DEP_1) | instskip(SKIP_1) | instid1(VALU_DEP_2)
	v_fmac_f32_e32 v16, 0xcf800000, v24
	v_cvt_u32_f32_e32 v24, v24
	v_cvt_u32_f32_e32 v16, v16
	s_delay_alu instid0(VALU_DEP_2) | instskip(NEXT) | instid1(VALU_DEP_2)
	v_mul_lo_u32 v25, s3, v24
	v_mul_hi_u32 v27, s3, v16
	v_mul_lo_u32 v50, s36, v16
	s_delay_alu instid0(VALU_DEP_2) | instskip(SKIP_1) | instid1(VALU_DEP_2)
	v_add_nc_u32_e32 v25, v27, v25
	v_mul_lo_u32 v27, s3, v16
	v_add_nc_u32_e32 v25, v25, v50
	s_delay_alu instid0(VALU_DEP_2) | instskip(NEXT) | instid1(VALU_DEP_2)
	v_mul_hi_u32 v50, v16, v27
	v_mul_lo_u32 v53, v16, v25
	v_mul_hi_u32 v54, v16, v25
	v_mul_hi_u32 v55, v24, v27
	v_mul_lo_u32 v27, v24, v27
	v_mul_hi_u32 v56, v24, v25
	v_mul_lo_u32 v25, v24, v25
	v_add_co_u32 v50, vcc_lo, v50, v53
	v_add_co_ci_u32_e32 v53, vcc_lo, 0, v54, vcc_lo
	s_delay_alu instid0(VALU_DEP_2) | instskip(NEXT) | instid1(VALU_DEP_2)
	v_add_co_u32 v27, vcc_lo, v50, v27
	v_add_co_ci_u32_e32 v27, vcc_lo, v53, v55, vcc_lo
	v_add_co_ci_u32_e32 v50, vcc_lo, 0, v56, vcc_lo
	s_delay_alu instid0(VALU_DEP_2) | instskip(NEXT) | instid1(VALU_DEP_2)
	v_add_co_u32 v25, vcc_lo, v27, v25
	v_add_co_ci_u32_e32 v27, vcc_lo, 0, v50, vcc_lo
	s_delay_alu instid0(VALU_DEP_2) | instskip(NEXT) | instid1(VALU_DEP_2)
	v_add_co_u32 v16, vcc_lo, v16, v25
	v_add_co_ci_u32_e32 v24, vcc_lo, v24, v27, vcc_lo
	s_delay_alu instid0(VALU_DEP_2) | instskip(SKIP_1) | instid1(VALU_DEP_3)
	v_mul_hi_u32 v25, s3, v16
	v_mul_lo_u32 v50, s36, v16
	v_mul_lo_u32 v27, s3, v24
	s_delay_alu instid0(VALU_DEP_1) | instskip(SKIP_1) | instid1(VALU_DEP_2)
	v_add_nc_u32_e32 v25, v25, v27
	v_mul_lo_u32 v27, s3, v16
	v_add_nc_u32_e32 v25, v25, v50
	s_delay_alu instid0(VALU_DEP_2) | instskip(NEXT) | instid1(VALU_DEP_2)
	v_mul_hi_u32 v50, v16, v27
	v_mul_lo_u32 v53, v16, v25
	v_mul_hi_u32 v54, v16, v25
	v_mul_hi_u32 v55, v24, v27
	v_mul_lo_u32 v27, v24, v27
	v_mul_hi_u32 v56, v24, v25
	v_mul_lo_u32 v25, v24, v25
	v_add_co_u32 v50, vcc_lo, v50, v53
	v_add_co_ci_u32_e32 v53, vcc_lo, 0, v54, vcc_lo
	s_delay_alu instid0(VALU_DEP_2) | instskip(NEXT) | instid1(VALU_DEP_2)
	v_add_co_u32 v27, vcc_lo, v50, v27
	v_add_co_ci_u32_e32 v27, vcc_lo, v53, v55, vcc_lo
	v_add_co_ci_u32_e32 v50, vcc_lo, 0, v56, vcc_lo
	s_delay_alu instid0(VALU_DEP_2) | instskip(NEXT) | instid1(VALU_DEP_2)
	v_add_co_u32 v25, vcc_lo, v27, v25
	v_add_co_ci_u32_e32 v27, vcc_lo, 0, v50, vcc_lo
	s_delay_alu instid0(VALU_DEP_2) | instskip(NEXT) | instid1(VALU_DEP_2)
	v_add_co_u32 v16, vcc_lo, v16, v25
	v_add_co_ci_u32_e32 v27, vcc_lo, v24, v27, vcc_lo
	s_delay_alu instid0(VALU_DEP_2) | instskip(SKIP_1) | instid1(VALU_DEP_3)
	v_mul_hi_u32 v50, v22, v16
	v_mad_u64_u32 v[53:54], null, v23, v16, 0
	v_mad_u64_u32 v[24:25], null, v22, v27, 0
	;; [unrolled: 1-line block ×3, first 2 shown]
	s_delay_alu instid0(VALU_DEP_2) | instskip(NEXT) | instid1(VALU_DEP_3)
	v_add_co_u32 v16, vcc_lo, v50, v24
	v_add_co_ci_u32_e32 v24, vcc_lo, 0, v25, vcc_lo
	s_delay_alu instid0(VALU_DEP_2) | instskip(NEXT) | instid1(VALU_DEP_2)
	v_add_co_u32 v16, vcc_lo, v16, v53
	v_add_co_ci_u32_e32 v16, vcc_lo, v24, v54, vcc_lo
	v_add_co_ci_u32_e32 v24, vcc_lo, 0, v56, vcc_lo
	s_delay_alu instid0(VALU_DEP_2) | instskip(NEXT) | instid1(VALU_DEP_2)
	v_add_co_u32 v16, vcc_lo, v16, v55
	v_add_co_ci_u32_e32 v27, vcc_lo, 0, v24, vcc_lo
	s_delay_alu instid0(VALU_DEP_2) | instskip(SKIP_1) | instid1(VALU_DEP_3)
	v_mul_lo_u32 v50, s25, v16
	v_mad_u64_u32 v[24:25], null, s24, v16, 0
	v_mul_lo_u32 v53, s24, v27
	s_delay_alu instid0(VALU_DEP_2) | instskip(NEXT) | instid1(VALU_DEP_2)
	v_sub_co_u32 v24, vcc_lo, v22, v24
	v_add3_u32 v25, v25, v53, v50
	s_delay_alu instid0(VALU_DEP_1) | instskip(NEXT) | instid1(VALU_DEP_1)
	v_sub_nc_u32_e32 v50, v23, v25
	v_subrev_co_ci_u32_e64 v50, s3, s25, v50, vcc_lo
	v_add_co_u32 v53, s3, v16, 2
	s_delay_alu instid0(VALU_DEP_1) | instskip(SKIP_3) | instid1(VALU_DEP_3)
	v_add_co_ci_u32_e64 v54, s3, 0, v27, s3
	v_sub_co_u32 v55, s3, v24, s24
	v_sub_co_ci_u32_e32 v25, vcc_lo, v23, v25, vcc_lo
	v_subrev_co_ci_u32_e64 v50, s3, 0, v50, s3
	v_cmp_le_u32_e32 vcc_lo, s24, v55
	s_delay_alu instid0(VALU_DEP_3) | instskip(SKIP_1) | instid1(VALU_DEP_4)
	v_cmp_eq_u32_e64 s3, s25, v25
	v_cndmask_b32_e64 v55, 0, -1, vcc_lo
	v_cmp_le_u32_e32 vcc_lo, s25, v50
	v_cndmask_b32_e64 v56, 0, -1, vcc_lo
	v_cmp_le_u32_e32 vcc_lo, s24, v24
	v_cndmask_b32_e64 v24, 0, -1, vcc_lo
	v_cmp_le_u32_e32 vcc_lo, s25, v25
	v_cndmask_b32_e64 v57, 0, -1, vcc_lo
	v_cmp_eq_u32_e32 vcc_lo, s25, v50
	s_delay_alu instid0(VALU_DEP_2) | instskip(SKIP_3) | instid1(VALU_DEP_3)
	v_cndmask_b32_e64 v24, v57, v24, s3
	v_cndmask_b32_e32 v50, v56, v55, vcc_lo
	v_add_co_u32 v55, vcc_lo, v16, 1
	v_add_co_ci_u32_e32 v56, vcc_lo, 0, v27, vcc_lo
	v_cmp_ne_u32_e32 vcc_lo, 0, v50
	s_delay_alu instid0(VALU_DEP_2) | instskip(SKIP_1) | instid1(VALU_DEP_2)
	v_dual_cndmask_b32 v25, v56, v54 :: v_dual_cndmask_b32 v50, v55, v53
	v_cmp_ne_u32_e32 vcc_lo, 0, v24
	v_dual_cndmask_b32 v25, v27, v25 :: v_dual_cndmask_b32 v24, v16, v50
.LBB54_40:                              ;   in Loop: Header=BB54_38 Depth=2
	s_and_not1_saveexec_b32 s3, s35
	s_cbranch_execz .LBB54_42
; %bb.41:                               ;   in Loop: Header=BB54_38 Depth=2
	v_cvt_f32_u32_e32 v16, s24
	s_sub_i32 s35, 0, s24
	s_delay_alu instid0(VALU_DEP_1) | instskip(SKIP_2) | instid1(VALU_DEP_1)
	v_rcp_iflag_f32_e32 v16, v16
	s_waitcnt_depctr 0xfff
	v_mul_f32_e32 v16, 0x4f7ffffe, v16
	v_cvt_u32_f32_e32 v16, v16
	s_delay_alu instid0(VALU_DEP_1) | instskip(NEXT) | instid1(VALU_DEP_1)
	v_mul_lo_u32 v24, s35, v16
	v_mul_hi_u32 v24, v16, v24
	s_delay_alu instid0(VALU_DEP_1) | instskip(NEXT) | instid1(VALU_DEP_1)
	v_add_nc_u32_e32 v16, v16, v24
	v_mul_hi_u32 v16, v22, v16
	s_delay_alu instid0(VALU_DEP_1) | instskip(NEXT) | instid1(VALU_DEP_1)
	v_mul_lo_u32 v24, v16, s24
	v_sub_nc_u32_e32 v24, v22, v24
	s_delay_alu instid0(VALU_DEP_1) | instskip(SKIP_1) | instid1(VALU_DEP_2)
	v_subrev_nc_u32_e32 v27, s24, v24
	v_cmp_le_u32_e32 vcc_lo, s24, v24
	v_dual_cndmask_b32 v24, v24, v27 :: v_dual_add_nc_u32 v25, 1, v16
	s_delay_alu instid0(VALU_DEP_1) | instskip(NEXT) | instid1(VALU_DEP_2)
	v_cndmask_b32_e32 v16, v16, v25, vcc_lo
	v_cmp_le_u32_e32 vcc_lo, s24, v24
	s_delay_alu instid0(VALU_DEP_2) | instskip(NEXT) | instid1(VALU_DEP_1)
	v_add_nc_u32_e32 v25, 1, v16
	v_dual_cndmask_b32 v24, v16, v25 :: v_dual_mov_b32 v25, v15
.LBB54_42:                              ;   in Loop: Header=BB54_38 Depth=2
	s_or_b32 exec_lo, exec_lo, s3
	s_load_b64 s[36:37], s[22:23], 0xc8
	s_delay_alu instid0(VALU_DEP_1) | instskip(NEXT) | instid1(VALU_DEP_2)
	v_mul_lo_u32 v16, v25, s24
	v_mul_lo_u32 v27, v24, s25
	v_mad_u64_u32 v[53:54], null, v24, s24, 0
	s_add_i32 s34, s34, -1
	s_add_u32 s22, s22, -8
	s_addc_u32 s23, s23, -1
	s_cmp_gt_u32 s34, 2
	s_delay_alu instid0(VALU_DEP_1) | instskip(NEXT) | instid1(VALU_DEP_2)
	v_add3_u32 v16, v54, v27, v16
	v_sub_co_u32 v27, vcc_lo, v22, v53
	s_delay_alu instid0(VALU_DEP_2) | instskip(SKIP_1) | instid1(VALU_DEP_2)
	v_sub_co_ci_u32_e32 v16, vcc_lo, v23, v16, vcc_lo
	s_waitcnt lgkmcnt(0)
	v_mul_lo_u32 v50, s37, v27
	s_delay_alu instid0(VALU_DEP_2) | instskip(SKIP_1) | instid1(VALU_DEP_1)
	v_mul_lo_u32 v16, s36, v16
	v_mad_u64_u32 v[22:23], null, s36, v27, v[20:21]
	v_add3_u32 v21, v50, v23, v16
	s_delay_alu instid0(VALU_DEP_2)
	v_mov_b32_e32 v20, v22
	s_cbranch_scc0 .LBB54_44
; %bb.43:                               ;   in Loop: Header=BB54_38 Depth=2
	v_dual_mov_b32 v22, v24 :: v_dual_mov_b32 v23, v25
	s_branch .LBB54_38
.LBB54_44:                              ;   in Loop: Header=BB54_8 Depth=1
	v_mul_lo_u32 v16, s17, v24
	v_mul_lo_u32 v25, s16, v25
	v_mad_u64_u32 v[22:23], null, s16, v24, 0
	v_lshlrev_b64 v[20:21], 1, v[20:21]
	s_delay_alu instid0(VALU_DEP_2) | instskip(NEXT) | instid1(VALU_DEP_1)
	v_add3_u32 v23, v23, v25, v16
	v_lshlrev_b64 v[22:23], 1, v[22:23]
	s_delay_alu instid0(VALU_DEP_1) | instskip(NEXT) | instid1(VALU_DEP_2)
	v_add_co_u32 v16, vcc_lo, s18, v22
	v_add_co_ci_u32_e32 v22, vcc_lo, s19, v23, vcc_lo
	s_delay_alu instid0(VALU_DEP_2) | instskip(NEXT) | instid1(VALU_DEP_2)
	v_add_co_u32 v20, vcc_lo, v16, v20
	v_add_co_ci_u32_e32 v21, vcc_lo, v22, v21, vcc_lo
	global_load_u16 v50, v[20:21], off
.LBB54_45:                              ;   in Loop: Header=BB54_8 Depth=1
	s_or_b32 exec_lo, exec_lo, s4
	v_add_co_u32 v20, vcc_lo, v17, s29
	v_add_co_ci_u32_e32 v21, vcc_lo, 0, v18, vcc_lo
	s_delay_alu instid0(VALU_DEP_1) | instskip(NEXT) | instid1(VALU_DEP_1)
	v_cmp_gt_u64_e64 s3, s[6:7], v[20:21]
	s_and_saveexec_b32 s34, s3
	s_cbranch_execnz .LBB54_50
; %bb.46:                               ;   in Loop: Header=BB54_8 Depth=1
	s_or_b32 exec_lo, exec_lo, s34
	s_and_saveexec_b32 s4, s0
	s_cbranch_execnz .LBB54_58
.LBB54_47:                              ;   in Loop: Header=BB54_8 Depth=1
	s_or_b32 exec_lo, exec_lo, s4
	s_and_saveexec_b32 s4, s1
	s_cbranch_execnz .LBB54_59
.LBB54_48:                              ;   in Loop: Header=BB54_8 Depth=1
	s_or_b32 exec_lo, exec_lo, s4
	s_and_saveexec_b32 s1, s2
	s_cbranch_execnz .LBB54_60
.LBB54_49:                              ;   in Loop: Header=BB54_8 Depth=1
	s_or_b32 exec_lo, exec_lo, s1
	s_and_saveexec_b32 s1, s3
	s_cbranch_execz .LBB54_7
	s_branch .LBB54_61
.LBB54_50:                              ;   in Loop: Header=BB54_8 Depth=1
	v_dual_mov_b32 v22, 0 :: v_dual_mov_b32 v25, v21
	v_dual_mov_b32 v23, 0 :: v_dual_mov_b32 v24, v20
	;; [unrolled: 1-line block ×3, first 2 shown]
	s_and_not1_b32 vcc_lo, exec_lo, s30
	s_mov_b64 s[22:23], s[20:21]
	s_mov_b32 s35, s33
	s_cbranch_vccnz .LBB54_57
.LBB54_51:                              ;   Parent Loop BB54_8 Depth=1
                                        ; =>  This Inner Loop Header: Depth=2
	s_load_b64 s[24:25], s[22:23], 0x0
                                        ; implicit-def: $vgpr26_vgpr27
	s_mov_b32 s4, exec_lo
	s_waitcnt lgkmcnt(0)
	v_or_b32_e32 v16, s25, v25
	s_delay_alu instid0(VALU_DEP_1)
	v_cmpx_ne_u64_e32 0, v[15:16]
	s_xor_b32 s36, exec_lo, s4
	s_cbranch_execz .LBB54_53
; %bb.52:                               ;   in Loop: Header=BB54_51 Depth=2
	v_cvt_f32_u32_e32 v16, s24
	v_cvt_f32_u32_e32 v26, s25
	s_sub_u32 s4, 0, s24
	s_subb_u32 s37, 0, s25
	s_delay_alu instid0(VALU_DEP_1) | instskip(NEXT) | instid1(VALU_DEP_1)
	v_fmac_f32_e32 v16, 0x4f800000, v26
	v_rcp_f32_e32 v16, v16
	s_waitcnt_depctr 0xfff
	v_mul_f32_e32 v16, 0x5f7ffffc, v16
	s_delay_alu instid0(VALU_DEP_1) | instskip(NEXT) | instid1(VALU_DEP_1)
	v_mul_f32_e32 v26, 0x2f800000, v16
	v_trunc_f32_e32 v26, v26
	s_delay_alu instid0(VALU_DEP_1) | instskip(SKIP_1) | instid1(VALU_DEP_2)
	v_fmac_f32_e32 v16, 0xcf800000, v26
	v_cvt_u32_f32_e32 v26, v26
	v_cvt_u32_f32_e32 v16, v16
	s_delay_alu instid0(VALU_DEP_2) | instskip(NEXT) | instid1(VALU_DEP_2)
	v_mul_lo_u32 v27, s4, v26
	v_mul_hi_u32 v53, s4, v16
	v_mul_lo_u32 v54, s37, v16
	s_delay_alu instid0(VALU_DEP_2) | instskip(SKIP_1) | instid1(VALU_DEP_2)
	v_add_nc_u32_e32 v27, v53, v27
	v_mul_lo_u32 v53, s4, v16
	v_add_nc_u32_e32 v27, v27, v54
	s_delay_alu instid0(VALU_DEP_2) | instskip(NEXT) | instid1(VALU_DEP_2)
	v_mul_hi_u32 v54, v16, v53
	v_mul_lo_u32 v55, v16, v27
	v_mul_hi_u32 v56, v16, v27
	v_mul_hi_u32 v57, v26, v53
	v_mul_lo_u32 v53, v26, v53
	v_mul_hi_u32 v58, v26, v27
	v_mul_lo_u32 v27, v26, v27
	v_add_co_u32 v54, vcc_lo, v54, v55
	v_add_co_ci_u32_e32 v55, vcc_lo, 0, v56, vcc_lo
	s_delay_alu instid0(VALU_DEP_2) | instskip(NEXT) | instid1(VALU_DEP_2)
	v_add_co_u32 v53, vcc_lo, v54, v53
	v_add_co_ci_u32_e32 v53, vcc_lo, v55, v57, vcc_lo
	v_add_co_ci_u32_e32 v54, vcc_lo, 0, v58, vcc_lo
	s_delay_alu instid0(VALU_DEP_2) | instskip(NEXT) | instid1(VALU_DEP_2)
	v_add_co_u32 v27, vcc_lo, v53, v27
	v_add_co_ci_u32_e32 v53, vcc_lo, 0, v54, vcc_lo
	s_delay_alu instid0(VALU_DEP_2) | instskip(NEXT) | instid1(VALU_DEP_2)
	v_add_co_u32 v16, vcc_lo, v16, v27
	v_add_co_ci_u32_e32 v26, vcc_lo, v26, v53, vcc_lo
	s_delay_alu instid0(VALU_DEP_2) | instskip(SKIP_1) | instid1(VALU_DEP_3)
	v_mul_hi_u32 v27, s4, v16
	v_mul_lo_u32 v54, s37, v16
	v_mul_lo_u32 v53, s4, v26
	s_delay_alu instid0(VALU_DEP_1) | instskip(SKIP_1) | instid1(VALU_DEP_2)
	v_add_nc_u32_e32 v27, v27, v53
	v_mul_lo_u32 v53, s4, v16
	v_add_nc_u32_e32 v27, v27, v54
	s_delay_alu instid0(VALU_DEP_2) | instskip(NEXT) | instid1(VALU_DEP_2)
	v_mul_hi_u32 v54, v16, v53
	v_mul_lo_u32 v55, v16, v27
	v_mul_hi_u32 v56, v16, v27
	v_mul_hi_u32 v57, v26, v53
	v_mul_lo_u32 v53, v26, v53
	v_mul_hi_u32 v58, v26, v27
	v_mul_lo_u32 v27, v26, v27
	v_add_co_u32 v54, vcc_lo, v54, v55
	v_add_co_ci_u32_e32 v55, vcc_lo, 0, v56, vcc_lo
	s_delay_alu instid0(VALU_DEP_2) | instskip(NEXT) | instid1(VALU_DEP_2)
	v_add_co_u32 v53, vcc_lo, v54, v53
	v_add_co_ci_u32_e32 v53, vcc_lo, v55, v57, vcc_lo
	v_add_co_ci_u32_e32 v54, vcc_lo, 0, v58, vcc_lo
	s_delay_alu instid0(VALU_DEP_2) | instskip(NEXT) | instid1(VALU_DEP_2)
	v_add_co_u32 v27, vcc_lo, v53, v27
	v_add_co_ci_u32_e32 v53, vcc_lo, 0, v54, vcc_lo
	s_delay_alu instid0(VALU_DEP_2) | instskip(NEXT) | instid1(VALU_DEP_2)
	v_add_co_u32 v16, vcc_lo, v16, v27
	v_add_co_ci_u32_e32 v57, vcc_lo, v26, v53, vcc_lo
	s_delay_alu instid0(VALU_DEP_2) | instskip(SKIP_1) | instid1(VALU_DEP_3)
	v_mul_hi_u32 v58, v24, v16
	v_mad_u64_u32 v[53:54], null, v25, v16, 0
	v_mad_u64_u32 v[26:27], null, v24, v57, 0
	;; [unrolled: 1-line block ×3, first 2 shown]
	s_delay_alu instid0(VALU_DEP_2) | instskip(NEXT) | instid1(VALU_DEP_3)
	v_add_co_u32 v16, vcc_lo, v58, v26
	v_add_co_ci_u32_e32 v26, vcc_lo, 0, v27, vcc_lo
	s_delay_alu instid0(VALU_DEP_2) | instskip(NEXT) | instid1(VALU_DEP_2)
	v_add_co_u32 v16, vcc_lo, v16, v53
	v_add_co_ci_u32_e32 v16, vcc_lo, v26, v54, vcc_lo
	v_add_co_ci_u32_e32 v26, vcc_lo, 0, v56, vcc_lo
	s_delay_alu instid0(VALU_DEP_2) | instskip(NEXT) | instid1(VALU_DEP_2)
	v_add_co_u32 v16, vcc_lo, v16, v55
	v_add_co_ci_u32_e32 v53, vcc_lo, 0, v26, vcc_lo
	s_delay_alu instid0(VALU_DEP_2) | instskip(SKIP_1) | instid1(VALU_DEP_3)
	v_mul_lo_u32 v54, s25, v16
	v_mad_u64_u32 v[26:27], null, s24, v16, 0
	v_mul_lo_u32 v55, s24, v53
	s_delay_alu instid0(VALU_DEP_2) | instskip(NEXT) | instid1(VALU_DEP_2)
	v_sub_co_u32 v26, vcc_lo, v24, v26
	v_add3_u32 v27, v27, v55, v54
	s_delay_alu instid0(VALU_DEP_1) | instskip(NEXT) | instid1(VALU_DEP_1)
	v_sub_nc_u32_e32 v54, v25, v27
	v_subrev_co_ci_u32_e64 v54, s4, s25, v54, vcc_lo
	v_add_co_u32 v55, s4, v16, 2
	s_delay_alu instid0(VALU_DEP_1) | instskip(SKIP_3) | instid1(VALU_DEP_3)
	v_add_co_ci_u32_e64 v56, s4, 0, v53, s4
	v_sub_co_u32 v57, s4, v26, s24
	v_sub_co_ci_u32_e32 v27, vcc_lo, v25, v27, vcc_lo
	v_subrev_co_ci_u32_e64 v54, s4, 0, v54, s4
	v_cmp_le_u32_e32 vcc_lo, s24, v57
	s_delay_alu instid0(VALU_DEP_3) | instskip(SKIP_1) | instid1(VALU_DEP_4)
	v_cmp_eq_u32_e64 s4, s25, v27
	v_cndmask_b32_e64 v57, 0, -1, vcc_lo
	v_cmp_le_u32_e32 vcc_lo, s25, v54
	v_cndmask_b32_e64 v58, 0, -1, vcc_lo
	v_cmp_le_u32_e32 vcc_lo, s24, v26
	;; [unrolled: 2-line block ×3, first 2 shown]
	v_cndmask_b32_e64 v59, 0, -1, vcc_lo
	v_cmp_eq_u32_e32 vcc_lo, s25, v54
	s_delay_alu instid0(VALU_DEP_2) | instskip(SKIP_3) | instid1(VALU_DEP_3)
	v_cndmask_b32_e64 v26, v59, v26, s4
	v_cndmask_b32_e32 v54, v58, v57, vcc_lo
	v_add_co_u32 v57, vcc_lo, v16, 1
	v_add_co_ci_u32_e32 v58, vcc_lo, 0, v53, vcc_lo
	v_cmp_ne_u32_e32 vcc_lo, 0, v54
	s_delay_alu instid0(VALU_DEP_2) | instskip(SKIP_1) | instid1(VALU_DEP_2)
	v_dual_cndmask_b32 v27, v58, v56 :: v_dual_cndmask_b32 v54, v57, v55
	v_cmp_ne_u32_e32 vcc_lo, 0, v26
	v_dual_cndmask_b32 v27, v53, v27 :: v_dual_cndmask_b32 v26, v16, v54
.LBB54_53:                              ;   in Loop: Header=BB54_51 Depth=2
	s_and_not1_saveexec_b32 s4, s36
	s_cbranch_execz .LBB54_55
; %bb.54:                               ;   in Loop: Header=BB54_51 Depth=2
	v_cvt_f32_u32_e32 v16, s24
	s_sub_i32 s36, 0, s24
	s_delay_alu instid0(VALU_DEP_1) | instskip(SKIP_2) | instid1(VALU_DEP_1)
	v_rcp_iflag_f32_e32 v16, v16
	s_waitcnt_depctr 0xfff
	v_mul_f32_e32 v16, 0x4f7ffffe, v16
	v_cvt_u32_f32_e32 v16, v16
	s_delay_alu instid0(VALU_DEP_1) | instskip(NEXT) | instid1(VALU_DEP_1)
	v_mul_lo_u32 v26, s36, v16
	v_mul_hi_u32 v26, v16, v26
	s_delay_alu instid0(VALU_DEP_1) | instskip(NEXT) | instid1(VALU_DEP_1)
	v_add_nc_u32_e32 v16, v16, v26
	v_mul_hi_u32 v16, v24, v16
	s_delay_alu instid0(VALU_DEP_1) | instskip(NEXT) | instid1(VALU_DEP_1)
	v_mul_lo_u32 v26, v16, s24
	v_sub_nc_u32_e32 v26, v24, v26
	s_delay_alu instid0(VALU_DEP_1) | instskip(SKIP_1) | instid1(VALU_DEP_2)
	v_subrev_nc_u32_e32 v53, s24, v26
	v_cmp_le_u32_e32 vcc_lo, s24, v26
	v_dual_cndmask_b32 v26, v26, v53 :: v_dual_add_nc_u32 v27, 1, v16
	s_delay_alu instid0(VALU_DEP_1) | instskip(NEXT) | instid1(VALU_DEP_2)
	v_cndmask_b32_e32 v16, v16, v27, vcc_lo
	v_cmp_le_u32_e32 vcc_lo, s24, v26
	s_delay_alu instid0(VALU_DEP_2) | instskip(NEXT) | instid1(VALU_DEP_1)
	v_add_nc_u32_e32 v27, 1, v16
	v_dual_cndmask_b32 v26, v16, v27 :: v_dual_mov_b32 v27, v15
.LBB54_55:                              ;   in Loop: Header=BB54_51 Depth=2
	s_or_b32 exec_lo, exec_lo, s4
	s_load_b64 s[36:37], s[22:23], 0xc8
	s_delay_alu instid0(VALU_DEP_1) | instskip(NEXT) | instid1(VALU_DEP_2)
	v_mul_lo_u32 v16, v27, s24
	v_mul_lo_u32 v55, v26, s25
	v_mad_u64_u32 v[53:54], null, v26, s24, 0
	s_add_i32 s35, s35, -1
	s_add_u32 s22, s22, -8
	s_addc_u32 s23, s23, -1
	s_cmp_gt_u32 s35, 2
	s_delay_alu instid0(VALU_DEP_1) | instskip(NEXT) | instid1(VALU_DEP_2)
	v_add3_u32 v16, v54, v55, v16
	v_sub_co_u32 v53, vcc_lo, v24, v53
	s_delay_alu instid0(VALU_DEP_2) | instskip(SKIP_1) | instid1(VALU_DEP_2)
	v_sub_co_ci_u32_e32 v16, vcc_lo, v25, v16, vcc_lo
	s_waitcnt lgkmcnt(0)
	v_mul_lo_u32 v54, s37, v53
	s_delay_alu instid0(VALU_DEP_2) | instskip(SKIP_1) | instid1(VALU_DEP_1)
	v_mul_lo_u32 v16, s36, v16
	v_mad_u64_u32 v[24:25], null, s36, v53, v[22:23]
	v_add3_u32 v23, v54, v25, v16
	s_delay_alu instid0(VALU_DEP_2)
	v_mov_b32_e32 v22, v24
	s_cbranch_scc0 .LBB54_57
; %bb.56:                               ;   in Loop: Header=BB54_51 Depth=2
	v_dual_mov_b32 v24, v26 :: v_dual_mov_b32 v25, v27
	s_branch .LBB54_51
.LBB54_57:                              ;   in Loop: Header=BB54_8 Depth=1
	v_mul_lo_u32 v16, s17, v26
	v_mul_lo_u32 v27, s16, v27
	v_mad_u64_u32 v[24:25], null, s16, v26, 0
	v_lshlrev_b64 v[22:23], 1, v[22:23]
	s_delay_alu instid0(VALU_DEP_2) | instskip(NEXT) | instid1(VALU_DEP_1)
	v_add3_u32 v25, v25, v27, v16
	v_lshlrev_b64 v[24:25], 1, v[24:25]
	s_delay_alu instid0(VALU_DEP_1) | instskip(NEXT) | instid1(VALU_DEP_2)
	v_add_co_u32 v16, vcc_lo, s18, v24
	v_add_co_ci_u32_e32 v24, vcc_lo, s19, v25, vcc_lo
	s_delay_alu instid0(VALU_DEP_2) | instskip(NEXT) | instid1(VALU_DEP_2)
	v_add_co_u32 v22, vcc_lo, v16, v22
	v_add_co_ci_u32_e32 v23, vcc_lo, v24, v23, vcc_lo
	global_load_u16 v26, v[22:23], off
	s_or_b32 exec_lo, exec_lo, s34
	s_and_saveexec_b32 s4, s0
	s_cbranch_execz .LBB54_47
.LBB54_58:                              ;   in Loop: Header=BB54_8 Depth=1
	v_cvt_f32_u32_e32 v0, v0
	s_waitcnt vmcnt(0)
	v_lshlrev_b32_e32 v16, 16, v52
	v_mul_lo_u32 v24, v18, s10
	v_mul_lo_u32 v25, v17, s11
	v_mad_u64_u32 v[22:23], null, v17, s10, 0
	v_fmaak_f32 v0, 0x2f800000, v0, 0x2f800000
	s_delay_alu instid0(VALU_DEP_1) | instskip(NEXT) | instid1(VALU_DEP_3)
	v_cmp_gt_f32_e32 vcc_lo, s28, v0
	v_add3_u32 v23, v23, v25, v24
	v_cndmask_b32_e64 v0, 0, 1.0, vcc_lo
	s_delay_alu instid0(VALU_DEP_2) | instskip(SKIP_1) | instid1(VALU_DEP_1)
	v_lshlrev_b64 v[24:25], 1, v[22:23]
	v_add_co_u32 v22, s0, s12, v22
	v_add_co_ci_u32_e64 v23, s0, s13, v23, s0
	s_delay_alu instid0(VALU_DEP_4) | instskip(NEXT) | instid1(VALU_DEP_4)
	v_mul_f32_e32 v0, v0, v16
	v_add_co_u32 v24, s0, s14, v24
	s_delay_alu instid0(VALU_DEP_1) | instskip(NEXT) | instid1(VALU_DEP_3)
	v_add_co_ci_u32_e64 v25, s0, s15, v25, s0
	v_mul_f32_e32 v0, v48, v0
	s_delay_alu instid0(VALU_DEP_1) | instskip(SKIP_1) | instid1(VALU_DEP_2)
	v_bfe_u32 v16, v0, 16, 1
	v_cmp_o_f32_e64 s0, v0, v0
	v_add3_u32 v16, v0, v16, 0x7fff
	s_delay_alu instid0(VALU_DEP_1) | instskip(NEXT) | instid1(VALU_DEP_1)
	v_lshrrev_b32_e32 v16, 16, v16
	v_cndmask_b32_e64 v0, 0x7fc0, v16, s0
	v_cndmask_b32_e64 v16, 0, 1, vcc_lo
	global_store_b16 v[24:25], v0, off
	global_store_b8 v[22:23], v16, off
	s_or_b32 exec_lo, exec_lo, s4
	s_and_saveexec_b32 s4, s1
	s_cbranch_execz .LBB54_48
.LBB54_59:                              ;   in Loop: Header=BB54_8 Depth=1
	v_cvt_f32_u32_e32 v0, v1
	v_mul_lo_u32 v8, v8, s10
	v_mul_lo_u32 v16, v7, s11
	s_waitcnt vmcnt(0)
	s_delay_alu instid0(VALU_DEP_3) | instskip(NEXT) | instid1(VALU_DEP_1)
	v_dual_fmaak_f32 v0, 0x2f800000, v0, 0x2f800000 :: v_dual_lshlrev_b32 v1, 16, v51
	v_cmp_gt_f32_e32 vcc_lo, s28, v0
	v_cndmask_b32_e64 v0, 0, 1.0, vcc_lo
	s_delay_alu instid0(VALU_DEP_1) | instskip(SKIP_1) | instid1(VALU_DEP_2)
	v_mul_f32_e32 v22, v0, v1
	v_mad_u64_u32 v[0:1], null, v7, s10, 0
	v_mul_f32_e32 v22, v48, v22
	s_delay_alu instid0(VALU_DEP_2) | instskip(NEXT) | instid1(VALU_DEP_2)
	v_add3_u32 v1, v1, v16, v8
	v_bfe_u32 v16, v22, 16, 1
	s_delay_alu instid0(VALU_DEP_2) | instskip(SKIP_1) | instid1(VALU_DEP_3)
	v_lshlrev_b64 v[7:8], 1, v[0:1]
	v_add_co_u32 v0, s0, s12, v0
	v_add3_u32 v16, v22, v16, 0x7fff
	v_add_co_ci_u32_e64 v1, s0, s13, v1, s0
	s_delay_alu instid0(VALU_DEP_4) | instskip(NEXT) | instid1(VALU_DEP_1)
	v_add_co_u32 v7, s0, s14, v7
	v_add_co_ci_u32_e64 v8, s0, s15, v8, s0
	s_delay_alu instid0(VALU_DEP_4) | instskip(SKIP_2) | instid1(VALU_DEP_2)
	v_lshrrev_b32_e32 v16, 16, v16
	v_cmp_o_f32_e64 s0, v22, v22
	v_cndmask_b32_e64 v22, 0, 1, vcc_lo
	v_cndmask_b32_e64 v16, 0x7fc0, v16, s0
	global_store_b16 v[7:8], v16, off
	global_store_b8 v[0:1], v22, off
	s_or_b32 exec_lo, exec_lo, s4
	s_and_saveexec_b32 s1, s2
	s_cbranch_execz .LBB54_49
.LBB54_60:                              ;   in Loop: Header=BB54_8 Depth=1
	v_cvt_f32_u32_e32 v0, v2
	v_mul_lo_u32 v2, v10, s10
	v_mul_lo_u32 v7, v9, s11
	s_waitcnt vmcnt(0)
	s_delay_alu instid0(VALU_DEP_3) | instskip(NEXT) | instid1(VALU_DEP_1)
	v_dual_fmaak_f32 v0, 0x2f800000, v0, 0x2f800000 :: v_dual_lshlrev_b32 v1, 16, v50
	v_cmp_gt_f32_e32 vcc_lo, s28, v0
	v_cndmask_b32_e64 v0, 0, 1.0, vcc_lo
	s_delay_alu instid0(VALU_DEP_1) | instskip(SKIP_1) | instid1(VALU_DEP_2)
	v_mul_f32_e32 v8, v0, v1
	v_mad_u64_u32 v[0:1], null, v9, s10, 0
	v_mul_f32_e32 v9, v48, v8
	s_delay_alu instid0(VALU_DEP_2) | instskip(NEXT) | instid1(VALU_DEP_2)
	v_add3_u32 v1, v1, v7, v2
	v_bfe_u32 v2, v9, 16, 1
	s_delay_alu instid0(VALU_DEP_2) | instskip(SKIP_1) | instid1(VALU_DEP_3)
	v_lshlrev_b64 v[7:8], 1, v[0:1]
	v_add_co_u32 v0, s0, s12, v0
	v_add3_u32 v2, v9, v2, 0x7fff
	v_add_co_ci_u32_e64 v1, s0, s13, v1, s0
	s_delay_alu instid0(VALU_DEP_4) | instskip(NEXT) | instid1(VALU_DEP_1)
	v_add_co_u32 v7, s0, s14, v7
	v_add_co_ci_u32_e64 v8, s0, s15, v8, s0
	s_delay_alu instid0(VALU_DEP_4) | instskip(SKIP_2) | instid1(VALU_DEP_2)
	v_lshrrev_b32_e32 v2, 16, v2
	v_cmp_o_f32_e64 s0, v9, v9
	v_cndmask_b32_e64 v9, 0, 1, vcc_lo
	v_cndmask_b32_e64 v2, 0x7fc0, v2, s0
	global_store_b16 v[7:8], v2, off
	global_store_b8 v[0:1], v9, off
	s_or_b32 exec_lo, exec_lo, s1
	s_and_saveexec_b32 s1, s3
	s_cbranch_execz .LBB54_7
.LBB54_61:                              ;   in Loop: Header=BB54_8 Depth=1
	v_cvt_f32_u32_e32 v0, v3
	v_mul_lo_u32 v2, v21, s10
	v_mul_lo_u32 v3, v20, s11
	s_waitcnt vmcnt(0)
	s_delay_alu instid0(VALU_DEP_3) | instskip(NEXT) | instid1(VALU_DEP_1)
	v_dual_fmaak_f32 v0, 0x2f800000, v0, 0x2f800000 :: v_dual_lshlrev_b32 v1, 16, v26
	v_cmp_gt_f32_e32 vcc_lo, s28, v0
	v_cndmask_b32_e64 v0, 0, 1.0, vcc_lo
	s_delay_alu instid0(VALU_DEP_1) | instskip(SKIP_1) | instid1(VALU_DEP_2)
	v_mul_f32_e32 v7, v0, v1
	v_mad_u64_u32 v[0:1], null, v20, s10, 0
	v_mul_f32_e32 v7, v48, v7
	s_delay_alu instid0(VALU_DEP_2) | instskip(NEXT) | instid1(VALU_DEP_2)
	v_add3_u32 v1, v1, v3, v2
	v_bfe_u32 v8, v7, 16, 1
	s_delay_alu instid0(VALU_DEP_2) | instskip(SKIP_1) | instid1(VALU_DEP_3)
	v_lshlrev_b64 v[2:3], 1, v[0:1]
	v_add_co_u32 v0, s0, s12, v0
	v_add3_u32 v8, v7, v8, 0x7fff
	v_add_co_ci_u32_e64 v1, s0, s13, v1, s0
	s_delay_alu instid0(VALU_DEP_4) | instskip(NEXT) | instid1(VALU_DEP_1)
	v_add_co_u32 v2, s0, s14, v2
	v_add_co_ci_u32_e64 v3, s0, s15, v3, s0
	s_delay_alu instid0(VALU_DEP_4) | instskip(SKIP_1) | instid1(VALU_DEP_1)
	v_lshrrev_b32_e32 v8, 16, v8
	v_cmp_o_f32_e64 s0, v7, v7
	v_cndmask_b32_e64 v7, 0x7fc0, v8, s0
	v_cndmask_b32_e64 v8, 0, 1, vcc_lo
	global_store_b16 v[2:3], v7, off
	global_store_b8 v[0:1], v8, off
	s_branch .LBB54_7
.LBB54_62:
	s_endpgm
.LBB54_63:
                                        ; implicit-def: $sgpr2_sgpr3
	s_branch .LBB54_4
	.section	.rodata,"a",@progbits
	.p2align	6, 0x0
	.amdhsa_kernel _ZN2at6native12_GLOBAL__N_120fused_dropout_kernelIN3c108BFloat16EfmLin1ELi1EbEEvNS_4cuda6detail10TensorInfoIKT_T1_EENS7_IS8_SA_EENS7_IT4_SA_EESA_T0_NS_15PhiloxCudaStateE
		.amdhsa_group_segment_fixed_size 0
		.amdhsa_private_segment_fixed_size 0
		.amdhsa_kernarg_size 1552
		.amdhsa_user_sgpr_count 15
		.amdhsa_user_sgpr_dispatch_ptr 0
		.amdhsa_user_sgpr_queue_ptr 0
		.amdhsa_user_sgpr_kernarg_segment_ptr 1
		.amdhsa_user_sgpr_dispatch_id 0
		.amdhsa_user_sgpr_private_segment_size 0
		.amdhsa_wavefront_size32 1
		.amdhsa_uses_dynamic_stack 0
		.amdhsa_enable_private_segment 0
		.amdhsa_system_sgpr_workgroup_id_x 1
		.amdhsa_system_sgpr_workgroup_id_y 0
		.amdhsa_system_sgpr_workgroup_id_z 0
		.amdhsa_system_sgpr_workgroup_info 0
		.amdhsa_system_vgpr_workitem_id 0
		.amdhsa_next_free_vgpr 60
		.amdhsa_next_free_sgpr 38
		.amdhsa_reserve_vcc 1
		.amdhsa_float_round_mode_32 0
		.amdhsa_float_round_mode_16_64 0
		.amdhsa_float_denorm_mode_32 3
		.amdhsa_float_denorm_mode_16_64 3
		.amdhsa_dx10_clamp 1
		.amdhsa_ieee_mode 1
		.amdhsa_fp16_overflow 0
		.amdhsa_workgroup_processor_mode 1
		.amdhsa_memory_ordered 1
		.amdhsa_forward_progress 0
		.amdhsa_shared_vgpr_count 0
		.amdhsa_exception_fp_ieee_invalid_op 0
		.amdhsa_exception_fp_denorm_src 0
		.amdhsa_exception_fp_ieee_div_zero 0
		.amdhsa_exception_fp_ieee_overflow 0
		.amdhsa_exception_fp_ieee_underflow 0
		.amdhsa_exception_fp_ieee_inexact 0
		.amdhsa_exception_int_div_zero 0
	.end_amdhsa_kernel
	.section	.text._ZN2at6native12_GLOBAL__N_120fused_dropout_kernelIN3c108BFloat16EfmLin1ELi1EbEEvNS_4cuda6detail10TensorInfoIKT_T1_EENS7_IS8_SA_EENS7_IT4_SA_EESA_T0_NS_15PhiloxCudaStateE,"axG",@progbits,_ZN2at6native12_GLOBAL__N_120fused_dropout_kernelIN3c108BFloat16EfmLin1ELi1EbEEvNS_4cuda6detail10TensorInfoIKT_T1_EENS7_IS8_SA_EENS7_IT4_SA_EESA_T0_NS_15PhiloxCudaStateE,comdat
.Lfunc_end54:
	.size	_ZN2at6native12_GLOBAL__N_120fused_dropout_kernelIN3c108BFloat16EfmLin1ELi1EbEEvNS_4cuda6detail10TensorInfoIKT_T1_EENS7_IS8_SA_EENS7_IT4_SA_EESA_T0_NS_15PhiloxCudaStateE, .Lfunc_end54-_ZN2at6native12_GLOBAL__N_120fused_dropout_kernelIN3c108BFloat16EfmLin1ELi1EbEEvNS_4cuda6detail10TensorInfoIKT_T1_EENS7_IS8_SA_EENS7_IT4_SA_EESA_T0_NS_15PhiloxCudaStateE
                                        ; -- End function
	.section	.AMDGPU.csdata,"",@progbits
; Kernel info:
; codeLenInByte = 8388
; NumSgprs: 40
; NumVgprs: 60
; ScratchSize: 0
; MemoryBound: 0
; FloatMode: 240
; IeeeMode: 1
; LDSByteSize: 0 bytes/workgroup (compile time only)
; SGPRBlocks: 4
; VGPRBlocks: 7
; NumSGPRsForWavesPerEU: 40
; NumVGPRsForWavesPerEU: 60
; Occupancy: 16
; WaveLimiterHint : 1
; COMPUTE_PGM_RSRC2:SCRATCH_EN: 0
; COMPUTE_PGM_RSRC2:USER_SGPR: 15
; COMPUTE_PGM_RSRC2:TRAP_HANDLER: 0
; COMPUTE_PGM_RSRC2:TGID_X_EN: 1
; COMPUTE_PGM_RSRC2:TGID_Y_EN: 0
; COMPUTE_PGM_RSRC2:TGID_Z_EN: 0
; COMPUTE_PGM_RSRC2:TIDIG_COMP_CNT: 0
	.section	.text._ZN2at6native12_GLOBAL__N_120fused_dropout_kernelIN3c108BFloat16EfmLin1ELin1EbEEvNS_4cuda6detail10TensorInfoIKT_T1_EENS7_IS8_SA_EENS7_IT4_SA_EESA_T0_NS_15PhiloxCudaStateE,"axG",@progbits,_ZN2at6native12_GLOBAL__N_120fused_dropout_kernelIN3c108BFloat16EfmLin1ELin1EbEEvNS_4cuda6detail10TensorInfoIKT_T1_EENS7_IS8_SA_EENS7_IT4_SA_EESA_T0_NS_15PhiloxCudaStateE,comdat
	.globl	_ZN2at6native12_GLOBAL__N_120fused_dropout_kernelIN3c108BFloat16EfmLin1ELin1EbEEvNS_4cuda6detail10TensorInfoIKT_T1_EENS7_IS8_SA_EENS7_IT4_SA_EESA_T0_NS_15PhiloxCudaStateE ; -- Begin function _ZN2at6native12_GLOBAL__N_120fused_dropout_kernelIN3c108BFloat16EfmLin1ELin1EbEEvNS_4cuda6detail10TensorInfoIKT_T1_EENS7_IS8_SA_EENS7_IT4_SA_EESA_T0_NS_15PhiloxCudaStateE
	.p2align	8
	.type	_ZN2at6native12_GLOBAL__N_120fused_dropout_kernelIN3c108BFloat16EfmLin1ELin1EbEEvNS_4cuda6detail10TensorInfoIKT_T1_EENS7_IS8_SA_EENS7_IT4_SA_EESA_T0_NS_15PhiloxCudaStateE,@function
_ZN2at6native12_GLOBAL__N_120fused_dropout_kernelIN3c108BFloat16EfmLin1ELin1EbEEvNS_4cuda6detail10TensorInfoIKT_T1_EENS7_IS8_SA_EENS7_IT4_SA_EESA_T0_NS_15PhiloxCudaStateE: ; @_ZN2at6native12_GLOBAL__N_120fused_dropout_kernelIN3c108BFloat16EfmLin1ELin1EbEEvNS_4cuda6detail10TensorInfoIKT_T1_EENS7_IS8_SA_EENS7_IT4_SA_EESA_T0_NS_15PhiloxCudaStateE
; %bb.0:
	s_clause 0x1
	s_load_b128 s[4:7], s[0:1], 0x4f0
	s_load_b32 s2, s[0:1], 0x508
	s_waitcnt lgkmcnt(0)
	v_dual_mov_b32 v1, s6 :: v_dual_mov_b32 v2, s7
	v_dual_mov_b32 v12, s5 :: v_dual_mov_b32 v11, s4
	s_bitcmp0_b32 s2, 0
	s_mov_b32 s2, 0
	s_cbranch_scc1 .LBB55_2
; %bb.1:
	v_dual_mov_b32 v1, s6 :: v_dual_mov_b32 v2, s7
	v_dual_mov_b32 v3, s4 :: v_dual_mov_b32 v4, s5
	s_load_b64 s[4:5], s[0:1], 0x500
	flat_load_b64 v[1:2], v[1:2]
	flat_load_b64 v[11:12], v[3:4]
	s_waitcnt vmcnt(1) lgkmcnt(0)
	v_add_co_u32 v1, vcc_lo, v1, s4
	v_add_co_ci_u32_e32 v2, vcc_lo, s5, v2, vcc_lo
.LBB55_2:
	s_clause 0x2
	s_load_b32 s3, s[0:1], 0x51c
	s_load_b64 s[6:7], s[0:1], 0x4e0
	s_load_b32 s4, s[0:1], 0x510
	s_waitcnt lgkmcnt(0)
	s_and_b32 s5, s3, 0xffff
	s_add_u32 s8, s6, -1
	s_mul_i32 s28, s4, s5
	s_addc_u32 s3, s7, -1
	s_lshl_b32 s29, s28, 2
	s_cmp_lg_u64 s[2:3], 0
	s_cbranch_scc0 .LBB55_88
; %bb.3:
	v_cvt_f32_u32_e32 v3, s29
	s_sub_u32 s10, 0, s29
	s_subb_u32 s11, 0, 0
	s_delay_alu instid0(VALU_DEP_1) | instskip(NEXT) | instid1(VALU_DEP_1)
	v_fmamk_f32 v3, 0, 0x4f800000, v3
	v_rcp_f32_e32 v3, v3
	s_waitcnt_depctr 0xfff
	v_mul_f32_e32 v3, 0x5f7ffffc, v3
	s_delay_alu instid0(VALU_DEP_1) | instskip(NEXT) | instid1(VALU_DEP_1)
	v_mul_f32_e32 v4, 0x2f800000, v3
	v_trunc_f32_e32 v4, v4
	s_delay_alu instid0(VALU_DEP_1) | instskip(SKIP_1) | instid1(VALU_DEP_2)
	v_fmamk_f32 v3, v4, 0xcf800000, v3
	v_cvt_u32_f32_e32 v4, v4
	v_cvt_u32_f32_e32 v3, v3
	s_delay_alu instid0(VALU_DEP_2) | instskip(NEXT) | instid1(VALU_DEP_2)
	v_readfirstlane_b32 s2, v4
	v_readfirstlane_b32 s9, v3
	s_delay_alu instid0(VALU_DEP_2) | instskip(NEXT) | instid1(VALU_DEP_1)
	s_mul_i32 s12, s10, s2
	s_mul_hi_u32 s14, s10, s9
	s_mul_i32 s13, s11, s9
	s_add_i32 s12, s14, s12
	s_mul_i32 s16, s10, s9
	s_add_i32 s12, s12, s13
	s_mul_hi_u32 s14, s9, s16
	s_mul_hi_u32 s17, s2, s16
	s_mul_i32 s13, s2, s16
	s_mul_hi_u32 s16, s9, s12
	s_mul_i32 s9, s9, s12
	s_mul_hi_u32 s18, s2, s12
	s_add_u32 s9, s14, s9
	s_addc_u32 s14, 0, s16
	s_add_u32 s9, s9, s13
	s_mul_i32 s12, s2, s12
	s_addc_u32 s9, s14, s17
	s_addc_u32 s13, s18, 0
	s_add_u32 s9, s9, s12
	s_addc_u32 s12, 0, s13
	v_add_co_u32 v3, s9, v3, s9
	s_delay_alu instid0(VALU_DEP_1) | instskip(SKIP_1) | instid1(VALU_DEP_1)
	s_cmp_lg_u32 s9, 0
	s_addc_u32 s2, s2, s12
	v_readfirstlane_b32 s9, v3
	s_mul_i32 s12, s10, s2
	s_delay_alu instid0(VALU_DEP_1)
	s_mul_hi_u32 s13, s10, s9
	s_mul_i32 s11, s11, s9
	s_add_i32 s12, s13, s12
	s_mul_i32 s10, s10, s9
	s_add_i32 s12, s12, s11
	s_mul_hi_u32 s13, s2, s10
	s_mul_i32 s14, s2, s10
	s_mul_hi_u32 s10, s9, s10
	s_mul_hi_u32 s16, s9, s12
	s_mul_i32 s9, s9, s12
	s_mul_hi_u32 s11, s2, s12
	s_add_u32 s9, s10, s9
	s_addc_u32 s10, 0, s16
	s_add_u32 s9, s9, s14
	s_mul_i32 s12, s2, s12
	s_addc_u32 s9, s10, s13
	s_addc_u32 s10, s11, 0
	s_add_u32 s9, s9, s12
	s_addc_u32 s10, 0, s10
	v_add_co_u32 v3, s9, v3, s9
	s_delay_alu instid0(VALU_DEP_1) | instskip(SKIP_1) | instid1(VALU_DEP_1)
	s_cmp_lg_u32 s9, 0
	s_addc_u32 s2, s2, s10
	v_readfirstlane_b32 s9, v3
	s_mul_i32 s11, s8, s2
	s_mul_hi_u32 s10, s8, s2
	s_mul_hi_u32 s12, s3, s2
	s_mul_i32 s2, s3, s2
	s_mul_hi_u32 s13, s8, s9
	s_mul_hi_u32 s14, s3, s9
	s_mul_i32 s9, s3, s9
	s_add_u32 s11, s13, s11
	s_addc_u32 s10, 0, s10
	s_add_u32 s9, s11, s9
	s_addc_u32 s9, s10, s14
	s_addc_u32 s10, s12, 0
	s_add_u32 s2, s9, s2
	s_addc_u32 s10, 0, s10
	s_mul_i32 s11, s29, s2
	s_add_u32 s9, s2, 1
	v_sub_co_u32 v3, s11, s8, s11
	s_mul_hi_u32 s12, s29, s2
	s_addc_u32 s13, s10, 0
	s_mul_i32 s14, s29, s10
	s_delay_alu instid0(VALU_DEP_1)
	v_sub_co_u32 v4, s16, v3, s29
	s_add_u32 s17, s2, 2
	s_addc_u32 s18, s10, 0
	s_add_i32 s12, s12, s14
	s_cmp_lg_u32 s11, 0
	v_readfirstlane_b32 s11, v4
	s_subb_u32 s3, s3, s12
	s_cmp_lg_u32 s16, 0
	s_subb_u32 s12, s3, 0
	s_delay_alu instid0(VALU_DEP_1) | instskip(SKIP_4) | instid1(SALU_CYCLE_1)
	s_cmp_ge_u32 s11, s29
	s_cselect_b32 s11, -1, 0
	s_cmp_eq_u32 s12, 0
	v_readfirstlane_b32 s12, v3
	s_cselect_b32 s11, s11, -1
	s_cmp_lg_u32 s11, 0
	s_cselect_b32 s11, s17, s9
	s_cselect_b32 s13, s18, s13
	s_cmp_ge_u32 s12, s29
	s_cselect_b32 s9, -1, 0
	s_cmp_eq_u32 s3, 0
	s_cselect_b32 s3, s9, -1
	s_delay_alu instid0(SALU_CYCLE_1)
	s_cmp_lg_u32 s3, 0
	s_cselect_b32 s3, s13, s10
	s_cselect_b32 s2, s11, s2
	s_cbranch_execnz .LBB55_5
.LBB55_4:
	v_cvt_f32_u32_e32 v3, s29
	s_sub_i32 s3, 0, s29
	s_delay_alu instid0(VALU_DEP_1) | instskip(SKIP_2) | instid1(VALU_DEP_1)
	v_rcp_iflag_f32_e32 v3, v3
	s_waitcnt_depctr 0xfff
	v_mul_f32_e32 v3, 0x4f7ffffe, v3
	v_cvt_u32_f32_e32 v3, v3
	s_delay_alu instid0(VALU_DEP_1) | instskip(NEXT) | instid1(VALU_DEP_1)
	v_readfirstlane_b32 s2, v3
	s_mul_i32 s3, s3, s2
	s_delay_alu instid0(SALU_CYCLE_1) | instskip(NEXT) | instid1(SALU_CYCLE_1)
	s_mul_hi_u32 s3, s2, s3
	s_add_i32 s2, s2, s3
	s_delay_alu instid0(SALU_CYCLE_1) | instskip(NEXT) | instid1(SALU_CYCLE_1)
	s_mul_hi_u32 s2, s8, s2
	s_mul_i32 s3, s2, s29
	s_delay_alu instid0(SALU_CYCLE_1)
	s_sub_i32 s3, s8, s3
	s_add_i32 s8, s2, 1
	s_sub_i32 s9, s3, s29
	s_cmp_ge_u32 s3, s29
	s_cselect_b32 s2, s8, s2
	s_cselect_b32 s3, s9, s3
	s_add_i32 s8, s2, 1
	s_cmp_ge_u32 s3, s29
	s_mov_b32 s3, 0
	s_cselect_b32 s2, s8, s2
.LBB55_5:
	s_delay_alu instid0(SALU_CYCLE_1)
	s_add_u32 s2, s2, 1
	s_addc_u32 s3, s3, 0
	v_mov_b32_e32 v15, 0
	v_mad_u64_u32 v[13:14], null, s15, s5, v[0:1]
	s_mul_i32 s3, s28, s3
	s_mul_hi_u32 s8, s28, s2
	s_mul_hi_u32 s4, s4, s5
	s_add_i32 s3, s8, s3
	s_mul_i32 s4, s4, s2
	v_mov_b32_e32 v14, v15
	s_add_i32 s3, s3, s4
	s_mul_i32 s2, s28, s2
	s_delay_alu instid0(SALU_CYCLE_1)
	s_lshl_b64 s[8:9], s[2:3], 2
	s_mov_b32 s2, exec_lo
	v_cmpx_gt_u64_e64 s[8:9], v[13:14]
	s_cbranch_execz .LBB55_87
; %bb.6:
	v_alignbit_b32 v28, v2, v1, 2
	v_mad_u64_u32 v[3:4], null, 0xcd9e8d57, v13, 0
	v_lshrrev_b32_e32 v29, 2, v2
	s_waitcnt vmcnt(0)
	v_dual_mov_b32 v10, v12 :: v_dual_add_nc_u32 v35, 0x8ff34781, v11
	v_mad_u64_u32 v[5:6], null, 0xd2511f53, v28, 0
	v_add_co_u32 v31, null, 0x9e3779b9, v11
	v_xor3_b32 v0, v11, v4, v29
	s_delay_alu instid0(VALU_DEP_4) | instskip(SKIP_2) | instid1(VALU_DEP_4)
	v_add_co_u32 v30, null, 0xbb67ae85, v10
	v_add_co_u32 v32, null, 0x3c6ef372, v11
	v_xor_b32_e32 v2, v6, v12
	v_mad_u64_u32 v[6:7], null, 0xd2511f53, v0, 0
	v_add_co_u32 v33, null, 0x76cf5d0a, v10
	s_delay_alu instid0(VALU_DEP_3)
	v_mad_u64_u32 v[8:9], null, 0xcd9e8d57, v2, 0
	v_and_b32_e32 v34, 3, v1
	v_add_co_u32 v37, null, 0x32370b8f, v10
	v_xor3_b32 v0, v30, v7, v5
	v_add_co_u32 v38, null, 0xdaa66d2b, v11
	v_xor3_b32 v7, v9, v31, v3
	s_clause 0x1
	s_load_b32 s30, s[0:1], 0x4e8
	s_load_b64 s[18:19], s[0:1], 0x270
	v_mad_u64_u32 v[2:3], null, 0xcd9e8d57, v0, 0
	v_mad_u64_u32 v[4:5], null, 0xd2511f53, v7, 0
	v_add_co_u32 v40, null, 0x78dde6e4, v11
	v_add_co_u32 v41, null, 0xed9eba14, v10
	s_delay_alu instid0(VALU_DEP_4) | instskip(SKIP_3) | instid1(VALU_DEP_4)
	v_xor3_b32 v3, v32, v3, v8
	v_add_co_u32 v42, null, 0x1715609d, v11
	v_xor3_b32 v7, v5, v33, v6
	v_add_co_u32 v43, null, 0xa9066899, v10
	v_mad_u64_u32 v[0:1], null, 0xd2511f53, v3, 0
	s_delay_alu instid0(VALU_DEP_3) | instskip(SKIP_4) | instid1(VALU_DEP_4)
	v_mad_u64_u32 v[5:6], null, 0xcd9e8d57, v7, 0
	s_waitcnt lgkmcnt(0)
	v_div_scale_f32 v8, null, s30, s30, 1.0
	s_load_b64 s[12:13], s[0:1], 0x1a0
	v_add_co_u32 v39, null, 0xb54cda56, v11
	v_xor3_b32 v3, v37, v1, v4
	s_delay_alu instid0(VALU_DEP_4) | instskip(SKIP_2) | instid1(VALU_DEP_3)
	v_xor3_b32 v6, v6, v38, v2
	v_rcp_f32_e32 v9, v8
	v_add_co_u32 v46, null, 0x646e171e, v10
	v_mad_u64_u32 v[1:2], null, 0xcd9e8d57, v3, 0
	s_delay_alu instid0(VALU_DEP_3)
	v_mad_u64_u32 v[3:4], null, 0xd2511f53, v6, 0
	s_clause 0x2
	s_load_b32 s20, s[0:1], 0x198
	s_load_b64 s[10:11], s[0:1], 0x340
	s_load_b32 s23, s[0:1], 0x338
	v_add_co_u32 v44, null, 0x5384540f, v11
	s_delay_alu instid0(VALU_DEP_3) | instskip(SKIP_3) | instid1(VALU_DEP_4)
	v_xor3_b32 v2, v40, v2, v5
	v_add_co_u32 v47, null, 0x1fd5c5a3, v10
	v_xor3_b32 v0, v4, v41, v0
	v_div_scale_f32 v16, vcc_lo, 1.0, s30, 1.0
	v_mad_u64_u32 v[4:5], null, 0xd2511f53, v2, 0
	s_delay_alu instid0(VALU_DEP_3) | instskip(SKIP_2) | instid1(VALU_DEP_4)
	v_mad_u64_u32 v[6:7], null, 0xcd9e8d57, v0, 0
	v_add_co_u32 v45, null, 0xf1bbcdc8, v11
	v_add_co_u32 v48, null, 0xdb3d7428, v10
	v_xor3_b32 v2, v43, v5, v3
	s_add_u32 s22, s0, 0x1a0
	s_delay_alu instid0(VALU_DEP_4)
	v_xor3_b32 v5, v7, v42, v1
	s_addc_u32 s24, s1, 0
	s_clause 0x1
	s_load_b64 s[14:15], s[0:1], 0xd0
	s_load_b64 s[16:17], s[0:1], 0x0
	v_mad_u64_u32 v[0:1], null, 0xcd9e8d57, v2, 0
	v_mad_u64_u32 v[2:3], null, 0xd2511f53, v5, 0
	v_fma_f32 v5, -v8, v9, 1.0
	v_add_nc_u32_e32 v36, 0x96a522ad, v12
	s_waitcnt lgkmcnt(0)
	s_cmp_gt_i32 s20, 1
	s_mov_b32 s5, 0
	s_delay_alu instid0(VALU_DEP_4)
	v_xor3_b32 v1, v39, v1, v6
	v_fmac_f32_e32 v9, v5, v9
	v_xor3_b32 v7, v3, v46, v4
	s_cselect_b32 s31, -1, 0
	s_cmp_gt_i32 s23, 1
	v_mad_u64_u32 v[3:4], null, 0xd2511f53, v1, 0
	s_delay_alu instid0(VALU_DEP_2) | instskip(SKIP_4) | instid1(VALU_DEP_3)
	v_mad_u64_u32 v[5:6], null, 0xcd9e8d57, v7, 0
	v_mul_f32_e32 v17, v16, v9
	s_cselect_b32 s33, -1, 0
	s_add_i32 s4, s20, -1
	s_lshl_b32 s34, s28, 1
	v_xor3_b32 v2, v47, v4, v2
	v_fma_f32 v18, -v8, v17, v16
	s_delay_alu instid0(VALU_DEP_4) | instskip(SKIP_3) | instid1(VALU_DEP_2)
	v_xor3_b32 v4, v6, v44, v0
	s_lshl_b64 s[2:3], s[4:5], 3
	s_add_i32 s35, s20, 1
	v_mad_u64_u32 v[0:1], null, 0xcd9e8d57, v2, 0
	v_mad_u64_u32 v[6:7], null, 0xd2511f53, v4, 0
	v_fmac_f32_e32 v17, v18, v9
	s_add_u32 s0, s2, s0
	s_addc_u32 s1, s3, s1
	s_add_u32 s20, s0, 8
	s_delay_alu instid0(VALU_DEP_3) | instskip(SKIP_1) | instid1(VALU_DEP_3)
	v_xor3_b32 v1, v45, v1, v5
	s_addc_u32 s21, s1, 0
	v_xor3_b32 v5, v7, v48, v3
	v_fma_f32 v7, -v8, v17, v16
	s_add_i32 s4, s23, -1
	v_mad_u64_u32 v[3:4], null, 0xd2511f53, v1, 0
	s_delay_alu instid0(VALU_DEP_3) | instskip(NEXT) | instid1(VALU_DEP_3)
	v_mad_u64_u32 v[1:2], null, 0xcd9e8d57, v5, 0
	v_div_fmas_f32 v5, v7, v9, v17
	s_lshl_b64 s[0:1], s[4:5], 3
	s_add_i32 s37, s23, 1
	v_mov_b32_e32 v18, v14
	s_add_u32 s0, s0, s22
	v_div_fixup_f32 v49, v5, s30, 1.0
	s_delay_alu instid0(VALU_DEP_4)
	v_xor3_b32 v0, v0, v2, v35
	v_xor3_b32 v2, v4, v6, v36
	v_dual_mov_b32 v17, v13 :: v_dual_mov_b32 v14, 0
	s_addc_u32 s1, s1, s24
	s_add_u32 s22, s0, 8
	s_mul_i32 s36, s28, 3
	s_addc_u32 s23, s1, 0
                                        ; implicit-def: $vgpr50
                                        ; implicit-def: $vgpr51
                                        ; implicit-def: $vgpr52
                                        ; implicit-def: $vgpr53
	s_branch .LBB55_9
.LBB55_7:                               ;   in Loop: Header=BB55_9 Depth=1
	v_cvt_f32_u32_e32 v2, v3
	s_waitcnt vmcnt(0)
	v_lshlrev_b32_e32 v9, 16, v50
	s_delay_alu instid0(VALU_DEP_2) | instskip(NEXT) | instid1(VALU_DEP_1)
	v_fmaak_f32 v2, 0x2f800000, v2, 0x2f800000
	v_cmp_gt_f32_e32 vcc_lo, s30, v2
	v_mad_u64_u32 v[2:3], null, s18, v7, v[0:1]
	v_mul_lo_u32 v0, s18, v8
	v_mul_lo_u32 v7, s19, v7
	v_cndmask_b32_e64 v10, 0, 1.0, vcc_lo
	s_delay_alu instid0(VALU_DEP_1) | instskip(NEXT) | instid1(VALU_DEP_3)
	v_mul_f32_e32 v1, v10, v9
	v_add3_u32 v3, v7, v3, v0
	s_delay_alu instid0(VALU_DEP_2) | instskip(NEXT) | instid1(VALU_DEP_2)
	v_mul_f32_e32 v8, v49, v1
	v_lshlrev_b64 v[0:1], 1, v[2:3]
	v_add_co_u32 v2, s0, s10, v2
	s_delay_alu instid0(VALU_DEP_3) | instskip(SKIP_1) | instid1(VALU_DEP_4)
	v_bfe_u32 v7, v8, 16, 1
	v_add_co_ci_u32_e64 v3, s0, s11, v3, s0
	v_add_co_u32 v0, s0, s12, v0
	s_delay_alu instid0(VALU_DEP_3) | instskip(SKIP_3) | instid1(VALU_DEP_4)
	v_add3_u32 v7, v8, v7, 0x7fff
	v_add_co_ci_u32_e64 v1, s0, s13, v1, s0
	v_cmp_o_f32_e64 s0, v8, v8
	v_cndmask_b32_e64 v8, 0, 1, vcc_lo
	v_lshrrev_b32_e32 v7, 16, v7
	s_delay_alu instid0(VALU_DEP_1)
	v_cndmask_b32_e64 v7, 0x7fc0, v7, s0
	global_store_b16 v[0:1], v7, off
	global_store_b8 v[2:3], v8, off
.LBB55_8:                               ;   in Loop: Header=BB55_9 Depth=1
	s_or_b32 exec_lo, exec_lo, s1
	v_add_co_u32 v17, vcc_lo, v17, s29
	v_add_co_ci_u32_e32 v18, vcc_lo, 0, v18, vcc_lo
	v_mov_b32_e32 v7, v19
	v_dual_mov_b32 v0, v4 :: v_dual_mov_b32 v1, v5
	s_delay_alu instid0(VALU_DEP_3) | instskip(NEXT) | instid1(VALU_DEP_3)
	v_cmp_le_u64_e32 vcc_lo, s[8:9], v[17:18]
	v_dual_mov_b32 v2, v6 :: v_dual_mov_b32 v3, v7
	s_waitcnt vmcnt(0)
	s_waitcnt_vscnt null, 0x0
	s_barrier
	buffer_gl0_inv
	s_or_b32 s5, vcc_lo, s5
	s_delay_alu instid0(SALU_CYCLE_1)
	s_and_not1_b32 exec_lo, exec_lo, s5
	s_cbranch_execz .LBB55_87
.LBB55_9:                               ; =>This Loop Header: Depth=1
                                        ;     Child Loop BB55_21 Depth 2
                                        ;     Child Loop BB55_30 Depth 2
                                        ;     Child Loop BB55_39 Depth 2
                                        ;     Child Loop BB55_52 Depth 2
                                        ;     Child Loop BB55_60 Depth 2
                                        ;     Child Loop BB55_73 Depth 2
                                        ;     Child Loop BB55_78 Depth 2
                                        ;     Child Loop BB55_83 Depth 2
	v_add_co_u32 v28, vcc_lo, v28, 1
	s_delay_alu instid0(VALU_DEP_1) | instskip(SKIP_2) | instid1(VALU_DEP_1)
	v_cndmask_b32_e64 v4, 0, 1, vcc_lo
	v_add_co_ci_u32_e32 v29, vcc_lo, 0, v29, vcc_lo
	s_mov_b32 s0, exec_lo
	v_cmp_eq_u32_e32 vcc_lo, 0, v29
	s_delay_alu instid0(VALU_DEP_3) | instskip(NEXT) | instid1(VALU_DEP_1)
	v_cndmask_b32_e32 v4, 0, v4, vcc_lo
	v_add_nc_u32_e32 v13, v4, v13
	s_delay_alu instid0(VALU_DEP_1) | instskip(SKIP_2) | instid1(VALU_DEP_2)
	v_cmp_eq_u32_e32 vcc_lo, 0, v13
	v_cndmask_b32_e32 v4, 0, v4, vcc_lo
	v_mad_u64_u32 v[6:7], null, 0xcd9e8d57, v13, 0
	v_add_nc_u32_e32 v14, v4, v14
	v_mad_u64_u32 v[4:5], null, 0xd2511f53, v28, 0
	s_delay_alu instid0(VALU_DEP_3) | instskip(NEXT) | instid1(VALU_DEP_2)
	v_xor3_b32 v9, v7, v11, v29
	v_xor_b32_e32 v5, v5, v12
	s_delay_alu instid0(VALU_DEP_2) | instskip(NEXT) | instid1(VALU_DEP_2)
	v_mad_u64_u32 v[7:8], null, 0xd2511f53, v9, 0
	v_xor_b32_e32 v5, v14, v5
	s_delay_alu instid0(VALU_DEP_2) | instskip(NEXT) | instid1(VALU_DEP_2)
	v_xor3_b32 v8, v30, v8, v4
	v_mad_u64_u32 v[9:10], null, 0xcd9e8d57, v5, 0
	s_delay_alu instid0(VALU_DEP_2) | instskip(NEXT) | instid1(VALU_DEP_2)
	v_mad_u64_u32 v[4:5], null, 0xcd9e8d57, v8, 0
	v_xor3_b32 v6, v31, v10, v6
	s_delay_alu instid0(VALU_DEP_2) | instskip(NEXT) | instid1(VALU_DEP_2)
	v_xor3_b32 v8, v32, v5, v9
	v_mad_u64_u32 v[19:20], null, 0xd2511f53, v6, 0
	s_delay_alu instid0(VALU_DEP_2) | instskip(NEXT) | instid1(VALU_DEP_2)
	v_mad_u64_u32 v[5:6], null, 0xd2511f53, v8, 0
	v_xor3_b32 v9, v33, v20, v7
	s_delay_alu instid0(VALU_DEP_2) | instskip(NEXT) | instid1(VALU_DEP_2)
	v_xor3_b32 v6, v37, v6, v19
	v_mad_u64_u32 v[7:8], null, 0xcd9e8d57, v9, 0
	s_delay_alu instid0(VALU_DEP_1) | instskip(NEXT) | instid1(VALU_DEP_3)
	v_xor3_b32 v4, v38, v8, v4
	v_mad_u64_u32 v[8:9], null, 0xcd9e8d57, v6, 0
	s_delay_alu instid0(VALU_DEP_2) | instskip(NEXT) | instid1(VALU_DEP_2)
	v_mad_u64_u32 v[19:20], null, 0xd2511f53, v4, 0
	v_xor3_b32 v6, v40, v9, v7
	s_delay_alu instid0(VALU_DEP_2) | instskip(NEXT) | instid1(VALU_DEP_2)
	v_xor3_b32 v9, v41, v20, v5
	v_mad_u64_u32 v[4:5], null, 0xd2511f53, v6, 0
	s_delay_alu instid0(VALU_DEP_2) | instskip(NEXT) | instid1(VALU_DEP_2)
	v_mad_u64_u32 v[6:7], null, 0xcd9e8d57, v9, 0
	v_xor3_b32 v5, v43, v5, v19
	s_delay_alu instid0(VALU_DEP_2) | instskip(NEXT) | instid1(VALU_DEP_2)
	;; [unrolled: 6-line block ×6, first 2 shown]
	v_xor3_b32 v4, v6, v7, v35
	v_mov_b32_e32 v6, v10
	v_cmpx_lt_i32_e32 1, v34
	s_xor_b32 s0, exec_lo, s0
	s_cbranch_execnz .LBB55_12
; %bb.10:                               ;   in Loop: Header=BB55_9 Depth=1
	s_and_not1_saveexec_b32 s0, s0
	s_cbranch_execnz .LBB55_17
.LBB55_11:                              ;   in Loop: Header=BB55_9 Depth=1
	s_or_b32 exec_lo, exec_lo, s0
	v_cmp_gt_u64_e64 s3, s[6:7], v[17:18]
	s_delay_alu instid0(VALU_DEP_1)
	s_and_saveexec_b32 s1, s3
	s_cbranch_execnz .LBB55_20
	s_branch .LBB55_28
.LBB55_12:                              ;   in Loop: Header=BB55_9 Depth=1
	s_mov_b32 s1, exec_lo
	v_cmpx_lt_i32_e32 2, v34
	s_xor_b32 s1, exec_lo, s1
; %bb.13:                               ;   in Loop: Header=BB55_9 Depth=1
	v_dual_mov_b32 v7, v3 :: v_dual_mov_b32 v8, v4
	v_mov_b32_e32 v9, v5
	s_delay_alu instid0(VALU_DEP_2) | instskip(NEXT) | instid1(VALU_DEP_2)
	v_dual_mov_b32 v0, v7 :: v_dual_mov_b32 v1, v8
	v_dual_mov_b32 v2, v9 :: v_dual_mov_b32 v3, v10
; %bb.14:                               ;   in Loop: Header=BB55_9 Depth=1
	s_and_not1_saveexec_b32 s1, s1
; %bb.15:                               ;   in Loop: Header=BB55_9 Depth=1
	s_delay_alu instid0(VALU_DEP_1)
	v_dual_mov_b32 v0, v2 :: v_dual_mov_b32 v1, v3
	v_dual_mov_b32 v2, v4 :: v_dual_mov_b32 v3, v5
; %bb.16:                               ;   in Loop: Header=BB55_9 Depth=1
	s_or_b32 exec_lo, exec_lo, s1
	s_and_not1_saveexec_b32 s0, s0
	s_cbranch_execz .LBB55_11
.LBB55_17:                              ;   in Loop: Header=BB55_9 Depth=1
	s_mov_b32 s1, exec_lo
	v_cmpx_eq_u32_e32 1, v34
; %bb.18:                               ;   in Loop: Header=BB55_9 Depth=1
	v_dual_mov_b32 v0, v1 :: v_dual_mov_b32 v1, v2
	v_dual_mov_b32 v2, v3 :: v_dual_mov_b32 v3, v4
; %bb.19:                               ;   in Loop: Header=BB55_9 Depth=1
	s_or_b32 exec_lo, exec_lo, s1
	s_delay_alu instid0(SALU_CYCLE_1) | instskip(SKIP_1) | instid1(VALU_DEP_1)
	s_or_b32 exec_lo, exec_lo, s0
	v_cmp_gt_u64_e64 s3, s[6:7], v[17:18]
	s_and_saveexec_b32 s1, s3
	s_cbranch_execz .LBB55_28
.LBB55_20:                              ;   in Loop: Header=BB55_9 Depth=1
	v_mov_b32_e32 v7, 0
	v_dual_mov_b32 v8, 0 :: v_dual_mov_b32 v9, v17
	v_mov_b32_e32 v10, v18
	v_dual_mov_b32 v21, v18 :: v_dual_mov_b32 v20, v17
	s_and_not1_b32 vcc_lo, exec_lo, s31
	s_mov_b64 s[24:25], s[20:21]
	s_mov_b32 s2, s35
	s_cbranch_vccnz .LBB55_27
.LBB55_21:                              ;   Parent Loop BB55_9 Depth=1
                                        ; =>  This Inner Loop Header: Depth=2
	s_load_b64 s[26:27], s[24:25], 0x0
                                        ; implicit-def: $vgpr20_vgpr21
	s_mov_b32 s0, exec_lo
	s_waitcnt lgkmcnt(0)
	v_or_b32_e32 v16, s27, v10
	s_delay_alu instid0(VALU_DEP_1)
	v_cmpx_ne_u64_e32 0, v[15:16]
	s_xor_b32 s4, exec_lo, s0
	s_cbranch_execz .LBB55_23
; %bb.22:                               ;   in Loop: Header=BB55_21 Depth=2
	v_cvt_f32_u32_e32 v16, s26
	v_cvt_f32_u32_e32 v20, s27
	s_sub_u32 s0, 0, s26
	s_subb_u32 s38, 0, s27
	s_delay_alu instid0(VALU_DEP_1) | instskip(NEXT) | instid1(VALU_DEP_1)
	v_fmac_f32_e32 v16, 0x4f800000, v20
	v_rcp_f32_e32 v16, v16
	s_waitcnt_depctr 0xfff
	v_mul_f32_e32 v16, 0x5f7ffffc, v16
	s_delay_alu instid0(VALU_DEP_1) | instskip(NEXT) | instid1(VALU_DEP_1)
	v_mul_f32_e32 v20, 0x2f800000, v16
	v_trunc_f32_e32 v20, v20
	s_delay_alu instid0(VALU_DEP_1) | instskip(SKIP_1) | instid1(VALU_DEP_2)
	v_fmac_f32_e32 v16, 0xcf800000, v20
	v_cvt_u32_f32_e32 v20, v20
	v_cvt_u32_f32_e32 v16, v16
	s_delay_alu instid0(VALU_DEP_2) | instskip(NEXT) | instid1(VALU_DEP_2)
	v_mul_lo_u32 v21, s0, v20
	v_mul_hi_u32 v22, s0, v16
	v_mul_lo_u32 v23, s38, v16
	s_delay_alu instid0(VALU_DEP_2) | instskip(SKIP_1) | instid1(VALU_DEP_2)
	v_add_nc_u32_e32 v21, v22, v21
	v_mul_lo_u32 v22, s0, v16
	v_add_nc_u32_e32 v21, v21, v23
	s_delay_alu instid0(VALU_DEP_2) | instskip(NEXT) | instid1(VALU_DEP_2)
	v_mul_hi_u32 v23, v16, v22
	v_mul_lo_u32 v24, v16, v21
	v_mul_hi_u32 v25, v16, v21
	v_mul_hi_u32 v26, v20, v22
	v_mul_lo_u32 v22, v20, v22
	v_mul_hi_u32 v27, v20, v21
	v_mul_lo_u32 v21, v20, v21
	v_add_co_u32 v23, vcc_lo, v23, v24
	v_add_co_ci_u32_e32 v24, vcc_lo, 0, v25, vcc_lo
	s_delay_alu instid0(VALU_DEP_2) | instskip(NEXT) | instid1(VALU_DEP_2)
	v_add_co_u32 v22, vcc_lo, v23, v22
	v_add_co_ci_u32_e32 v22, vcc_lo, v24, v26, vcc_lo
	v_add_co_ci_u32_e32 v23, vcc_lo, 0, v27, vcc_lo
	s_delay_alu instid0(VALU_DEP_2) | instskip(NEXT) | instid1(VALU_DEP_2)
	v_add_co_u32 v21, vcc_lo, v22, v21
	v_add_co_ci_u32_e32 v22, vcc_lo, 0, v23, vcc_lo
	s_delay_alu instid0(VALU_DEP_2) | instskip(NEXT) | instid1(VALU_DEP_2)
	v_add_co_u32 v16, vcc_lo, v16, v21
	v_add_co_ci_u32_e32 v20, vcc_lo, v20, v22, vcc_lo
	s_delay_alu instid0(VALU_DEP_2) | instskip(SKIP_1) | instid1(VALU_DEP_3)
	v_mul_hi_u32 v21, s0, v16
	v_mul_lo_u32 v23, s38, v16
	v_mul_lo_u32 v22, s0, v20
	s_delay_alu instid0(VALU_DEP_1) | instskip(SKIP_1) | instid1(VALU_DEP_2)
	v_add_nc_u32_e32 v21, v21, v22
	v_mul_lo_u32 v22, s0, v16
	v_add_nc_u32_e32 v21, v21, v23
	s_delay_alu instid0(VALU_DEP_2) | instskip(NEXT) | instid1(VALU_DEP_2)
	v_mul_hi_u32 v23, v16, v22
	v_mul_lo_u32 v24, v16, v21
	v_mul_hi_u32 v25, v16, v21
	v_mul_hi_u32 v26, v20, v22
	v_mul_lo_u32 v22, v20, v22
	v_mul_hi_u32 v27, v20, v21
	v_mul_lo_u32 v21, v20, v21
	v_add_co_u32 v23, vcc_lo, v23, v24
	v_add_co_ci_u32_e32 v24, vcc_lo, 0, v25, vcc_lo
	s_delay_alu instid0(VALU_DEP_2) | instskip(NEXT) | instid1(VALU_DEP_2)
	v_add_co_u32 v22, vcc_lo, v23, v22
	v_add_co_ci_u32_e32 v22, vcc_lo, v24, v26, vcc_lo
	v_add_co_ci_u32_e32 v23, vcc_lo, 0, v27, vcc_lo
	s_delay_alu instid0(VALU_DEP_2) | instskip(NEXT) | instid1(VALU_DEP_2)
	v_add_co_u32 v21, vcc_lo, v22, v21
	v_add_co_ci_u32_e32 v22, vcc_lo, 0, v23, vcc_lo
	s_delay_alu instid0(VALU_DEP_2) | instskip(NEXT) | instid1(VALU_DEP_2)
	v_add_co_u32 v16, vcc_lo, v16, v21
	v_add_co_ci_u32_e32 v26, vcc_lo, v20, v22, vcc_lo
	s_delay_alu instid0(VALU_DEP_2) | instskip(SKIP_1) | instid1(VALU_DEP_3)
	v_mul_hi_u32 v27, v9, v16
	v_mad_u64_u32 v[22:23], null, v10, v16, 0
	v_mad_u64_u32 v[20:21], null, v9, v26, 0
	;; [unrolled: 1-line block ×3, first 2 shown]
	s_delay_alu instid0(VALU_DEP_2) | instskip(NEXT) | instid1(VALU_DEP_3)
	v_add_co_u32 v16, vcc_lo, v27, v20
	v_add_co_ci_u32_e32 v20, vcc_lo, 0, v21, vcc_lo
	s_delay_alu instid0(VALU_DEP_2) | instskip(NEXT) | instid1(VALU_DEP_2)
	v_add_co_u32 v16, vcc_lo, v16, v22
	v_add_co_ci_u32_e32 v16, vcc_lo, v20, v23, vcc_lo
	v_add_co_ci_u32_e32 v20, vcc_lo, 0, v25, vcc_lo
	s_delay_alu instid0(VALU_DEP_2) | instskip(NEXT) | instid1(VALU_DEP_2)
	v_add_co_u32 v16, vcc_lo, v16, v24
	v_add_co_ci_u32_e32 v22, vcc_lo, 0, v20, vcc_lo
	s_delay_alu instid0(VALU_DEP_2) | instskip(SKIP_1) | instid1(VALU_DEP_3)
	v_mul_lo_u32 v23, s27, v16
	v_mad_u64_u32 v[20:21], null, s26, v16, 0
	v_mul_lo_u32 v24, s26, v22
	s_delay_alu instid0(VALU_DEP_2) | instskip(NEXT) | instid1(VALU_DEP_2)
	v_sub_co_u32 v20, vcc_lo, v9, v20
	v_add3_u32 v21, v21, v24, v23
	s_delay_alu instid0(VALU_DEP_1) | instskip(NEXT) | instid1(VALU_DEP_1)
	v_sub_nc_u32_e32 v23, v10, v21
	v_subrev_co_ci_u32_e64 v23, s0, s27, v23, vcc_lo
	v_add_co_u32 v24, s0, v16, 2
	s_delay_alu instid0(VALU_DEP_1) | instskip(SKIP_3) | instid1(VALU_DEP_3)
	v_add_co_ci_u32_e64 v25, s0, 0, v22, s0
	v_sub_co_u32 v26, s0, v20, s26
	v_sub_co_ci_u32_e32 v21, vcc_lo, v10, v21, vcc_lo
	v_subrev_co_ci_u32_e64 v23, s0, 0, v23, s0
	v_cmp_le_u32_e32 vcc_lo, s26, v26
	s_delay_alu instid0(VALU_DEP_3) | instskip(SKIP_1) | instid1(VALU_DEP_4)
	v_cmp_eq_u32_e64 s0, s27, v21
	v_cndmask_b32_e64 v26, 0, -1, vcc_lo
	v_cmp_le_u32_e32 vcc_lo, s27, v23
	v_cndmask_b32_e64 v27, 0, -1, vcc_lo
	v_cmp_le_u32_e32 vcc_lo, s26, v20
	;; [unrolled: 2-line block ×3, first 2 shown]
	v_cndmask_b32_e64 v53, 0, -1, vcc_lo
	v_cmp_eq_u32_e32 vcc_lo, s27, v23
	s_delay_alu instid0(VALU_DEP_2) | instskip(SKIP_3) | instid1(VALU_DEP_3)
	v_cndmask_b32_e64 v20, v53, v20, s0
	v_cndmask_b32_e32 v23, v27, v26, vcc_lo
	v_add_co_u32 v26, vcc_lo, v16, 1
	v_add_co_ci_u32_e32 v27, vcc_lo, 0, v22, vcc_lo
	v_cmp_ne_u32_e32 vcc_lo, 0, v23
	s_delay_alu instid0(VALU_DEP_3) | instskip(NEXT) | instid1(VALU_DEP_3)
	v_cndmask_b32_e32 v23, v26, v24, vcc_lo
	v_cndmask_b32_e32 v21, v27, v25, vcc_lo
	v_cmp_ne_u32_e32 vcc_lo, 0, v20
	s_delay_alu instid0(VALU_DEP_2)
	v_dual_cndmask_b32 v20, v16, v23 :: v_dual_cndmask_b32 v21, v22, v21
.LBB55_23:                              ;   in Loop: Header=BB55_21 Depth=2
	s_and_not1_saveexec_b32 s0, s4
	s_cbranch_execz .LBB55_25
; %bb.24:                               ;   in Loop: Header=BB55_21 Depth=2
	v_cvt_f32_u32_e32 v16, s26
	s_sub_i32 s4, 0, s26
	s_delay_alu instid0(VALU_DEP_1) | instskip(SKIP_2) | instid1(VALU_DEP_1)
	v_rcp_iflag_f32_e32 v16, v16
	s_waitcnt_depctr 0xfff
	v_mul_f32_e32 v16, 0x4f7ffffe, v16
	v_cvt_u32_f32_e32 v16, v16
	s_delay_alu instid0(VALU_DEP_1) | instskip(NEXT) | instid1(VALU_DEP_1)
	v_mul_lo_u32 v20, s4, v16
	v_mul_hi_u32 v20, v16, v20
	s_delay_alu instid0(VALU_DEP_1) | instskip(NEXT) | instid1(VALU_DEP_1)
	v_add_nc_u32_e32 v16, v16, v20
	v_mul_hi_u32 v16, v9, v16
	s_delay_alu instid0(VALU_DEP_1) | instskip(NEXT) | instid1(VALU_DEP_1)
	v_mul_lo_u32 v20, v16, s26
	v_sub_nc_u32_e32 v20, v9, v20
	s_delay_alu instid0(VALU_DEP_1) | instskip(SKIP_1) | instid1(VALU_DEP_2)
	v_subrev_nc_u32_e32 v22, s26, v20
	v_cmp_le_u32_e32 vcc_lo, s26, v20
	v_dual_cndmask_b32 v20, v20, v22 :: v_dual_add_nc_u32 v21, 1, v16
	s_delay_alu instid0(VALU_DEP_1) | instskip(NEXT) | instid1(VALU_DEP_2)
	v_cndmask_b32_e32 v16, v16, v21, vcc_lo
	v_cmp_le_u32_e32 vcc_lo, s26, v20
	s_delay_alu instid0(VALU_DEP_2) | instskip(NEXT) | instid1(VALU_DEP_1)
	v_add_nc_u32_e32 v21, 1, v16
	v_dual_cndmask_b32 v20, v16, v21 :: v_dual_mov_b32 v21, v15
.LBB55_25:                              ;   in Loop: Header=BB55_21 Depth=2
	s_or_b32 exec_lo, exec_lo, s0
	s_load_b64 s[38:39], s[24:25], 0xc8
	s_delay_alu instid0(VALU_DEP_1) | instskip(NEXT) | instid1(VALU_DEP_2)
	v_mul_lo_u32 v16, v21, s26
	v_mul_lo_u32 v24, v20, s27
	v_mad_u64_u32 v[22:23], null, v20, s26, 0
	s_add_i32 s2, s2, -1
	s_add_u32 s24, s24, -8
	s_addc_u32 s25, s25, -1
	s_cmp_gt_u32 s2, 2
	s_delay_alu instid0(VALU_DEP_1) | instskip(NEXT) | instid1(VALU_DEP_2)
	v_add3_u32 v16, v23, v24, v16
	v_sub_co_u32 v22, vcc_lo, v9, v22
	s_delay_alu instid0(VALU_DEP_2) | instskip(SKIP_1) | instid1(VALU_DEP_2)
	v_sub_co_ci_u32_e32 v9, vcc_lo, v10, v16, vcc_lo
	s_waitcnt lgkmcnt(0)
	v_mul_lo_u32 v23, s39, v22
	s_delay_alu instid0(VALU_DEP_2) | instskip(SKIP_1) | instid1(VALU_DEP_1)
	v_mul_lo_u32 v16, s38, v9
	v_mad_u64_u32 v[9:10], null, s38, v22, v[7:8]
	v_add3_u32 v8, v23, v10, v16
	s_delay_alu instid0(VALU_DEP_2)
	v_mov_b32_e32 v7, v9
	s_cbranch_scc0 .LBB55_27
; %bb.26:                               ;   in Loop: Header=BB55_21 Depth=2
	v_dual_mov_b32 v9, v20 :: v_dual_mov_b32 v10, v21
	s_branch .LBB55_21
.LBB55_27:                              ;   in Loop: Header=BB55_9 Depth=1
	v_mul_lo_u32 v16, s15, v20
	v_mul_lo_u32 v21, s14, v21
	v_mad_u64_u32 v[9:10], null, s14, v20, 0
	v_lshlrev_b64 v[7:8], 1, v[7:8]
	s_delay_alu instid0(VALU_DEP_2) | instskip(NEXT) | instid1(VALU_DEP_1)
	v_add3_u32 v10, v10, v21, v16
	v_lshlrev_b64 v[9:10], 1, v[9:10]
	s_delay_alu instid0(VALU_DEP_1) | instskip(NEXT) | instid1(VALU_DEP_2)
	v_add_co_u32 v9, vcc_lo, s16, v9
	v_add_co_ci_u32_e32 v10, vcc_lo, s17, v10, vcc_lo
	s_delay_alu instid0(VALU_DEP_2) | instskip(NEXT) | instid1(VALU_DEP_2)
	v_add_co_u32 v7, vcc_lo, v9, v7
	v_add_co_ci_u32_e32 v8, vcc_lo, v10, v8, vcc_lo
	global_load_u16 v53, v[7:8], off
.LBB55_28:                              ;   in Loop: Header=BB55_9 Depth=1
	s_or_b32 exec_lo, exec_lo, s1
	v_add_co_u32 v20, vcc_lo, v17, s28
	v_add_co_ci_u32_e32 v21, vcc_lo, 0, v18, vcc_lo
	s_delay_alu instid0(VALU_DEP_1) | instskip(NEXT) | instid1(VALU_DEP_1)
	v_cmp_gt_u64_e64 s2, s[6:7], v[20:21]
	s_and_saveexec_b32 s1, s2
	s_cbranch_execz .LBB55_37
; %bb.29:                               ;   in Loop: Header=BB55_9 Depth=1
	v_mov_b32_e32 v7, 0
	v_dual_mov_b32 v8, 0 :: v_dual_mov_b32 v9, v20
	v_mov_b32_e32 v10, v21
	v_dual_mov_b32 v23, v21 :: v_dual_mov_b32 v22, v20
	s_and_not1_b32 vcc_lo, exec_lo, s31
	s_mov_b64 s[24:25], s[20:21]
	s_mov_b32 s4, s35
	s_cbranch_vccnz .LBB55_36
.LBB55_30:                              ;   Parent Loop BB55_9 Depth=1
                                        ; =>  This Inner Loop Header: Depth=2
	s_load_b64 s[26:27], s[24:25], 0x0
                                        ; implicit-def: $vgpr22_vgpr23
	s_mov_b32 s0, exec_lo
	s_waitcnt lgkmcnt(0)
	v_or_b32_e32 v16, s27, v10
	s_delay_alu instid0(VALU_DEP_1)
	v_cmpx_ne_u64_e32 0, v[15:16]
	s_xor_b32 s38, exec_lo, s0
	s_cbranch_execz .LBB55_32
; %bb.31:                               ;   in Loop: Header=BB55_30 Depth=2
	v_cvt_f32_u32_e32 v16, s26
	v_cvt_f32_u32_e32 v22, s27
	s_sub_u32 s0, 0, s26
	s_subb_u32 s39, 0, s27
	s_delay_alu instid0(VALU_DEP_1) | instskip(NEXT) | instid1(VALU_DEP_1)
	v_fmac_f32_e32 v16, 0x4f800000, v22
	v_rcp_f32_e32 v16, v16
	s_waitcnt_depctr 0xfff
	v_mul_f32_e32 v16, 0x5f7ffffc, v16
	s_delay_alu instid0(VALU_DEP_1) | instskip(NEXT) | instid1(VALU_DEP_1)
	v_mul_f32_e32 v22, 0x2f800000, v16
	v_trunc_f32_e32 v22, v22
	s_delay_alu instid0(VALU_DEP_1) | instskip(SKIP_1) | instid1(VALU_DEP_2)
	v_fmac_f32_e32 v16, 0xcf800000, v22
	v_cvt_u32_f32_e32 v22, v22
	v_cvt_u32_f32_e32 v16, v16
	s_delay_alu instid0(VALU_DEP_2) | instskip(NEXT) | instid1(VALU_DEP_2)
	v_mul_lo_u32 v23, s0, v22
	v_mul_hi_u32 v24, s0, v16
	v_mul_lo_u32 v25, s39, v16
	s_delay_alu instid0(VALU_DEP_2) | instskip(SKIP_1) | instid1(VALU_DEP_2)
	v_add_nc_u32_e32 v23, v24, v23
	v_mul_lo_u32 v24, s0, v16
	v_add_nc_u32_e32 v23, v23, v25
	s_delay_alu instid0(VALU_DEP_2) | instskip(NEXT) | instid1(VALU_DEP_2)
	v_mul_hi_u32 v25, v16, v24
	v_mul_lo_u32 v26, v16, v23
	v_mul_hi_u32 v27, v16, v23
	v_mul_hi_u32 v52, v22, v24
	v_mul_lo_u32 v24, v22, v24
	v_mul_hi_u32 v54, v22, v23
	v_mul_lo_u32 v23, v22, v23
	v_add_co_u32 v25, vcc_lo, v25, v26
	v_add_co_ci_u32_e32 v26, vcc_lo, 0, v27, vcc_lo
	s_delay_alu instid0(VALU_DEP_2) | instskip(NEXT) | instid1(VALU_DEP_2)
	v_add_co_u32 v24, vcc_lo, v25, v24
	v_add_co_ci_u32_e32 v24, vcc_lo, v26, v52, vcc_lo
	v_add_co_ci_u32_e32 v25, vcc_lo, 0, v54, vcc_lo
	s_delay_alu instid0(VALU_DEP_2) | instskip(NEXT) | instid1(VALU_DEP_2)
	v_add_co_u32 v23, vcc_lo, v24, v23
	v_add_co_ci_u32_e32 v24, vcc_lo, 0, v25, vcc_lo
	s_delay_alu instid0(VALU_DEP_2) | instskip(NEXT) | instid1(VALU_DEP_2)
	v_add_co_u32 v16, vcc_lo, v16, v23
	v_add_co_ci_u32_e32 v22, vcc_lo, v22, v24, vcc_lo
	s_delay_alu instid0(VALU_DEP_2) | instskip(SKIP_1) | instid1(VALU_DEP_3)
	v_mul_hi_u32 v23, s0, v16
	v_mul_lo_u32 v25, s39, v16
	v_mul_lo_u32 v24, s0, v22
	s_delay_alu instid0(VALU_DEP_1) | instskip(SKIP_1) | instid1(VALU_DEP_2)
	v_add_nc_u32_e32 v23, v23, v24
	v_mul_lo_u32 v24, s0, v16
	v_add_nc_u32_e32 v23, v23, v25
	s_delay_alu instid0(VALU_DEP_2) | instskip(NEXT) | instid1(VALU_DEP_2)
	v_mul_hi_u32 v25, v16, v24
	v_mul_lo_u32 v26, v16, v23
	v_mul_hi_u32 v27, v16, v23
	v_mul_hi_u32 v52, v22, v24
	v_mul_lo_u32 v24, v22, v24
	v_mul_hi_u32 v54, v22, v23
	v_mul_lo_u32 v23, v22, v23
	v_add_co_u32 v25, vcc_lo, v25, v26
	v_add_co_ci_u32_e32 v26, vcc_lo, 0, v27, vcc_lo
	s_delay_alu instid0(VALU_DEP_2) | instskip(NEXT) | instid1(VALU_DEP_2)
	v_add_co_u32 v24, vcc_lo, v25, v24
	v_add_co_ci_u32_e32 v24, vcc_lo, v26, v52, vcc_lo
	v_add_co_ci_u32_e32 v25, vcc_lo, 0, v54, vcc_lo
	s_delay_alu instid0(VALU_DEP_2) | instskip(NEXT) | instid1(VALU_DEP_2)
	v_add_co_u32 v23, vcc_lo, v24, v23
	v_add_co_ci_u32_e32 v24, vcc_lo, 0, v25, vcc_lo
	s_delay_alu instid0(VALU_DEP_2) | instskip(NEXT) | instid1(VALU_DEP_2)
	v_add_co_u32 v16, vcc_lo, v16, v23
	v_add_co_ci_u32_e32 v52, vcc_lo, v22, v24, vcc_lo
	s_delay_alu instid0(VALU_DEP_2) | instskip(SKIP_1) | instid1(VALU_DEP_3)
	v_mul_hi_u32 v54, v9, v16
	v_mad_u64_u32 v[24:25], null, v10, v16, 0
	v_mad_u64_u32 v[22:23], null, v9, v52, 0
	;; [unrolled: 1-line block ×3, first 2 shown]
	s_delay_alu instid0(VALU_DEP_2) | instskip(NEXT) | instid1(VALU_DEP_3)
	v_add_co_u32 v16, vcc_lo, v54, v22
	v_add_co_ci_u32_e32 v22, vcc_lo, 0, v23, vcc_lo
	s_delay_alu instid0(VALU_DEP_2) | instskip(NEXT) | instid1(VALU_DEP_2)
	v_add_co_u32 v16, vcc_lo, v16, v24
	v_add_co_ci_u32_e32 v16, vcc_lo, v22, v25, vcc_lo
	v_add_co_ci_u32_e32 v22, vcc_lo, 0, v27, vcc_lo
	s_delay_alu instid0(VALU_DEP_2) | instskip(NEXT) | instid1(VALU_DEP_2)
	v_add_co_u32 v16, vcc_lo, v16, v26
	v_add_co_ci_u32_e32 v24, vcc_lo, 0, v22, vcc_lo
	s_delay_alu instid0(VALU_DEP_2) | instskip(SKIP_1) | instid1(VALU_DEP_3)
	v_mul_lo_u32 v25, s27, v16
	v_mad_u64_u32 v[22:23], null, s26, v16, 0
	v_mul_lo_u32 v26, s26, v24
	s_delay_alu instid0(VALU_DEP_2) | instskip(NEXT) | instid1(VALU_DEP_2)
	v_sub_co_u32 v22, vcc_lo, v9, v22
	v_add3_u32 v23, v23, v26, v25
	s_delay_alu instid0(VALU_DEP_1) | instskip(NEXT) | instid1(VALU_DEP_1)
	v_sub_nc_u32_e32 v25, v10, v23
	v_subrev_co_ci_u32_e64 v25, s0, s27, v25, vcc_lo
	v_add_co_u32 v26, s0, v16, 2
	s_delay_alu instid0(VALU_DEP_1) | instskip(SKIP_3) | instid1(VALU_DEP_3)
	v_add_co_ci_u32_e64 v27, s0, 0, v24, s0
	v_sub_co_u32 v52, s0, v22, s26
	v_sub_co_ci_u32_e32 v23, vcc_lo, v10, v23, vcc_lo
	v_subrev_co_ci_u32_e64 v25, s0, 0, v25, s0
	v_cmp_le_u32_e32 vcc_lo, s26, v52
	s_delay_alu instid0(VALU_DEP_3) | instskip(SKIP_1) | instid1(VALU_DEP_4)
	v_cmp_eq_u32_e64 s0, s27, v23
	v_cndmask_b32_e64 v52, 0, -1, vcc_lo
	v_cmp_le_u32_e32 vcc_lo, s27, v25
	v_cndmask_b32_e64 v54, 0, -1, vcc_lo
	v_cmp_le_u32_e32 vcc_lo, s26, v22
	;; [unrolled: 2-line block ×3, first 2 shown]
	v_cndmask_b32_e64 v55, 0, -1, vcc_lo
	v_cmp_eq_u32_e32 vcc_lo, s27, v25
	s_delay_alu instid0(VALU_DEP_2) | instskip(SKIP_3) | instid1(VALU_DEP_3)
	v_cndmask_b32_e64 v22, v55, v22, s0
	v_cndmask_b32_e32 v25, v54, v52, vcc_lo
	v_add_co_u32 v52, vcc_lo, v16, 1
	v_add_co_ci_u32_e32 v54, vcc_lo, 0, v24, vcc_lo
	v_cmp_ne_u32_e32 vcc_lo, 0, v25
	s_delay_alu instid0(VALU_DEP_3) | instskip(NEXT) | instid1(VALU_DEP_3)
	v_cndmask_b32_e32 v25, v52, v26, vcc_lo
	v_cndmask_b32_e32 v23, v54, v27, vcc_lo
	v_cmp_ne_u32_e32 vcc_lo, 0, v22
	s_delay_alu instid0(VALU_DEP_3) | instskip(NEXT) | instid1(VALU_DEP_3)
	v_cndmask_b32_e32 v22, v16, v25, vcc_lo
	v_cndmask_b32_e32 v23, v24, v23, vcc_lo
.LBB55_32:                              ;   in Loop: Header=BB55_30 Depth=2
	s_and_not1_saveexec_b32 s0, s38
	s_cbranch_execz .LBB55_34
; %bb.33:                               ;   in Loop: Header=BB55_30 Depth=2
	v_cvt_f32_u32_e32 v16, s26
	s_sub_i32 s38, 0, s26
	s_delay_alu instid0(VALU_DEP_1) | instskip(SKIP_2) | instid1(VALU_DEP_1)
	v_rcp_iflag_f32_e32 v16, v16
	s_waitcnt_depctr 0xfff
	v_mul_f32_e32 v16, 0x4f7ffffe, v16
	v_cvt_u32_f32_e32 v16, v16
	s_delay_alu instid0(VALU_DEP_1) | instskip(NEXT) | instid1(VALU_DEP_1)
	v_mul_lo_u32 v22, s38, v16
	v_mul_hi_u32 v22, v16, v22
	s_delay_alu instid0(VALU_DEP_1) | instskip(NEXT) | instid1(VALU_DEP_1)
	v_add_nc_u32_e32 v16, v16, v22
	v_mul_hi_u32 v16, v9, v16
	s_delay_alu instid0(VALU_DEP_1) | instskip(SKIP_1) | instid1(VALU_DEP_2)
	v_mul_lo_u32 v22, v16, s26
	v_add_nc_u32_e32 v23, 1, v16
	v_sub_nc_u32_e32 v22, v9, v22
	s_delay_alu instid0(VALU_DEP_1) | instskip(SKIP_1) | instid1(VALU_DEP_2)
	v_subrev_nc_u32_e32 v24, s26, v22
	v_cmp_le_u32_e32 vcc_lo, s26, v22
	v_cndmask_b32_e32 v22, v22, v24, vcc_lo
	v_cndmask_b32_e32 v16, v16, v23, vcc_lo
	s_delay_alu instid0(VALU_DEP_2) | instskip(NEXT) | instid1(VALU_DEP_2)
	v_cmp_le_u32_e32 vcc_lo, s26, v22
	v_add_nc_u32_e32 v23, 1, v16
	s_delay_alu instid0(VALU_DEP_1)
	v_dual_cndmask_b32 v22, v16, v23 :: v_dual_mov_b32 v23, v15
.LBB55_34:                              ;   in Loop: Header=BB55_30 Depth=2
	s_or_b32 exec_lo, exec_lo, s0
	s_load_b64 s[38:39], s[24:25], 0xc8
	s_delay_alu instid0(VALU_DEP_1) | instskip(NEXT) | instid1(VALU_DEP_2)
	v_mul_lo_u32 v16, v23, s26
	v_mul_lo_u32 v26, v22, s27
	v_mad_u64_u32 v[24:25], null, v22, s26, 0
	s_add_i32 s4, s4, -1
	s_add_u32 s24, s24, -8
	s_addc_u32 s25, s25, -1
	s_cmp_gt_u32 s4, 2
	s_delay_alu instid0(VALU_DEP_1) | instskip(NEXT) | instid1(VALU_DEP_2)
	v_add3_u32 v16, v25, v26, v16
	v_sub_co_u32 v24, vcc_lo, v9, v24
	s_delay_alu instid0(VALU_DEP_2) | instskip(SKIP_1) | instid1(VALU_DEP_2)
	v_sub_co_ci_u32_e32 v9, vcc_lo, v10, v16, vcc_lo
	s_waitcnt lgkmcnt(0)
	v_mul_lo_u32 v25, s39, v24
	s_delay_alu instid0(VALU_DEP_2) | instskip(SKIP_1) | instid1(VALU_DEP_1)
	v_mul_lo_u32 v16, s38, v9
	v_mad_u64_u32 v[9:10], null, s38, v24, v[7:8]
	v_add3_u32 v8, v25, v10, v16
	s_delay_alu instid0(VALU_DEP_2)
	v_mov_b32_e32 v7, v9
	s_cbranch_scc0 .LBB55_36
; %bb.35:                               ;   in Loop: Header=BB55_30 Depth=2
	v_dual_mov_b32 v9, v22 :: v_dual_mov_b32 v10, v23
	s_branch .LBB55_30
.LBB55_36:                              ;   in Loop: Header=BB55_9 Depth=1
	v_mul_lo_u32 v16, s15, v22
	v_mul_lo_u32 v23, s14, v23
	v_mad_u64_u32 v[9:10], null, s14, v22, 0
	v_lshlrev_b64 v[7:8], 1, v[7:8]
	s_delay_alu instid0(VALU_DEP_2) | instskip(NEXT) | instid1(VALU_DEP_1)
	v_add3_u32 v10, v10, v23, v16
	v_lshlrev_b64 v[9:10], 1, v[9:10]
	s_delay_alu instid0(VALU_DEP_1) | instskip(NEXT) | instid1(VALU_DEP_2)
	v_add_co_u32 v9, vcc_lo, s16, v9
	v_add_co_ci_u32_e32 v10, vcc_lo, s17, v10, vcc_lo
	s_delay_alu instid0(VALU_DEP_2) | instskip(NEXT) | instid1(VALU_DEP_2)
	v_add_co_u32 v7, vcc_lo, v9, v7
	v_add_co_ci_u32_e32 v8, vcc_lo, v10, v8, vcc_lo
	global_load_u16 v52, v[7:8], off
.LBB55_37:                              ;   in Loop: Header=BB55_9 Depth=1
	s_or_b32 exec_lo, exec_lo, s1
	v_add_co_u32 v9, vcc_lo, v17, s34
	v_add_co_ci_u32_e32 v10, vcc_lo, 0, v18, vcc_lo
	s_delay_alu instid0(VALU_DEP_1) | instskip(NEXT) | instid1(VALU_DEP_1)
	v_cmp_gt_u64_e64 s1, s[6:7], v[9:10]
	s_and_saveexec_b32 s4, s1
	s_cbranch_execz .LBB55_46
; %bb.38:                               ;   in Loop: Header=BB55_9 Depth=1
	v_mov_b32_e32 v7, 0
	v_dual_mov_b32 v8, 0 :: v_dual_mov_b32 v23, v10
	v_dual_mov_b32 v22, v9 :: v_dual_mov_b32 v25, v10
	v_mov_b32_e32 v24, v9
	s_and_not1_b32 vcc_lo, exec_lo, s31
	s_mov_b64 s[24:25], s[20:21]
	s_mov_b32 s38, s35
	s_cbranch_vccnz .LBB55_45
.LBB55_39:                              ;   Parent Loop BB55_9 Depth=1
                                        ; =>  This Inner Loop Header: Depth=2
	s_load_b64 s[26:27], s[24:25], 0x0
                                        ; implicit-def: $vgpr24_vgpr25
	s_mov_b32 s0, exec_lo
	s_waitcnt lgkmcnt(0)
	v_or_b32_e32 v16, s27, v23
	s_delay_alu instid0(VALU_DEP_1)
	v_cmpx_ne_u64_e32 0, v[15:16]
	s_xor_b32 s39, exec_lo, s0
	s_cbranch_execz .LBB55_41
; %bb.40:                               ;   in Loop: Header=BB55_39 Depth=2
	v_cvt_f32_u32_e32 v16, s26
	v_cvt_f32_u32_e32 v24, s27
	s_sub_u32 s0, 0, s26
	s_subb_u32 s40, 0, s27
	s_delay_alu instid0(VALU_DEP_1) | instskip(NEXT) | instid1(VALU_DEP_1)
	v_fmac_f32_e32 v16, 0x4f800000, v24
	v_rcp_f32_e32 v16, v16
	s_waitcnt_depctr 0xfff
	v_mul_f32_e32 v16, 0x5f7ffffc, v16
	s_delay_alu instid0(VALU_DEP_1) | instskip(NEXT) | instid1(VALU_DEP_1)
	v_mul_f32_e32 v24, 0x2f800000, v16
	v_trunc_f32_e32 v24, v24
	s_delay_alu instid0(VALU_DEP_1) | instskip(SKIP_1) | instid1(VALU_DEP_2)
	v_fmac_f32_e32 v16, 0xcf800000, v24
	v_cvt_u32_f32_e32 v24, v24
	v_cvt_u32_f32_e32 v16, v16
	s_delay_alu instid0(VALU_DEP_2) | instskip(NEXT) | instid1(VALU_DEP_2)
	v_mul_lo_u32 v25, s0, v24
	v_mul_hi_u32 v26, s0, v16
	v_mul_lo_u32 v27, s40, v16
	s_delay_alu instid0(VALU_DEP_2) | instskip(SKIP_1) | instid1(VALU_DEP_2)
	v_add_nc_u32_e32 v25, v26, v25
	v_mul_lo_u32 v26, s0, v16
	v_add_nc_u32_e32 v25, v25, v27
	s_delay_alu instid0(VALU_DEP_2) | instskip(NEXT) | instid1(VALU_DEP_2)
	v_mul_hi_u32 v27, v16, v26
	v_mul_lo_u32 v51, v16, v25
	v_mul_hi_u32 v54, v16, v25
	v_mul_hi_u32 v55, v24, v26
	v_mul_lo_u32 v26, v24, v26
	v_mul_hi_u32 v56, v24, v25
	v_mul_lo_u32 v25, v24, v25
	v_add_co_u32 v27, vcc_lo, v27, v51
	v_add_co_ci_u32_e32 v51, vcc_lo, 0, v54, vcc_lo
	s_delay_alu instid0(VALU_DEP_2) | instskip(NEXT) | instid1(VALU_DEP_2)
	v_add_co_u32 v26, vcc_lo, v27, v26
	v_add_co_ci_u32_e32 v26, vcc_lo, v51, v55, vcc_lo
	v_add_co_ci_u32_e32 v27, vcc_lo, 0, v56, vcc_lo
	s_delay_alu instid0(VALU_DEP_2) | instskip(NEXT) | instid1(VALU_DEP_2)
	v_add_co_u32 v25, vcc_lo, v26, v25
	v_add_co_ci_u32_e32 v26, vcc_lo, 0, v27, vcc_lo
	s_delay_alu instid0(VALU_DEP_2) | instskip(NEXT) | instid1(VALU_DEP_2)
	v_add_co_u32 v16, vcc_lo, v16, v25
	v_add_co_ci_u32_e32 v24, vcc_lo, v24, v26, vcc_lo
	s_delay_alu instid0(VALU_DEP_2) | instskip(SKIP_1) | instid1(VALU_DEP_3)
	v_mul_hi_u32 v25, s0, v16
	v_mul_lo_u32 v27, s40, v16
	v_mul_lo_u32 v26, s0, v24
	s_delay_alu instid0(VALU_DEP_1) | instskip(SKIP_1) | instid1(VALU_DEP_2)
	v_add_nc_u32_e32 v25, v25, v26
	v_mul_lo_u32 v26, s0, v16
	v_add_nc_u32_e32 v25, v25, v27
	s_delay_alu instid0(VALU_DEP_2) | instskip(NEXT) | instid1(VALU_DEP_2)
	v_mul_hi_u32 v27, v16, v26
	v_mul_lo_u32 v51, v16, v25
	v_mul_hi_u32 v54, v16, v25
	v_mul_hi_u32 v55, v24, v26
	v_mul_lo_u32 v26, v24, v26
	v_mul_hi_u32 v56, v24, v25
	v_mul_lo_u32 v25, v24, v25
	v_add_co_u32 v27, vcc_lo, v27, v51
	v_add_co_ci_u32_e32 v51, vcc_lo, 0, v54, vcc_lo
	s_delay_alu instid0(VALU_DEP_2) | instskip(NEXT) | instid1(VALU_DEP_2)
	v_add_co_u32 v26, vcc_lo, v27, v26
	v_add_co_ci_u32_e32 v26, vcc_lo, v51, v55, vcc_lo
	v_add_co_ci_u32_e32 v27, vcc_lo, 0, v56, vcc_lo
	s_delay_alu instid0(VALU_DEP_2) | instskip(NEXT) | instid1(VALU_DEP_2)
	v_add_co_u32 v25, vcc_lo, v26, v25
	v_add_co_ci_u32_e32 v26, vcc_lo, 0, v27, vcc_lo
	s_delay_alu instid0(VALU_DEP_2) | instskip(NEXT) | instid1(VALU_DEP_2)
	v_add_co_u32 v16, vcc_lo, v16, v25
	v_add_co_ci_u32_e32 v51, vcc_lo, v24, v26, vcc_lo
	s_delay_alu instid0(VALU_DEP_2) | instskip(SKIP_1) | instid1(VALU_DEP_3)
	v_mul_hi_u32 v56, v22, v16
	v_mad_u64_u32 v[26:27], null, v23, v16, 0
	v_mad_u64_u32 v[24:25], null, v22, v51, 0
	;; [unrolled: 1-line block ×3, first 2 shown]
	s_delay_alu instid0(VALU_DEP_2) | instskip(NEXT) | instid1(VALU_DEP_3)
	v_add_co_u32 v16, vcc_lo, v56, v24
	v_add_co_ci_u32_e32 v24, vcc_lo, 0, v25, vcc_lo
	s_delay_alu instid0(VALU_DEP_2) | instskip(NEXT) | instid1(VALU_DEP_2)
	v_add_co_u32 v16, vcc_lo, v16, v26
	v_add_co_ci_u32_e32 v16, vcc_lo, v24, v27, vcc_lo
	v_add_co_ci_u32_e32 v24, vcc_lo, 0, v55, vcc_lo
	s_delay_alu instid0(VALU_DEP_2) | instskip(NEXT) | instid1(VALU_DEP_2)
	v_add_co_u32 v16, vcc_lo, v16, v54
	v_add_co_ci_u32_e32 v26, vcc_lo, 0, v24, vcc_lo
	s_delay_alu instid0(VALU_DEP_2) | instskip(SKIP_1) | instid1(VALU_DEP_3)
	v_mul_lo_u32 v27, s27, v16
	v_mad_u64_u32 v[24:25], null, s26, v16, 0
	v_mul_lo_u32 v51, s26, v26
	s_delay_alu instid0(VALU_DEP_2) | instskip(NEXT) | instid1(VALU_DEP_2)
	v_sub_co_u32 v24, vcc_lo, v22, v24
	v_add3_u32 v25, v25, v51, v27
	s_delay_alu instid0(VALU_DEP_1) | instskip(NEXT) | instid1(VALU_DEP_1)
	v_sub_nc_u32_e32 v27, v23, v25
	v_subrev_co_ci_u32_e64 v27, s0, s27, v27, vcc_lo
	v_add_co_u32 v51, s0, v16, 2
	s_delay_alu instid0(VALU_DEP_1) | instskip(SKIP_3) | instid1(VALU_DEP_3)
	v_add_co_ci_u32_e64 v54, s0, 0, v26, s0
	v_sub_co_u32 v55, s0, v24, s26
	v_sub_co_ci_u32_e32 v25, vcc_lo, v23, v25, vcc_lo
	v_subrev_co_ci_u32_e64 v27, s0, 0, v27, s0
	v_cmp_le_u32_e32 vcc_lo, s26, v55
	s_delay_alu instid0(VALU_DEP_3) | instskip(SKIP_1) | instid1(VALU_DEP_4)
	v_cmp_eq_u32_e64 s0, s27, v25
	v_cndmask_b32_e64 v55, 0, -1, vcc_lo
	v_cmp_le_u32_e32 vcc_lo, s27, v27
	v_cndmask_b32_e64 v56, 0, -1, vcc_lo
	v_cmp_le_u32_e32 vcc_lo, s26, v24
	;; [unrolled: 2-line block ×3, first 2 shown]
	v_cndmask_b32_e64 v57, 0, -1, vcc_lo
	v_cmp_eq_u32_e32 vcc_lo, s27, v27
	s_delay_alu instid0(VALU_DEP_2) | instskip(SKIP_3) | instid1(VALU_DEP_3)
	v_cndmask_b32_e64 v24, v57, v24, s0
	v_cndmask_b32_e32 v27, v56, v55, vcc_lo
	v_add_co_u32 v55, vcc_lo, v16, 1
	v_add_co_ci_u32_e32 v56, vcc_lo, 0, v26, vcc_lo
	v_cmp_ne_u32_e32 vcc_lo, 0, v27
	s_delay_alu instid0(VALU_DEP_2) | instskip(NEXT) | instid1(VALU_DEP_4)
	v_cndmask_b32_e32 v25, v56, v54, vcc_lo
	v_cndmask_b32_e32 v27, v55, v51, vcc_lo
	v_cmp_ne_u32_e32 vcc_lo, 0, v24
	s_delay_alu instid0(VALU_DEP_2)
	v_dual_cndmask_b32 v25, v26, v25 :: v_dual_cndmask_b32 v24, v16, v27
.LBB55_41:                              ;   in Loop: Header=BB55_39 Depth=2
	s_and_not1_saveexec_b32 s0, s39
	s_cbranch_execz .LBB55_43
; %bb.42:                               ;   in Loop: Header=BB55_39 Depth=2
	v_cvt_f32_u32_e32 v16, s26
	s_sub_i32 s39, 0, s26
	s_delay_alu instid0(VALU_DEP_1) | instskip(SKIP_2) | instid1(VALU_DEP_1)
	v_rcp_iflag_f32_e32 v16, v16
	s_waitcnt_depctr 0xfff
	v_mul_f32_e32 v16, 0x4f7ffffe, v16
	v_cvt_u32_f32_e32 v16, v16
	s_delay_alu instid0(VALU_DEP_1) | instskip(NEXT) | instid1(VALU_DEP_1)
	v_mul_lo_u32 v24, s39, v16
	v_mul_hi_u32 v24, v16, v24
	s_delay_alu instid0(VALU_DEP_1) | instskip(NEXT) | instid1(VALU_DEP_1)
	v_add_nc_u32_e32 v16, v16, v24
	v_mul_hi_u32 v16, v22, v16
	s_delay_alu instid0(VALU_DEP_1) | instskip(NEXT) | instid1(VALU_DEP_1)
	v_mul_lo_u32 v24, v16, s26
	v_sub_nc_u32_e32 v24, v22, v24
	s_delay_alu instid0(VALU_DEP_1) | instskip(SKIP_1) | instid1(VALU_DEP_2)
	v_subrev_nc_u32_e32 v26, s26, v24
	v_cmp_le_u32_e32 vcc_lo, s26, v24
	v_dual_cndmask_b32 v24, v24, v26 :: v_dual_add_nc_u32 v25, 1, v16
	s_delay_alu instid0(VALU_DEP_1) | instskip(NEXT) | instid1(VALU_DEP_2)
	v_cndmask_b32_e32 v16, v16, v25, vcc_lo
	v_cmp_le_u32_e32 vcc_lo, s26, v24
	s_delay_alu instid0(VALU_DEP_2) | instskip(NEXT) | instid1(VALU_DEP_1)
	v_add_nc_u32_e32 v25, 1, v16
	v_dual_cndmask_b32 v24, v16, v25 :: v_dual_mov_b32 v25, v15
.LBB55_43:                              ;   in Loop: Header=BB55_39 Depth=2
	s_or_b32 exec_lo, exec_lo, s0
	s_load_b64 s[40:41], s[24:25], 0xc8
	s_delay_alu instid0(VALU_DEP_1) | instskip(NEXT) | instid1(VALU_DEP_2)
	v_mul_lo_u32 v16, v25, s26
	v_mul_lo_u32 v51, v24, s27
	v_mad_u64_u32 v[26:27], null, v24, s26, 0
	s_add_i32 s38, s38, -1
	s_add_u32 s24, s24, -8
	s_addc_u32 s25, s25, -1
	s_cmp_gt_u32 s38, 2
	s_delay_alu instid0(VALU_DEP_1) | instskip(NEXT) | instid1(VALU_DEP_2)
	v_add3_u32 v16, v27, v51, v16
	v_sub_co_u32 v26, vcc_lo, v22, v26
	s_delay_alu instid0(VALU_DEP_2) | instskip(SKIP_1) | instid1(VALU_DEP_2)
	v_sub_co_ci_u32_e32 v16, vcc_lo, v23, v16, vcc_lo
	s_waitcnt lgkmcnt(0)
	v_mul_lo_u32 v27, s41, v26
	s_delay_alu instid0(VALU_DEP_2) | instskip(SKIP_1) | instid1(VALU_DEP_1)
	v_mul_lo_u32 v16, s40, v16
	v_mad_u64_u32 v[22:23], null, s40, v26, v[7:8]
	v_add3_u32 v8, v27, v23, v16
	s_delay_alu instid0(VALU_DEP_2)
	v_mov_b32_e32 v7, v22
	s_cbranch_scc0 .LBB55_45
; %bb.44:                               ;   in Loop: Header=BB55_39 Depth=2
	v_dual_mov_b32 v22, v24 :: v_dual_mov_b32 v23, v25
	s_branch .LBB55_39
.LBB55_45:                              ;   in Loop: Header=BB55_9 Depth=1
	v_mul_lo_u32 v16, s15, v24
	v_mul_lo_u32 v25, s14, v25
	v_mad_u64_u32 v[22:23], null, s14, v24, 0
	v_lshlrev_b64 v[7:8], 1, v[7:8]
	s_delay_alu instid0(VALU_DEP_2) | instskip(NEXT) | instid1(VALU_DEP_1)
	v_add3_u32 v23, v23, v25, v16
	v_lshlrev_b64 v[22:23], 1, v[22:23]
	s_delay_alu instid0(VALU_DEP_1) | instskip(NEXT) | instid1(VALU_DEP_2)
	v_add_co_u32 v16, vcc_lo, s16, v22
	v_add_co_ci_u32_e32 v22, vcc_lo, s17, v23, vcc_lo
	s_delay_alu instid0(VALU_DEP_2) | instskip(NEXT) | instid1(VALU_DEP_2)
	v_add_co_u32 v7, vcc_lo, v16, v7
	v_add_co_ci_u32_e32 v8, vcc_lo, v22, v8, vcc_lo
	global_load_u16 v51, v[7:8], off
.LBB55_46:                              ;   in Loop: Header=BB55_9 Depth=1
	s_or_b32 exec_lo, exec_lo, s4
	v_add_co_u32 v7, vcc_lo, v17, s36
	v_add_co_ci_u32_e32 v8, vcc_lo, 0, v18, vcc_lo
	s_delay_alu instid0(VALU_DEP_1) | instskip(NEXT) | instid1(VALU_DEP_1)
	v_cmp_gt_u64_e64 s0, s[6:7], v[7:8]
	s_and_saveexec_b32 s38, s0
	s_cbranch_execnz .LBB55_51
; %bb.47:                               ;   in Loop: Header=BB55_9 Depth=1
	s_or_b32 exec_lo, exec_lo, s38
	s_and_saveexec_b32 s4, s3
	s_cbranch_execnz .LBB55_59
.LBB55_48:                              ;   in Loop: Header=BB55_9 Depth=1
	s_or_b32 exec_lo, exec_lo, s4
	s_and_saveexec_b32 s3, s2
	s_cbranch_execnz .LBB55_67
.LBB55_49:                              ;   in Loop: Header=BB55_9 Depth=1
	s_or_b32 exec_lo, exec_lo, s3
	s_and_saveexec_b32 s4, s1
	s_cbranch_execnz .LBB55_69
.LBB55_50:                              ;   in Loop: Header=BB55_9 Depth=1
	s_or_b32 exec_lo, exec_lo, s4
	s_and_saveexec_b32 s1, s0
	s_cbranch_execz .LBB55_8
	s_branch .LBB55_71
.LBB55_51:                              ;   in Loop: Header=BB55_9 Depth=1
	v_dual_mov_b32 v22, 0 :: v_dual_mov_b32 v25, v8
	v_dual_mov_b32 v23, 0 :: v_dual_mov_b32 v24, v7
	;; [unrolled: 1-line block ×3, first 2 shown]
	s_and_not1_b32 vcc_lo, exec_lo, s31
	s_mov_b64 s[24:25], s[20:21]
	s_mov_b32 s39, s35
	s_cbranch_vccnz .LBB55_58
.LBB55_52:                              ;   Parent Loop BB55_9 Depth=1
                                        ; =>  This Inner Loop Header: Depth=2
	s_load_b64 s[26:27], s[24:25], 0x0
                                        ; implicit-def: $vgpr26_vgpr27
	s_mov_b32 s4, exec_lo
	s_waitcnt lgkmcnt(0)
	v_or_b32_e32 v16, s27, v25
	s_delay_alu instid0(VALU_DEP_1)
	v_cmpx_ne_u64_e32 0, v[15:16]
	s_xor_b32 s40, exec_lo, s4
	s_cbranch_execz .LBB55_54
; %bb.53:                               ;   in Loop: Header=BB55_52 Depth=2
	v_cvt_f32_u32_e32 v16, s26
	v_cvt_f32_u32_e32 v26, s27
	s_sub_u32 s4, 0, s26
	s_subb_u32 s41, 0, s27
	s_delay_alu instid0(VALU_DEP_1) | instskip(NEXT) | instid1(VALU_DEP_1)
	v_fmac_f32_e32 v16, 0x4f800000, v26
	v_rcp_f32_e32 v16, v16
	s_waitcnt_depctr 0xfff
	v_mul_f32_e32 v16, 0x5f7ffffc, v16
	s_delay_alu instid0(VALU_DEP_1) | instskip(NEXT) | instid1(VALU_DEP_1)
	v_mul_f32_e32 v26, 0x2f800000, v16
	v_trunc_f32_e32 v26, v26
	s_delay_alu instid0(VALU_DEP_1) | instskip(SKIP_1) | instid1(VALU_DEP_2)
	v_fmac_f32_e32 v16, 0xcf800000, v26
	v_cvt_u32_f32_e32 v26, v26
	v_cvt_u32_f32_e32 v16, v16
	s_delay_alu instid0(VALU_DEP_2) | instskip(NEXT) | instid1(VALU_DEP_2)
	v_mul_lo_u32 v27, s4, v26
	v_mul_hi_u32 v50, s4, v16
	v_mul_lo_u32 v54, s41, v16
	s_delay_alu instid0(VALU_DEP_2) | instskip(SKIP_1) | instid1(VALU_DEP_2)
	v_add_nc_u32_e32 v27, v50, v27
	v_mul_lo_u32 v50, s4, v16
	v_add_nc_u32_e32 v27, v27, v54
	s_delay_alu instid0(VALU_DEP_2) | instskip(NEXT) | instid1(VALU_DEP_2)
	v_mul_hi_u32 v54, v16, v50
	v_mul_lo_u32 v55, v16, v27
	v_mul_hi_u32 v56, v16, v27
	v_mul_hi_u32 v57, v26, v50
	v_mul_lo_u32 v50, v26, v50
	v_mul_hi_u32 v58, v26, v27
	v_mul_lo_u32 v27, v26, v27
	v_add_co_u32 v54, vcc_lo, v54, v55
	v_add_co_ci_u32_e32 v55, vcc_lo, 0, v56, vcc_lo
	s_delay_alu instid0(VALU_DEP_2) | instskip(NEXT) | instid1(VALU_DEP_2)
	v_add_co_u32 v50, vcc_lo, v54, v50
	v_add_co_ci_u32_e32 v50, vcc_lo, v55, v57, vcc_lo
	v_add_co_ci_u32_e32 v54, vcc_lo, 0, v58, vcc_lo
	s_delay_alu instid0(VALU_DEP_2) | instskip(NEXT) | instid1(VALU_DEP_2)
	v_add_co_u32 v27, vcc_lo, v50, v27
	v_add_co_ci_u32_e32 v50, vcc_lo, 0, v54, vcc_lo
	s_delay_alu instid0(VALU_DEP_2) | instskip(NEXT) | instid1(VALU_DEP_2)
	v_add_co_u32 v16, vcc_lo, v16, v27
	v_add_co_ci_u32_e32 v26, vcc_lo, v26, v50, vcc_lo
	s_delay_alu instid0(VALU_DEP_2) | instskip(SKIP_1) | instid1(VALU_DEP_3)
	v_mul_hi_u32 v27, s4, v16
	v_mul_lo_u32 v54, s41, v16
	v_mul_lo_u32 v50, s4, v26
	s_delay_alu instid0(VALU_DEP_1) | instskip(SKIP_1) | instid1(VALU_DEP_2)
	v_add_nc_u32_e32 v27, v27, v50
	v_mul_lo_u32 v50, s4, v16
	v_add_nc_u32_e32 v27, v27, v54
	s_delay_alu instid0(VALU_DEP_2) | instskip(NEXT) | instid1(VALU_DEP_2)
	v_mul_hi_u32 v54, v16, v50
	v_mul_lo_u32 v55, v16, v27
	v_mul_hi_u32 v56, v16, v27
	v_mul_hi_u32 v57, v26, v50
	v_mul_lo_u32 v50, v26, v50
	v_mul_hi_u32 v58, v26, v27
	v_mul_lo_u32 v27, v26, v27
	v_add_co_u32 v54, vcc_lo, v54, v55
	v_add_co_ci_u32_e32 v55, vcc_lo, 0, v56, vcc_lo
	s_delay_alu instid0(VALU_DEP_2) | instskip(NEXT) | instid1(VALU_DEP_2)
	v_add_co_u32 v50, vcc_lo, v54, v50
	v_add_co_ci_u32_e32 v50, vcc_lo, v55, v57, vcc_lo
	v_add_co_ci_u32_e32 v54, vcc_lo, 0, v58, vcc_lo
	s_delay_alu instid0(VALU_DEP_2) | instskip(NEXT) | instid1(VALU_DEP_2)
	v_add_co_u32 v27, vcc_lo, v50, v27
	v_add_co_ci_u32_e32 v50, vcc_lo, 0, v54, vcc_lo
	s_delay_alu instid0(VALU_DEP_2) | instskip(NEXT) | instid1(VALU_DEP_2)
	v_add_co_u32 v16, vcc_lo, v16, v27
	v_add_co_ci_u32_e32 v50, vcc_lo, v26, v50, vcc_lo
	s_delay_alu instid0(VALU_DEP_2) | instskip(SKIP_1) | instid1(VALU_DEP_3)
	v_mul_hi_u32 v58, v24, v16
	v_mad_u64_u32 v[54:55], null, v25, v16, 0
	v_mad_u64_u32 v[26:27], null, v24, v50, 0
	;; [unrolled: 1-line block ×3, first 2 shown]
	s_delay_alu instid0(VALU_DEP_2) | instskip(NEXT) | instid1(VALU_DEP_3)
	v_add_co_u32 v16, vcc_lo, v58, v26
	v_add_co_ci_u32_e32 v26, vcc_lo, 0, v27, vcc_lo
	s_delay_alu instid0(VALU_DEP_2) | instskip(NEXT) | instid1(VALU_DEP_2)
	v_add_co_u32 v16, vcc_lo, v16, v54
	v_add_co_ci_u32_e32 v16, vcc_lo, v26, v55, vcc_lo
	v_add_co_ci_u32_e32 v26, vcc_lo, 0, v57, vcc_lo
	s_delay_alu instid0(VALU_DEP_2) | instskip(NEXT) | instid1(VALU_DEP_2)
	v_add_co_u32 v16, vcc_lo, v16, v56
	v_add_co_ci_u32_e32 v50, vcc_lo, 0, v26, vcc_lo
	s_delay_alu instid0(VALU_DEP_2) | instskip(SKIP_1) | instid1(VALU_DEP_3)
	v_mul_lo_u32 v54, s27, v16
	v_mad_u64_u32 v[26:27], null, s26, v16, 0
	v_mul_lo_u32 v55, s26, v50
	s_delay_alu instid0(VALU_DEP_2) | instskip(NEXT) | instid1(VALU_DEP_2)
	v_sub_co_u32 v26, vcc_lo, v24, v26
	v_add3_u32 v27, v27, v55, v54
	s_delay_alu instid0(VALU_DEP_1) | instskip(NEXT) | instid1(VALU_DEP_1)
	v_sub_nc_u32_e32 v54, v25, v27
	v_subrev_co_ci_u32_e64 v54, s4, s27, v54, vcc_lo
	v_add_co_u32 v55, s4, v16, 2
	s_delay_alu instid0(VALU_DEP_1) | instskip(SKIP_3) | instid1(VALU_DEP_3)
	v_add_co_ci_u32_e64 v56, s4, 0, v50, s4
	v_sub_co_u32 v57, s4, v26, s26
	v_sub_co_ci_u32_e32 v27, vcc_lo, v25, v27, vcc_lo
	v_subrev_co_ci_u32_e64 v54, s4, 0, v54, s4
	v_cmp_le_u32_e32 vcc_lo, s26, v57
	s_delay_alu instid0(VALU_DEP_3) | instskip(SKIP_1) | instid1(VALU_DEP_4)
	v_cmp_eq_u32_e64 s4, s27, v27
	v_cndmask_b32_e64 v57, 0, -1, vcc_lo
	v_cmp_le_u32_e32 vcc_lo, s27, v54
	v_cndmask_b32_e64 v58, 0, -1, vcc_lo
	v_cmp_le_u32_e32 vcc_lo, s26, v26
	;; [unrolled: 2-line block ×3, first 2 shown]
	v_cndmask_b32_e64 v59, 0, -1, vcc_lo
	v_cmp_eq_u32_e32 vcc_lo, s27, v54
	s_delay_alu instid0(VALU_DEP_2) | instskip(SKIP_3) | instid1(VALU_DEP_3)
	v_cndmask_b32_e64 v26, v59, v26, s4
	v_cndmask_b32_e32 v54, v58, v57, vcc_lo
	v_add_co_u32 v57, vcc_lo, v16, 1
	v_add_co_ci_u32_e32 v58, vcc_lo, 0, v50, vcc_lo
	v_cmp_ne_u32_e32 vcc_lo, 0, v54
	s_delay_alu instid0(VALU_DEP_2) | instskip(SKIP_1) | instid1(VALU_DEP_2)
	v_dual_cndmask_b32 v27, v58, v56 :: v_dual_cndmask_b32 v54, v57, v55
	v_cmp_ne_u32_e32 vcc_lo, 0, v26
	v_dual_cndmask_b32 v27, v50, v27 :: v_dual_cndmask_b32 v26, v16, v54
.LBB55_54:                              ;   in Loop: Header=BB55_52 Depth=2
	s_and_not1_saveexec_b32 s4, s40
	s_cbranch_execz .LBB55_56
; %bb.55:                               ;   in Loop: Header=BB55_52 Depth=2
	v_cvt_f32_u32_e32 v16, s26
	s_sub_i32 s40, 0, s26
	s_delay_alu instid0(VALU_DEP_1) | instskip(SKIP_2) | instid1(VALU_DEP_1)
	v_rcp_iflag_f32_e32 v16, v16
	s_waitcnt_depctr 0xfff
	v_mul_f32_e32 v16, 0x4f7ffffe, v16
	v_cvt_u32_f32_e32 v16, v16
	s_delay_alu instid0(VALU_DEP_1) | instskip(NEXT) | instid1(VALU_DEP_1)
	v_mul_lo_u32 v26, s40, v16
	v_mul_hi_u32 v26, v16, v26
	s_delay_alu instid0(VALU_DEP_1) | instskip(NEXT) | instid1(VALU_DEP_1)
	v_add_nc_u32_e32 v16, v16, v26
	v_mul_hi_u32 v16, v24, v16
	s_delay_alu instid0(VALU_DEP_1) | instskip(NEXT) | instid1(VALU_DEP_1)
	v_mul_lo_u32 v26, v16, s26
	v_sub_nc_u32_e32 v26, v24, v26
	s_delay_alu instid0(VALU_DEP_1) | instskip(SKIP_1) | instid1(VALU_DEP_2)
	v_subrev_nc_u32_e32 v50, s26, v26
	v_cmp_le_u32_e32 vcc_lo, s26, v26
	v_dual_cndmask_b32 v26, v26, v50 :: v_dual_add_nc_u32 v27, 1, v16
	s_delay_alu instid0(VALU_DEP_1) | instskip(NEXT) | instid1(VALU_DEP_2)
	v_cndmask_b32_e32 v16, v16, v27, vcc_lo
	v_cmp_le_u32_e32 vcc_lo, s26, v26
	s_delay_alu instid0(VALU_DEP_2) | instskip(NEXT) | instid1(VALU_DEP_1)
	v_add_nc_u32_e32 v27, 1, v16
	v_dual_cndmask_b32 v26, v16, v27 :: v_dual_mov_b32 v27, v15
.LBB55_56:                              ;   in Loop: Header=BB55_52 Depth=2
	s_or_b32 exec_lo, exec_lo, s4
	s_load_b64 s[40:41], s[24:25], 0xc8
	s_delay_alu instid0(VALU_DEP_1) | instskip(NEXT) | instid1(VALU_DEP_2)
	v_mul_lo_u32 v16, v27, s26
	v_mul_lo_u32 v50, v26, s27
	v_mad_u64_u32 v[54:55], null, v26, s26, 0
	s_add_i32 s39, s39, -1
	s_add_u32 s24, s24, -8
	s_addc_u32 s25, s25, -1
	s_cmp_gt_u32 s39, 2
	s_delay_alu instid0(VALU_DEP_1) | instskip(NEXT) | instid1(VALU_DEP_2)
	v_add3_u32 v16, v55, v50, v16
	v_sub_co_u32 v50, vcc_lo, v24, v54
	s_delay_alu instid0(VALU_DEP_2) | instskip(SKIP_1) | instid1(VALU_DEP_2)
	v_sub_co_ci_u32_e32 v16, vcc_lo, v25, v16, vcc_lo
	s_waitcnt lgkmcnt(0)
	v_mul_lo_u32 v54, s41, v50
	s_delay_alu instid0(VALU_DEP_2) | instskip(SKIP_1) | instid1(VALU_DEP_1)
	v_mul_lo_u32 v16, s40, v16
	v_mad_u64_u32 v[24:25], null, s40, v50, v[22:23]
	v_add3_u32 v23, v54, v25, v16
	s_delay_alu instid0(VALU_DEP_2)
	v_mov_b32_e32 v22, v24
	s_cbranch_scc0 .LBB55_58
; %bb.57:                               ;   in Loop: Header=BB55_52 Depth=2
	v_dual_mov_b32 v24, v26 :: v_dual_mov_b32 v25, v27
	s_branch .LBB55_52
.LBB55_58:                              ;   in Loop: Header=BB55_9 Depth=1
	v_mul_lo_u32 v16, s15, v26
	v_mul_lo_u32 v27, s14, v27
	v_mad_u64_u32 v[24:25], null, s14, v26, 0
	v_lshlrev_b64 v[22:23], 1, v[22:23]
	s_delay_alu instid0(VALU_DEP_2) | instskip(NEXT) | instid1(VALU_DEP_1)
	v_add3_u32 v25, v25, v27, v16
	v_lshlrev_b64 v[24:25], 1, v[24:25]
	s_delay_alu instid0(VALU_DEP_1) | instskip(NEXT) | instid1(VALU_DEP_2)
	v_add_co_u32 v16, vcc_lo, s16, v24
	v_add_co_ci_u32_e32 v24, vcc_lo, s17, v25, vcc_lo
	s_delay_alu instid0(VALU_DEP_2) | instskip(NEXT) | instid1(VALU_DEP_2)
	v_add_co_u32 v22, vcc_lo, v16, v22
	v_add_co_ci_u32_e32 v23, vcc_lo, v24, v23, vcc_lo
	global_load_u16 v50, v[22:23], off
	s_or_b32 exec_lo, exec_lo, s38
	s_and_saveexec_b32 s4, s3
	s_cbranch_execz .LBB55_48
.LBB55_59:                              ;   in Loop: Header=BB55_9 Depth=1
	v_dual_mov_b32 v22, 0 :: v_dual_mov_b32 v25, v18
	v_dual_mov_b32 v23, 0 :: v_dual_mov_b32 v24, v17
	;; [unrolled: 1-line block ×3, first 2 shown]
	s_and_not1_b32 vcc_lo, exec_lo, s33
	s_mov_b64 s[24:25], s[22:23]
	s_mov_b32 s38, s37
	s_cbranch_vccnz .LBB55_66
.LBB55_60:                              ;   Parent Loop BB55_9 Depth=1
                                        ; =>  This Inner Loop Header: Depth=2
	s_load_b64 s[26:27], s[24:25], 0x0
                                        ; implicit-def: $vgpr26_vgpr27
	s_mov_b32 s3, exec_lo
	s_waitcnt lgkmcnt(0)
	v_or_b32_e32 v16, s27, v25
	s_delay_alu instid0(VALU_DEP_1)
	v_cmpx_ne_u64_e32 0, v[15:16]
	s_xor_b32 s39, exec_lo, s3
	s_cbranch_execz .LBB55_62
; %bb.61:                               ;   in Loop: Header=BB55_60 Depth=2
	v_cvt_f32_u32_e32 v16, s26
	v_cvt_f32_u32_e32 v26, s27
	s_sub_u32 s3, 0, s26
	s_subb_u32 s40, 0, s27
	s_delay_alu instid0(VALU_DEP_1) | instskip(NEXT) | instid1(VALU_DEP_1)
	v_fmac_f32_e32 v16, 0x4f800000, v26
	v_rcp_f32_e32 v16, v16
	s_waitcnt_depctr 0xfff
	v_mul_f32_e32 v16, 0x5f7ffffc, v16
	s_delay_alu instid0(VALU_DEP_1) | instskip(NEXT) | instid1(VALU_DEP_1)
	v_mul_f32_e32 v26, 0x2f800000, v16
	v_trunc_f32_e32 v26, v26
	s_delay_alu instid0(VALU_DEP_1) | instskip(SKIP_1) | instid1(VALU_DEP_2)
	v_fmac_f32_e32 v16, 0xcf800000, v26
	v_cvt_u32_f32_e32 v26, v26
	v_cvt_u32_f32_e32 v16, v16
	s_delay_alu instid0(VALU_DEP_2) | instskip(NEXT) | instid1(VALU_DEP_2)
	v_mul_lo_u32 v27, s3, v26
	v_mul_hi_u32 v54, s3, v16
	v_mul_lo_u32 v55, s40, v16
	s_delay_alu instid0(VALU_DEP_2) | instskip(SKIP_1) | instid1(VALU_DEP_2)
	v_add_nc_u32_e32 v27, v54, v27
	v_mul_lo_u32 v54, s3, v16
	v_add_nc_u32_e32 v27, v27, v55
	s_delay_alu instid0(VALU_DEP_2) | instskip(NEXT) | instid1(VALU_DEP_2)
	v_mul_hi_u32 v55, v16, v54
	v_mul_lo_u32 v56, v16, v27
	v_mul_hi_u32 v57, v16, v27
	v_mul_hi_u32 v58, v26, v54
	v_mul_lo_u32 v54, v26, v54
	v_mul_hi_u32 v59, v26, v27
	v_mul_lo_u32 v27, v26, v27
	v_add_co_u32 v55, vcc_lo, v55, v56
	v_add_co_ci_u32_e32 v56, vcc_lo, 0, v57, vcc_lo
	s_delay_alu instid0(VALU_DEP_2) | instskip(NEXT) | instid1(VALU_DEP_2)
	v_add_co_u32 v54, vcc_lo, v55, v54
	v_add_co_ci_u32_e32 v54, vcc_lo, v56, v58, vcc_lo
	v_add_co_ci_u32_e32 v55, vcc_lo, 0, v59, vcc_lo
	s_delay_alu instid0(VALU_DEP_2) | instskip(NEXT) | instid1(VALU_DEP_2)
	v_add_co_u32 v27, vcc_lo, v54, v27
	v_add_co_ci_u32_e32 v54, vcc_lo, 0, v55, vcc_lo
	s_delay_alu instid0(VALU_DEP_2) | instskip(NEXT) | instid1(VALU_DEP_2)
	v_add_co_u32 v16, vcc_lo, v16, v27
	v_add_co_ci_u32_e32 v26, vcc_lo, v26, v54, vcc_lo
	s_delay_alu instid0(VALU_DEP_2) | instskip(SKIP_1) | instid1(VALU_DEP_3)
	v_mul_hi_u32 v27, s3, v16
	v_mul_lo_u32 v55, s40, v16
	v_mul_lo_u32 v54, s3, v26
	s_delay_alu instid0(VALU_DEP_1) | instskip(SKIP_1) | instid1(VALU_DEP_2)
	v_add_nc_u32_e32 v27, v27, v54
	v_mul_lo_u32 v54, s3, v16
	v_add_nc_u32_e32 v27, v27, v55
	s_delay_alu instid0(VALU_DEP_2) | instskip(NEXT) | instid1(VALU_DEP_2)
	v_mul_hi_u32 v55, v16, v54
	v_mul_lo_u32 v56, v16, v27
	v_mul_hi_u32 v57, v16, v27
	v_mul_hi_u32 v58, v26, v54
	v_mul_lo_u32 v54, v26, v54
	v_mul_hi_u32 v59, v26, v27
	v_mul_lo_u32 v27, v26, v27
	v_add_co_u32 v55, vcc_lo, v55, v56
	v_add_co_ci_u32_e32 v56, vcc_lo, 0, v57, vcc_lo
	s_delay_alu instid0(VALU_DEP_2) | instskip(NEXT) | instid1(VALU_DEP_2)
	v_add_co_u32 v54, vcc_lo, v55, v54
	v_add_co_ci_u32_e32 v54, vcc_lo, v56, v58, vcc_lo
	v_add_co_ci_u32_e32 v55, vcc_lo, 0, v59, vcc_lo
	s_delay_alu instid0(VALU_DEP_2) | instskip(NEXT) | instid1(VALU_DEP_2)
	v_add_co_u32 v27, vcc_lo, v54, v27
	v_add_co_ci_u32_e32 v54, vcc_lo, 0, v55, vcc_lo
	s_delay_alu instid0(VALU_DEP_2) | instskip(NEXT) | instid1(VALU_DEP_2)
	v_add_co_u32 v16, vcc_lo, v16, v27
	v_add_co_ci_u32_e32 v58, vcc_lo, v26, v54, vcc_lo
	s_delay_alu instid0(VALU_DEP_2) | instskip(SKIP_1) | instid1(VALU_DEP_3)
	v_mul_hi_u32 v59, v24, v16
	v_mad_u64_u32 v[54:55], null, v25, v16, 0
	v_mad_u64_u32 v[26:27], null, v24, v58, 0
	;; [unrolled: 1-line block ×3, first 2 shown]
	s_delay_alu instid0(VALU_DEP_2) | instskip(NEXT) | instid1(VALU_DEP_3)
	v_add_co_u32 v16, vcc_lo, v59, v26
	v_add_co_ci_u32_e32 v26, vcc_lo, 0, v27, vcc_lo
	s_delay_alu instid0(VALU_DEP_2) | instskip(NEXT) | instid1(VALU_DEP_2)
	v_add_co_u32 v16, vcc_lo, v16, v54
	v_add_co_ci_u32_e32 v16, vcc_lo, v26, v55, vcc_lo
	v_add_co_ci_u32_e32 v26, vcc_lo, 0, v57, vcc_lo
	s_delay_alu instid0(VALU_DEP_2) | instskip(NEXT) | instid1(VALU_DEP_2)
	v_add_co_u32 v16, vcc_lo, v16, v56
	v_add_co_ci_u32_e32 v54, vcc_lo, 0, v26, vcc_lo
	s_delay_alu instid0(VALU_DEP_2) | instskip(SKIP_1) | instid1(VALU_DEP_3)
	v_mul_lo_u32 v55, s27, v16
	v_mad_u64_u32 v[26:27], null, s26, v16, 0
	v_mul_lo_u32 v56, s26, v54
	s_delay_alu instid0(VALU_DEP_2) | instskip(NEXT) | instid1(VALU_DEP_2)
	v_sub_co_u32 v26, vcc_lo, v24, v26
	v_add3_u32 v27, v27, v56, v55
	s_delay_alu instid0(VALU_DEP_1) | instskip(NEXT) | instid1(VALU_DEP_1)
	v_sub_nc_u32_e32 v55, v25, v27
	v_subrev_co_ci_u32_e64 v55, s3, s27, v55, vcc_lo
	v_add_co_u32 v56, s3, v16, 2
	s_delay_alu instid0(VALU_DEP_1) | instskip(SKIP_3) | instid1(VALU_DEP_3)
	v_add_co_ci_u32_e64 v57, s3, 0, v54, s3
	v_sub_co_u32 v58, s3, v26, s26
	v_sub_co_ci_u32_e32 v27, vcc_lo, v25, v27, vcc_lo
	v_subrev_co_ci_u32_e64 v55, s3, 0, v55, s3
	v_cmp_le_u32_e32 vcc_lo, s26, v58
	s_delay_alu instid0(VALU_DEP_3) | instskip(SKIP_1) | instid1(VALU_DEP_4)
	v_cmp_eq_u32_e64 s3, s27, v27
	v_cndmask_b32_e64 v58, 0, -1, vcc_lo
	v_cmp_le_u32_e32 vcc_lo, s27, v55
	v_cndmask_b32_e64 v59, 0, -1, vcc_lo
	v_cmp_le_u32_e32 vcc_lo, s26, v26
	;; [unrolled: 2-line block ×3, first 2 shown]
	v_cndmask_b32_e64 v60, 0, -1, vcc_lo
	v_cmp_eq_u32_e32 vcc_lo, s27, v55
	s_delay_alu instid0(VALU_DEP_2) | instskip(SKIP_3) | instid1(VALU_DEP_3)
	v_cndmask_b32_e64 v26, v60, v26, s3
	v_cndmask_b32_e32 v55, v59, v58, vcc_lo
	v_add_co_u32 v58, vcc_lo, v16, 1
	v_add_co_ci_u32_e32 v59, vcc_lo, 0, v54, vcc_lo
	v_cmp_ne_u32_e32 vcc_lo, 0, v55
	s_delay_alu instid0(VALU_DEP_3) | instskip(NEXT) | instid1(VALU_DEP_3)
	v_cndmask_b32_e32 v55, v58, v56, vcc_lo
	v_cndmask_b32_e32 v27, v59, v57, vcc_lo
	v_cmp_ne_u32_e32 vcc_lo, 0, v26
	s_delay_alu instid0(VALU_DEP_3) | instskip(NEXT) | instid1(VALU_DEP_3)
	v_cndmask_b32_e32 v26, v16, v55, vcc_lo
	v_cndmask_b32_e32 v27, v54, v27, vcc_lo
.LBB55_62:                              ;   in Loop: Header=BB55_60 Depth=2
	s_and_not1_saveexec_b32 s3, s39
	s_cbranch_execz .LBB55_64
; %bb.63:                               ;   in Loop: Header=BB55_60 Depth=2
	v_cvt_f32_u32_e32 v16, s26
	s_sub_i32 s39, 0, s26
	s_delay_alu instid0(VALU_DEP_1) | instskip(SKIP_2) | instid1(VALU_DEP_1)
	v_rcp_iflag_f32_e32 v16, v16
	s_waitcnt_depctr 0xfff
	v_mul_f32_e32 v16, 0x4f7ffffe, v16
	v_cvt_u32_f32_e32 v16, v16
	s_delay_alu instid0(VALU_DEP_1) | instskip(NEXT) | instid1(VALU_DEP_1)
	v_mul_lo_u32 v26, s39, v16
	v_mul_hi_u32 v26, v16, v26
	s_delay_alu instid0(VALU_DEP_1) | instskip(NEXT) | instid1(VALU_DEP_1)
	v_add_nc_u32_e32 v16, v16, v26
	v_mul_hi_u32 v16, v24, v16
	s_delay_alu instid0(VALU_DEP_1) | instskip(NEXT) | instid1(VALU_DEP_1)
	v_mul_lo_u32 v26, v16, s26
	v_sub_nc_u32_e32 v26, v24, v26
	s_delay_alu instid0(VALU_DEP_1) | instskip(SKIP_1) | instid1(VALU_DEP_2)
	v_subrev_nc_u32_e32 v54, s26, v26
	v_cmp_le_u32_e32 vcc_lo, s26, v26
	v_dual_cndmask_b32 v26, v26, v54 :: v_dual_add_nc_u32 v27, 1, v16
	s_delay_alu instid0(VALU_DEP_1) | instskip(NEXT) | instid1(VALU_DEP_2)
	v_cndmask_b32_e32 v16, v16, v27, vcc_lo
	v_cmp_le_u32_e32 vcc_lo, s26, v26
	s_delay_alu instid0(VALU_DEP_2) | instskip(NEXT) | instid1(VALU_DEP_1)
	v_add_nc_u32_e32 v27, 1, v16
	v_dual_cndmask_b32 v26, v16, v27 :: v_dual_mov_b32 v27, v15
.LBB55_64:                              ;   in Loop: Header=BB55_60 Depth=2
	s_or_b32 exec_lo, exec_lo, s3
	s_load_b64 s[40:41], s[24:25], 0xc8
	s_delay_alu instid0(VALU_DEP_1) | instskip(NEXT) | instid1(VALU_DEP_2)
	v_mul_lo_u32 v16, v27, s26
	v_mul_lo_u32 v56, v26, s27
	v_mad_u64_u32 v[54:55], null, v26, s26, 0
	s_add_i32 s38, s38, -1
	s_add_u32 s24, s24, -8
	s_addc_u32 s25, s25, -1
	s_cmp_gt_u32 s38, 2
	s_delay_alu instid0(VALU_DEP_1) | instskip(NEXT) | instid1(VALU_DEP_2)
	v_add3_u32 v16, v55, v56, v16
	v_sub_co_u32 v54, vcc_lo, v24, v54
	s_delay_alu instid0(VALU_DEP_2) | instskip(SKIP_1) | instid1(VALU_DEP_2)
	v_sub_co_ci_u32_e32 v16, vcc_lo, v25, v16, vcc_lo
	s_waitcnt lgkmcnt(0)
	v_mul_lo_u32 v55, s41, v54
	s_delay_alu instid0(VALU_DEP_2) | instskip(SKIP_1) | instid1(VALU_DEP_1)
	v_mul_lo_u32 v16, s40, v16
	v_mad_u64_u32 v[24:25], null, s40, v54, v[22:23]
	v_add3_u32 v23, v55, v25, v16
	s_delay_alu instid0(VALU_DEP_2)
	v_mov_b32_e32 v22, v24
	s_cbranch_scc0 .LBB55_66
; %bb.65:                               ;   in Loop: Header=BB55_60 Depth=2
	v_dual_mov_b32 v24, v26 :: v_dual_mov_b32 v25, v27
	s_branch .LBB55_60
.LBB55_66:                              ;   in Loop: Header=BB55_9 Depth=1
	v_cvt_f32_u32_e32 v0, v0
	s_waitcnt vmcnt(0)
	v_lshlrev_b32_e32 v16, 16, v53
	v_mad_u64_u32 v[24:25], null, s18, v26, v[22:23]
	v_mul_lo_u32 v22, s18, v27
	v_fmaak_f32 v0, 0x2f800000, v0, 0x2f800000
	s_delay_alu instid0(VALU_DEP_1) | instskip(SKIP_1) | instid1(VALU_DEP_1)
	v_cmp_gt_f32_e32 vcc_lo, s30, v0
	v_cndmask_b32_e64 v0, 0, 1.0, vcc_lo
	v_mul_f32_e32 v0, v0, v16
	v_mul_lo_u32 v16, s19, v26
	s_delay_alu instid0(VALU_DEP_2) | instskip(NEXT) | instid1(VALU_DEP_2)
	v_mul_f32_e32 v0, v49, v0
	v_add3_u32 v25, v16, v25, v22
	s_delay_alu instid0(VALU_DEP_2) | instskip(NEXT) | instid1(VALU_DEP_2)
	v_bfe_u32 v16, v0, 16, 1
	v_lshlrev_b64 v[22:23], 1, v[24:25]
	v_add_co_u32 v24, s3, s10, v24
	s_delay_alu instid0(VALU_DEP_3) | instskip(SKIP_1) | instid1(VALU_DEP_4)
	v_add3_u32 v16, v0, v16, 0x7fff
	v_add_co_ci_u32_e64 v25, s3, s11, v25, s3
	v_add_co_u32 v22, s3, s12, v22
	s_delay_alu instid0(VALU_DEP_1) | instskip(NEXT) | instid1(VALU_DEP_4)
	v_add_co_ci_u32_e64 v23, s3, s13, v23, s3
	v_lshrrev_b32_e32 v16, 16, v16
	v_cmp_o_f32_e64 s3, v0, v0
	s_delay_alu instid0(VALU_DEP_1)
	v_cndmask_b32_e64 v0, 0x7fc0, v16, s3
	v_cndmask_b32_e64 v16, 0, 1, vcc_lo
	global_store_b16 v[22:23], v0, off
	global_store_b8 v[24:25], v16, off
	s_or_b32 exec_lo, exec_lo, s4
	s_and_saveexec_b32 s3, s2
	s_cbranch_execz .LBB55_49
.LBB55_67:                              ;   in Loop: Header=BB55_9 Depth=1
	v_mov_b32_e32 v22, 0
	v_mov_b32_e32 v23, 0
	s_and_not1_b32 vcc_lo, exec_lo, s33
	s_mov_b64 s[24:25], s[22:23]
	s_mov_b32 s4, s37
	s_cbranch_vccz .LBB55_73
.LBB55_68:                              ;   in Loop: Header=BB55_9 Depth=1
	v_cvt_f32_u32_e32 v0, v1
	s_waitcnt vmcnt(0)
	v_lshlrev_b32_e32 v16, 16, v52
	v_mul_lo_u32 v21, s18, v21
	s_delay_alu instid0(VALU_DEP_3) | instskip(NEXT) | instid1(VALU_DEP_1)
	v_fmaak_f32 v0, 0x2f800000, v0, 0x2f800000
	v_cmp_gt_f32_e32 vcc_lo, s30, v0
	v_mad_u64_u32 v[0:1], null, s18, v20, v[22:23]
	v_mul_lo_u32 v20, s19, v20
	v_cndmask_b32_e64 v24, 0, 1.0, vcc_lo
	s_delay_alu instid0(VALU_DEP_1) | instskip(NEXT) | instid1(VALU_DEP_3)
	v_mul_f32_e32 v16, v24, v16
	v_add3_u32 v1, v20, v1, v21
	s_delay_alu instid0(VALU_DEP_2) | instskip(NEXT) | instid1(VALU_DEP_2)
	v_mul_f32_e32 v16, v49, v16
	v_lshlrev_b64 v[20:21], 1, v[0:1]
	v_add_co_u32 v0, s2, s10, v0
	s_delay_alu instid0(VALU_DEP_1) | instskip(NEXT) | instid1(VALU_DEP_4)
	v_add_co_ci_u32_e64 v1, s2, s11, v1, s2
	v_bfe_u32 v22, v16, 16, 1
	s_delay_alu instid0(VALU_DEP_4) | instskip(NEXT) | instid1(VALU_DEP_1)
	v_add_co_u32 v20, s2, s12, v20
	v_add_co_ci_u32_e64 v21, s2, s13, v21, s2
	s_delay_alu instid0(VALU_DEP_3) | instskip(SKIP_1) | instid1(VALU_DEP_2)
	v_add3_u32 v22, v16, v22, 0x7fff
	v_cmp_o_f32_e64 s2, v16, v16
	v_lshrrev_b32_e32 v22, 16, v22
	s_delay_alu instid0(VALU_DEP_1)
	v_cndmask_b32_e64 v16, 0x7fc0, v22, s2
	v_cndmask_b32_e64 v22, 0, 1, vcc_lo
	global_store_b16 v[20:21], v16, off
	global_store_b8 v[0:1], v22, off
	s_or_b32 exec_lo, exec_lo, s3
	s_and_saveexec_b32 s4, s1
	s_cbranch_execz .LBB55_50
.LBB55_69:                              ;   in Loop: Header=BB55_9 Depth=1
	v_mov_b32_e32 v0, 0
	v_mov_b32_e32 v1, 0
	s_and_not1_b32 vcc_lo, exec_lo, s33
	s_mov_b64 s[2:3], s[22:23]
	s_mov_b32 s26, s37
	s_cbranch_vccz .LBB55_78
.LBB55_70:                              ;   in Loop: Header=BB55_9 Depth=1
	v_cvt_f32_u32_e32 v2, v2
	s_waitcnt vmcnt(0)
	v_lshlrev_b32_e32 v16, 16, v51
	v_mad_u64_u32 v[20:21], null, s18, v9, v[0:1]
	v_mul_lo_u32 v0, s18, v10
	v_fmaak_f32 v2, 0x2f800000, v2, 0x2f800000
	s_delay_alu instid0(VALU_DEP_1) | instskip(SKIP_1) | instid1(VALU_DEP_1)
	v_cmp_gt_f32_e32 vcc_lo, s30, v2
	v_cndmask_b32_e64 v2, 0, 1.0, vcc_lo
	v_mul_f32_e32 v1, v2, v16
	v_mul_lo_u32 v2, s19, v9
	v_add_co_u32 v9, s1, s10, v20
	s_delay_alu instid0(VALU_DEP_3) | instskip(NEXT) | instid1(VALU_DEP_3)
	v_mul_f32_e32 v16, v49, v1
	v_add3_u32 v21, v2, v21, v0
	s_delay_alu instid0(VALU_DEP_2) | instskip(NEXT) | instid1(VALU_DEP_2)
	v_bfe_u32 v2, v16, 16, 1
	v_lshlrev_b64 v[0:1], 1, v[20:21]
	s_delay_alu instid0(VALU_DEP_2) | instskip(SKIP_1) | instid1(VALU_DEP_3)
	v_add3_u32 v2, v16, v2, 0x7fff
	v_add_co_ci_u32_e64 v10, s1, s11, v21, s1
	v_add_co_u32 v0, s1, s12, v0
	s_delay_alu instid0(VALU_DEP_1) | instskip(NEXT) | instid1(VALU_DEP_4)
	v_add_co_ci_u32_e64 v1, s1, s13, v1, s1
	v_lshrrev_b32_e32 v2, 16, v2
	v_cmp_o_f32_e64 s1, v16, v16
	v_cndmask_b32_e64 v16, 0, 1, vcc_lo
	s_delay_alu instid0(VALU_DEP_2)
	v_cndmask_b32_e64 v2, 0x7fc0, v2, s1
	global_store_b16 v[0:1], v2, off
	global_store_b8 v[9:10], v16, off
	s_or_b32 exec_lo, exec_lo, s4
	s_and_saveexec_b32 s1, s0
	s_cbranch_execz .LBB55_8
.LBB55_71:                              ;   in Loop: Header=BB55_9 Depth=1
	v_mov_b32_e32 v0, 0
	v_mov_b32_e32 v1, 0
	s_and_not1_b32 vcc_lo, exec_lo, s33
	s_mov_b64 s[2:3], s[22:23]
	s_mov_b32 s4, s37
	s_cbranch_vccz .LBB55_83
	s_branch .LBB55_7
.LBB55_72:                              ;   in Loop: Header=BB55_73 Depth=2
	s_or_b32 exec_lo, exec_lo, s2
	s_load_b64 s[38:39], s[24:25], 0xc8
	v_mul_lo_u32 v0, v25, s26
	v_mul_lo_u32 v16, v24, s27
	v_mad_u64_u32 v[26:27], null, v24, s26, 0
	s_add_i32 s4, s4, -1
	s_add_u32 s24, s24, -8
	s_addc_u32 s25, s25, -1
	s_cmp_gt_u32 s4, 2
	s_delay_alu instid0(VALU_DEP_1) | instskip(NEXT) | instid1(VALU_DEP_2)
	v_add3_u32 v0, v27, v16, v0
	v_sub_co_u32 v16, vcc_lo, v20, v26
	s_delay_alu instid0(VALU_DEP_2) | instskip(SKIP_1) | instid1(VALU_DEP_2)
	v_sub_co_ci_u32_e32 v0, vcc_lo, v21, v0, vcc_lo
	s_waitcnt lgkmcnt(0)
	v_mul_lo_u32 v26, s39, v16
	s_delay_alu instid0(VALU_DEP_2) | instskip(SKIP_1) | instid1(VALU_DEP_1)
	v_mul_lo_u32 v0, s38, v0
	v_mad_u64_u32 v[20:21], null, s38, v16, v[22:23]
	v_add3_u32 v23, v26, v21, v0
	s_delay_alu instid0(VALU_DEP_2)
	v_mov_b32_e32 v22, v20
	v_dual_mov_b32 v20, v24 :: v_dual_mov_b32 v21, v25
	s_cbranch_scc0 .LBB55_68
.LBB55_73:                              ;   Parent Loop BB55_9 Depth=1
                                        ; =>  This Inner Loop Header: Depth=2
	s_load_b64 s[26:27], s[24:25], 0x0
                                        ; implicit-def: $vgpr24_vgpr25
	s_mov_b32 s2, exec_lo
	s_waitcnt lgkmcnt(0)
	v_or_b32_e32 v16, s27, v21
	s_delay_alu instid0(VALU_DEP_1)
	v_cmpx_ne_u64_e32 0, v[15:16]
	s_xor_b32 s38, exec_lo, s2
	s_cbranch_execz .LBB55_75
; %bb.74:                               ;   in Loop: Header=BB55_73 Depth=2
	v_cvt_f32_u32_e32 v0, s26
	v_cvt_f32_u32_e32 v16, s27
	s_sub_u32 s2, 0, s26
	s_subb_u32 s39, 0, s27
	s_delay_alu instid0(VALU_DEP_1) | instskip(NEXT) | instid1(VALU_DEP_1)
	v_fmac_f32_e32 v0, 0x4f800000, v16
	v_rcp_f32_e32 v0, v0
	s_waitcnt_depctr 0xfff
	v_mul_f32_e32 v0, 0x5f7ffffc, v0
	s_delay_alu instid0(VALU_DEP_1) | instskip(NEXT) | instid1(VALU_DEP_1)
	v_mul_f32_e32 v16, 0x2f800000, v0
	v_trunc_f32_e32 v16, v16
	s_delay_alu instid0(VALU_DEP_1) | instskip(SKIP_1) | instid1(VALU_DEP_2)
	v_fmac_f32_e32 v0, 0xcf800000, v16
	v_cvt_u32_f32_e32 v16, v16
	v_cvt_u32_f32_e32 v0, v0
	s_delay_alu instid0(VALU_DEP_2) | instskip(NEXT) | instid1(VALU_DEP_2)
	v_mul_lo_u32 v24, s2, v16
	v_mul_hi_u32 v25, s2, v0
	v_mul_lo_u32 v26, s39, v0
	s_delay_alu instid0(VALU_DEP_2) | instskip(SKIP_1) | instid1(VALU_DEP_2)
	v_add_nc_u32_e32 v24, v25, v24
	v_mul_lo_u32 v25, s2, v0
	v_add_nc_u32_e32 v24, v24, v26
	s_delay_alu instid0(VALU_DEP_2) | instskip(NEXT) | instid1(VALU_DEP_2)
	v_mul_hi_u32 v26, v0, v25
	v_mul_lo_u32 v27, v0, v24
	v_mul_hi_u32 v54, v0, v24
	v_mul_hi_u32 v55, v16, v25
	v_mul_lo_u32 v25, v16, v25
	v_mul_hi_u32 v56, v16, v24
	v_mul_lo_u32 v24, v16, v24
	v_add_co_u32 v26, vcc_lo, v26, v27
	v_add_co_ci_u32_e32 v27, vcc_lo, 0, v54, vcc_lo
	s_delay_alu instid0(VALU_DEP_2) | instskip(NEXT) | instid1(VALU_DEP_2)
	v_add_co_u32 v25, vcc_lo, v26, v25
	v_add_co_ci_u32_e32 v25, vcc_lo, v27, v55, vcc_lo
	v_add_co_ci_u32_e32 v26, vcc_lo, 0, v56, vcc_lo
	s_delay_alu instid0(VALU_DEP_2) | instskip(NEXT) | instid1(VALU_DEP_2)
	v_add_co_u32 v24, vcc_lo, v25, v24
	v_add_co_ci_u32_e32 v25, vcc_lo, 0, v26, vcc_lo
	s_delay_alu instid0(VALU_DEP_2) | instskip(NEXT) | instid1(VALU_DEP_2)
	v_add_co_u32 v0, vcc_lo, v0, v24
	v_add_co_ci_u32_e32 v16, vcc_lo, v16, v25, vcc_lo
	s_delay_alu instid0(VALU_DEP_2) | instskip(SKIP_1) | instid1(VALU_DEP_3)
	v_mul_hi_u32 v24, s2, v0
	v_mul_lo_u32 v26, s39, v0
	v_mul_lo_u32 v25, s2, v16
	s_delay_alu instid0(VALU_DEP_1) | instskip(SKIP_1) | instid1(VALU_DEP_2)
	v_add_nc_u32_e32 v24, v24, v25
	v_mul_lo_u32 v25, s2, v0
	v_add_nc_u32_e32 v24, v24, v26
	s_delay_alu instid0(VALU_DEP_2) | instskip(NEXT) | instid1(VALU_DEP_2)
	v_mul_hi_u32 v26, v0, v25
	v_mul_lo_u32 v27, v0, v24
	v_mul_hi_u32 v54, v0, v24
	v_mul_hi_u32 v55, v16, v25
	v_mul_lo_u32 v25, v16, v25
	v_mul_hi_u32 v56, v16, v24
	v_mul_lo_u32 v24, v16, v24
	v_add_co_u32 v26, vcc_lo, v26, v27
	v_add_co_ci_u32_e32 v27, vcc_lo, 0, v54, vcc_lo
	s_delay_alu instid0(VALU_DEP_2) | instskip(NEXT) | instid1(VALU_DEP_2)
	v_add_co_u32 v25, vcc_lo, v26, v25
	v_add_co_ci_u32_e32 v25, vcc_lo, v27, v55, vcc_lo
	v_add_co_ci_u32_e32 v26, vcc_lo, 0, v56, vcc_lo
	s_delay_alu instid0(VALU_DEP_2) | instskip(NEXT) | instid1(VALU_DEP_2)
	v_add_co_u32 v24, vcc_lo, v25, v24
	v_add_co_ci_u32_e32 v25, vcc_lo, 0, v26, vcc_lo
	s_delay_alu instid0(VALU_DEP_2) | instskip(NEXT) | instid1(VALU_DEP_2)
	v_add_co_u32 v0, vcc_lo, v0, v24
	v_add_co_ci_u32_e32 v16, vcc_lo, v16, v25, vcc_lo
	s_delay_alu instid0(VALU_DEP_2) | instskip(SKIP_1) | instid1(VALU_DEP_3)
	v_mul_hi_u32 v56, v20, v0
	v_mad_u64_u32 v[26:27], null, v21, v0, 0
	v_mad_u64_u32 v[24:25], null, v20, v16, 0
	;; [unrolled: 1-line block ×3, first 2 shown]
	s_delay_alu instid0(VALU_DEP_2) | instskip(NEXT) | instid1(VALU_DEP_3)
	v_add_co_u32 v0, vcc_lo, v56, v24
	v_add_co_ci_u32_e32 v16, vcc_lo, 0, v25, vcc_lo
	s_delay_alu instid0(VALU_DEP_2) | instskip(NEXT) | instid1(VALU_DEP_2)
	v_add_co_u32 v0, vcc_lo, v0, v26
	v_add_co_ci_u32_e32 v0, vcc_lo, v16, v27, vcc_lo
	v_add_co_ci_u32_e32 v16, vcc_lo, 0, v55, vcc_lo
	s_delay_alu instid0(VALU_DEP_2) | instskip(NEXT) | instid1(VALU_DEP_2)
	v_add_co_u32 v0, vcc_lo, v0, v54
	v_add_co_ci_u32_e32 v16, vcc_lo, 0, v16, vcc_lo
	s_delay_alu instid0(VALU_DEP_2) | instskip(SKIP_1) | instid1(VALU_DEP_3)
	v_mul_lo_u32 v26, s27, v0
	v_mad_u64_u32 v[24:25], null, s26, v0, 0
	v_mul_lo_u32 v27, s26, v16
	s_delay_alu instid0(VALU_DEP_2) | instskip(NEXT) | instid1(VALU_DEP_2)
	v_sub_co_u32 v24, vcc_lo, v20, v24
	v_add3_u32 v25, v25, v27, v26
	s_delay_alu instid0(VALU_DEP_1) | instskip(NEXT) | instid1(VALU_DEP_1)
	v_sub_nc_u32_e32 v26, v21, v25
	v_subrev_co_ci_u32_e64 v26, s2, s27, v26, vcc_lo
	v_add_co_u32 v27, s2, v0, 2
	s_delay_alu instid0(VALU_DEP_1) | instskip(SKIP_3) | instid1(VALU_DEP_3)
	v_add_co_ci_u32_e64 v54, s2, 0, v16, s2
	v_sub_co_u32 v55, s2, v24, s26
	v_sub_co_ci_u32_e32 v25, vcc_lo, v21, v25, vcc_lo
	v_subrev_co_ci_u32_e64 v26, s2, 0, v26, s2
	v_cmp_le_u32_e32 vcc_lo, s26, v55
	s_delay_alu instid0(VALU_DEP_3) | instskip(SKIP_1) | instid1(VALU_DEP_4)
	v_cmp_eq_u32_e64 s2, s27, v25
	v_cndmask_b32_e64 v55, 0, -1, vcc_lo
	v_cmp_le_u32_e32 vcc_lo, s27, v26
	v_cndmask_b32_e64 v56, 0, -1, vcc_lo
	v_cmp_le_u32_e32 vcc_lo, s26, v24
	;; [unrolled: 2-line block ×3, first 2 shown]
	v_cndmask_b32_e64 v57, 0, -1, vcc_lo
	v_cmp_eq_u32_e32 vcc_lo, s27, v26
	s_delay_alu instid0(VALU_DEP_2) | instskip(SKIP_3) | instid1(VALU_DEP_3)
	v_cndmask_b32_e64 v24, v57, v24, s2
	v_cndmask_b32_e32 v26, v56, v55, vcc_lo
	v_add_co_u32 v55, vcc_lo, v0, 1
	v_add_co_ci_u32_e32 v56, vcc_lo, 0, v16, vcc_lo
	v_cmp_ne_u32_e32 vcc_lo, 0, v26
	s_delay_alu instid0(VALU_DEP_2) | instskip(SKIP_1) | instid1(VALU_DEP_2)
	v_dual_cndmask_b32 v25, v56, v54 :: v_dual_cndmask_b32 v26, v55, v27
	v_cmp_ne_u32_e32 vcc_lo, 0, v24
	v_cndmask_b32_e32 v25, v16, v25, vcc_lo
	s_delay_alu instid0(VALU_DEP_3)
	v_cndmask_b32_e32 v24, v0, v26, vcc_lo
.LBB55_75:                              ;   in Loop: Header=BB55_73 Depth=2
	s_and_not1_saveexec_b32 s2, s38
	s_cbranch_execz .LBB55_72
; %bb.76:                               ;   in Loop: Header=BB55_73 Depth=2
	v_cvt_f32_u32_e32 v0, s26
	s_sub_i32 s38, 0, s26
	s_delay_alu instid0(VALU_DEP_1) | instskip(SKIP_2) | instid1(VALU_DEP_1)
	v_rcp_iflag_f32_e32 v0, v0
	s_waitcnt_depctr 0xfff
	v_mul_f32_e32 v0, 0x4f7ffffe, v0
	v_cvt_u32_f32_e32 v0, v0
	s_delay_alu instid0(VALU_DEP_1) | instskip(NEXT) | instid1(VALU_DEP_1)
	v_mul_lo_u32 v16, s38, v0
	v_mul_hi_u32 v16, v0, v16
	s_delay_alu instid0(VALU_DEP_1) | instskip(NEXT) | instid1(VALU_DEP_1)
	v_add_nc_u32_e32 v0, v0, v16
	v_mul_hi_u32 v0, v20, v0
	s_delay_alu instid0(VALU_DEP_1) | instskip(SKIP_1) | instid1(VALU_DEP_2)
	v_mul_lo_u32 v16, v0, s26
	v_add_nc_u32_e32 v24, 1, v0
	v_sub_nc_u32_e32 v16, v20, v16
	s_delay_alu instid0(VALU_DEP_1) | instskip(SKIP_1) | instid1(VALU_DEP_2)
	v_subrev_nc_u32_e32 v25, s26, v16
	v_cmp_le_u32_e32 vcc_lo, s26, v16
	v_dual_cndmask_b32 v16, v16, v25 :: v_dual_mov_b32 v25, v15
	v_cndmask_b32_e32 v0, v0, v24, vcc_lo
	s_delay_alu instid0(VALU_DEP_2) | instskip(NEXT) | instid1(VALU_DEP_2)
	v_cmp_le_u32_e32 vcc_lo, s26, v16
	v_add_nc_u32_e32 v24, 1, v0
	s_delay_alu instid0(VALU_DEP_1)
	v_cndmask_b32_e32 v24, v0, v24, vcc_lo
	s_branch .LBB55_72
.LBB55_77:                              ;   in Loop: Header=BB55_78 Depth=2
	s_or_b32 exec_lo, exec_lo, s1
	s_load_b64 s[38:39], s[2:3], 0xc8
	s_delay_alu instid0(VALU_DEP_1)
	v_mul_lo_u32 v16, v21, s24
	v_mul_lo_u32 v24, v20, s25
	v_mad_u64_u32 v[22:23], null, v20, s24, 0
	s_add_i32 s26, s26, -1
	s_add_u32 s2, s2, -8
	s_addc_u32 s3, s3, -1
	s_cmp_gt_u32 s26, 2
	s_delay_alu instid0(VALU_DEP_1) | instskip(NEXT) | instid1(VALU_DEP_2)
	v_add3_u32 v16, v23, v24, v16
	v_sub_co_u32 v22, vcc_lo, v9, v22
	s_delay_alu instid0(VALU_DEP_2) | instskip(SKIP_1) | instid1(VALU_DEP_2)
	v_sub_co_ci_u32_e32 v9, vcc_lo, v10, v16, vcc_lo
	s_waitcnt lgkmcnt(0)
	v_mul_lo_u32 v23, s39, v22
	s_delay_alu instid0(VALU_DEP_2) | instskip(SKIP_1) | instid1(VALU_DEP_1)
	v_mul_lo_u32 v16, s38, v9
	v_mad_u64_u32 v[9:10], null, s38, v22, v[0:1]
	v_add3_u32 v1, v23, v10, v16
	s_delay_alu instid0(VALU_DEP_2)
	v_dual_mov_b32 v0, v9 :: v_dual_mov_b32 v9, v20
	v_mov_b32_e32 v10, v21
	s_cbranch_scc0 .LBB55_70
.LBB55_78:                              ;   Parent Loop BB55_9 Depth=1
                                        ; =>  This Inner Loop Header: Depth=2
	s_load_b64 s[24:25], s[2:3], 0x0
                                        ; implicit-def: $vgpr20_vgpr21
	s_mov_b32 s1, exec_lo
	s_waitcnt lgkmcnt(0)
	v_or_b32_e32 v16, s25, v10
	s_delay_alu instid0(VALU_DEP_1)
	v_cmpx_ne_u64_e32 0, v[15:16]
	s_xor_b32 s27, exec_lo, s1
	s_cbranch_execz .LBB55_80
; %bb.79:                               ;   in Loop: Header=BB55_78 Depth=2
	v_cvt_f32_u32_e32 v16, s24
	v_cvt_f32_u32_e32 v20, s25
	s_sub_u32 s1, 0, s24
	s_subb_u32 s38, 0, s25
	s_delay_alu instid0(VALU_DEP_1) | instskip(NEXT) | instid1(VALU_DEP_1)
	v_fmac_f32_e32 v16, 0x4f800000, v20
	v_rcp_f32_e32 v16, v16
	s_waitcnt_depctr 0xfff
	v_mul_f32_e32 v16, 0x5f7ffffc, v16
	s_delay_alu instid0(VALU_DEP_1) | instskip(NEXT) | instid1(VALU_DEP_1)
	v_mul_f32_e32 v20, 0x2f800000, v16
	v_trunc_f32_e32 v20, v20
	s_delay_alu instid0(VALU_DEP_1) | instskip(SKIP_1) | instid1(VALU_DEP_2)
	v_fmac_f32_e32 v16, 0xcf800000, v20
	v_cvt_u32_f32_e32 v20, v20
	v_cvt_u32_f32_e32 v16, v16
	s_delay_alu instid0(VALU_DEP_2) | instskip(NEXT) | instid1(VALU_DEP_2)
	v_mul_lo_u32 v21, s1, v20
	v_mul_hi_u32 v22, s1, v16
	v_mul_lo_u32 v23, s38, v16
	s_delay_alu instid0(VALU_DEP_2) | instskip(SKIP_1) | instid1(VALU_DEP_2)
	v_add_nc_u32_e32 v21, v22, v21
	v_mul_lo_u32 v22, s1, v16
	v_add_nc_u32_e32 v21, v21, v23
	s_delay_alu instid0(VALU_DEP_2) | instskip(NEXT) | instid1(VALU_DEP_2)
	v_mul_hi_u32 v23, v16, v22
	v_mul_lo_u32 v24, v16, v21
	v_mul_hi_u32 v25, v16, v21
	v_mul_hi_u32 v26, v20, v22
	v_mul_lo_u32 v22, v20, v22
	v_mul_hi_u32 v27, v20, v21
	v_mul_lo_u32 v21, v20, v21
	v_add_co_u32 v23, vcc_lo, v23, v24
	v_add_co_ci_u32_e32 v24, vcc_lo, 0, v25, vcc_lo
	s_delay_alu instid0(VALU_DEP_2) | instskip(NEXT) | instid1(VALU_DEP_2)
	v_add_co_u32 v22, vcc_lo, v23, v22
	v_add_co_ci_u32_e32 v22, vcc_lo, v24, v26, vcc_lo
	v_add_co_ci_u32_e32 v23, vcc_lo, 0, v27, vcc_lo
	s_delay_alu instid0(VALU_DEP_2) | instskip(NEXT) | instid1(VALU_DEP_2)
	v_add_co_u32 v21, vcc_lo, v22, v21
	v_add_co_ci_u32_e32 v22, vcc_lo, 0, v23, vcc_lo
	s_delay_alu instid0(VALU_DEP_2) | instskip(NEXT) | instid1(VALU_DEP_2)
	v_add_co_u32 v16, vcc_lo, v16, v21
	v_add_co_ci_u32_e32 v20, vcc_lo, v20, v22, vcc_lo
	s_delay_alu instid0(VALU_DEP_2) | instskip(SKIP_1) | instid1(VALU_DEP_3)
	v_mul_hi_u32 v21, s1, v16
	v_mul_lo_u32 v23, s38, v16
	v_mul_lo_u32 v22, s1, v20
	s_delay_alu instid0(VALU_DEP_1) | instskip(SKIP_1) | instid1(VALU_DEP_2)
	v_add_nc_u32_e32 v21, v21, v22
	v_mul_lo_u32 v22, s1, v16
	v_add_nc_u32_e32 v21, v21, v23
	s_delay_alu instid0(VALU_DEP_2) | instskip(NEXT) | instid1(VALU_DEP_2)
	v_mul_hi_u32 v23, v16, v22
	v_mul_lo_u32 v24, v16, v21
	v_mul_hi_u32 v25, v16, v21
	v_mul_hi_u32 v26, v20, v22
	v_mul_lo_u32 v22, v20, v22
	v_mul_hi_u32 v27, v20, v21
	v_mul_lo_u32 v21, v20, v21
	v_add_co_u32 v23, vcc_lo, v23, v24
	v_add_co_ci_u32_e32 v24, vcc_lo, 0, v25, vcc_lo
	s_delay_alu instid0(VALU_DEP_2) | instskip(NEXT) | instid1(VALU_DEP_2)
	v_add_co_u32 v22, vcc_lo, v23, v22
	v_add_co_ci_u32_e32 v22, vcc_lo, v24, v26, vcc_lo
	v_add_co_ci_u32_e32 v23, vcc_lo, 0, v27, vcc_lo
	s_delay_alu instid0(VALU_DEP_2) | instskip(NEXT) | instid1(VALU_DEP_2)
	v_add_co_u32 v21, vcc_lo, v22, v21
	v_add_co_ci_u32_e32 v22, vcc_lo, 0, v23, vcc_lo
	s_delay_alu instid0(VALU_DEP_2) | instskip(NEXT) | instid1(VALU_DEP_2)
	v_add_co_u32 v16, vcc_lo, v16, v21
	v_add_co_ci_u32_e32 v26, vcc_lo, v20, v22, vcc_lo
	s_delay_alu instid0(VALU_DEP_2) | instskip(SKIP_1) | instid1(VALU_DEP_3)
	v_mul_hi_u32 v27, v9, v16
	v_mad_u64_u32 v[22:23], null, v10, v16, 0
	v_mad_u64_u32 v[20:21], null, v9, v26, 0
	;; [unrolled: 1-line block ×3, first 2 shown]
	s_delay_alu instid0(VALU_DEP_2) | instskip(NEXT) | instid1(VALU_DEP_3)
	v_add_co_u32 v16, vcc_lo, v27, v20
	v_add_co_ci_u32_e32 v20, vcc_lo, 0, v21, vcc_lo
	s_delay_alu instid0(VALU_DEP_2) | instskip(NEXT) | instid1(VALU_DEP_2)
	v_add_co_u32 v16, vcc_lo, v16, v22
	v_add_co_ci_u32_e32 v16, vcc_lo, v20, v23, vcc_lo
	v_add_co_ci_u32_e32 v20, vcc_lo, 0, v25, vcc_lo
	s_delay_alu instid0(VALU_DEP_2) | instskip(NEXT) | instid1(VALU_DEP_2)
	v_add_co_u32 v16, vcc_lo, v16, v24
	v_add_co_ci_u32_e32 v22, vcc_lo, 0, v20, vcc_lo
	s_delay_alu instid0(VALU_DEP_2) | instskip(SKIP_1) | instid1(VALU_DEP_3)
	v_mul_lo_u32 v23, s25, v16
	v_mad_u64_u32 v[20:21], null, s24, v16, 0
	v_mul_lo_u32 v24, s24, v22
	s_delay_alu instid0(VALU_DEP_2) | instskip(NEXT) | instid1(VALU_DEP_2)
	v_sub_co_u32 v20, vcc_lo, v9, v20
	v_add3_u32 v21, v21, v24, v23
	s_delay_alu instid0(VALU_DEP_1) | instskip(NEXT) | instid1(VALU_DEP_1)
	v_sub_nc_u32_e32 v23, v10, v21
	v_subrev_co_ci_u32_e64 v23, s1, s25, v23, vcc_lo
	v_add_co_u32 v24, s1, v16, 2
	s_delay_alu instid0(VALU_DEP_1) | instskip(SKIP_3) | instid1(VALU_DEP_3)
	v_add_co_ci_u32_e64 v25, s1, 0, v22, s1
	v_sub_co_u32 v26, s1, v20, s24
	v_sub_co_ci_u32_e32 v21, vcc_lo, v10, v21, vcc_lo
	v_subrev_co_ci_u32_e64 v23, s1, 0, v23, s1
	v_cmp_le_u32_e32 vcc_lo, s24, v26
	s_delay_alu instid0(VALU_DEP_3) | instskip(SKIP_1) | instid1(VALU_DEP_4)
	v_cmp_eq_u32_e64 s1, s25, v21
	v_cndmask_b32_e64 v26, 0, -1, vcc_lo
	v_cmp_le_u32_e32 vcc_lo, s25, v23
	v_cndmask_b32_e64 v27, 0, -1, vcc_lo
	v_cmp_le_u32_e32 vcc_lo, s24, v20
	;; [unrolled: 2-line block ×3, first 2 shown]
	v_cndmask_b32_e64 v54, 0, -1, vcc_lo
	v_cmp_eq_u32_e32 vcc_lo, s25, v23
	s_delay_alu instid0(VALU_DEP_2) | instskip(SKIP_3) | instid1(VALU_DEP_3)
	v_cndmask_b32_e64 v20, v54, v20, s1
	v_cndmask_b32_e32 v23, v27, v26, vcc_lo
	v_add_co_u32 v26, vcc_lo, v16, 1
	v_add_co_ci_u32_e32 v27, vcc_lo, 0, v22, vcc_lo
	v_cmp_ne_u32_e32 vcc_lo, 0, v23
	s_delay_alu instid0(VALU_DEP_3) | instskip(NEXT) | instid1(VALU_DEP_3)
	v_cndmask_b32_e32 v23, v26, v24, vcc_lo
	v_cndmask_b32_e32 v21, v27, v25, vcc_lo
	v_cmp_ne_u32_e32 vcc_lo, 0, v20
	s_delay_alu instid0(VALU_DEP_2)
	v_dual_cndmask_b32 v20, v16, v23 :: v_dual_cndmask_b32 v21, v22, v21
.LBB55_80:                              ;   in Loop: Header=BB55_78 Depth=2
	s_and_not1_saveexec_b32 s1, s27
	s_cbranch_execz .LBB55_77
; %bb.81:                               ;   in Loop: Header=BB55_78 Depth=2
	v_cvt_f32_u32_e32 v16, s24
	s_sub_i32 s27, 0, s24
	s_delay_alu instid0(VALU_DEP_1) | instskip(SKIP_2) | instid1(VALU_DEP_1)
	v_rcp_iflag_f32_e32 v16, v16
	s_waitcnt_depctr 0xfff
	v_mul_f32_e32 v16, 0x4f7ffffe, v16
	v_cvt_u32_f32_e32 v16, v16
	s_delay_alu instid0(VALU_DEP_1) | instskip(NEXT) | instid1(VALU_DEP_1)
	v_mul_lo_u32 v20, s27, v16
	v_mul_hi_u32 v20, v16, v20
	s_delay_alu instid0(VALU_DEP_1) | instskip(NEXT) | instid1(VALU_DEP_1)
	v_add_nc_u32_e32 v16, v16, v20
	v_mul_hi_u32 v16, v9, v16
	s_delay_alu instid0(VALU_DEP_1) | instskip(NEXT) | instid1(VALU_DEP_1)
	v_mul_lo_u32 v20, v16, s24
	v_sub_nc_u32_e32 v20, v9, v20
	s_delay_alu instid0(VALU_DEP_1) | instskip(SKIP_1) | instid1(VALU_DEP_2)
	v_subrev_nc_u32_e32 v22, s24, v20
	v_cmp_le_u32_e32 vcc_lo, s24, v20
	v_dual_cndmask_b32 v20, v20, v22 :: v_dual_add_nc_u32 v21, 1, v16
	s_delay_alu instid0(VALU_DEP_1) | instskip(NEXT) | instid1(VALU_DEP_2)
	v_cndmask_b32_e32 v16, v16, v21, vcc_lo
	v_cmp_le_u32_e32 vcc_lo, s24, v20
	s_delay_alu instid0(VALU_DEP_2) | instskip(NEXT) | instid1(VALU_DEP_1)
	v_add_nc_u32_e32 v21, 1, v16
	v_dual_cndmask_b32 v20, v16, v21 :: v_dual_mov_b32 v21, v15
	s_branch .LBB55_77
.LBB55_82:                              ;   in Loop: Header=BB55_83 Depth=2
	s_or_b32 exec_lo, exec_lo, s0
	s_load_b64 s[26:27], s[2:3], 0xc8
	s_delay_alu instid0(VALU_DEP_1)
	v_mul_lo_u32 v2, v10, s24
	v_mul_lo_u32 v16, v9, s25
	v_mad_u64_u32 v[20:21], null, v9, s24, 0
	s_add_i32 s4, s4, -1
	s_add_u32 s2, s2, -8
	s_addc_u32 s3, s3, -1
	s_cmp_gt_u32 s4, 2
	s_delay_alu instid0(VALU_DEP_1) | instskip(NEXT) | instid1(VALU_DEP_2)
	v_add3_u32 v2, v21, v16, v2
	v_sub_co_u32 v16, vcc_lo, v7, v20
	s_delay_alu instid0(VALU_DEP_2) | instskip(SKIP_1) | instid1(VALU_DEP_2)
	v_sub_co_ci_u32_e32 v2, vcc_lo, v8, v2, vcc_lo
	s_waitcnt lgkmcnt(0)
	v_mul_lo_u32 v20, s27, v16
	s_delay_alu instid0(VALU_DEP_2) | instskip(SKIP_1) | instid1(VALU_DEP_1)
	v_mul_lo_u32 v2, s26, v2
	v_mad_u64_u32 v[7:8], null, s26, v16, v[0:1]
	v_add3_u32 v1, v20, v8, v2
	s_delay_alu instid0(VALU_DEP_2)
	v_dual_mov_b32 v0, v7 :: v_dual_mov_b32 v7, v9
	v_mov_b32_e32 v8, v10
	s_cbranch_scc0 .LBB55_7
.LBB55_83:                              ;   Parent Loop BB55_9 Depth=1
                                        ; =>  This Inner Loop Header: Depth=2
	s_load_b64 s[24:25], s[2:3], 0x0
                                        ; implicit-def: $vgpr9_vgpr10
	s_mov_b32 s0, exec_lo
	s_waitcnt lgkmcnt(0)
	v_or_b32_e32 v16, s25, v8
	s_delay_alu instid0(VALU_DEP_1)
	v_cmpx_ne_u64_e32 0, v[15:16]
	s_xor_b32 s26, exec_lo, s0
	s_cbranch_execz .LBB55_85
; %bb.84:                               ;   in Loop: Header=BB55_83 Depth=2
	v_cvt_f32_u32_e32 v2, s24
	v_cvt_f32_u32_e32 v9, s25
	s_sub_u32 s0, 0, s24
	s_subb_u32 s27, 0, s25
	s_delay_alu instid0(VALU_DEP_1) | instskip(NEXT) | instid1(VALU_DEP_1)
	v_fmac_f32_e32 v2, 0x4f800000, v9
	v_rcp_f32_e32 v2, v2
	s_waitcnt_depctr 0xfff
	v_mul_f32_e32 v2, 0x5f7ffffc, v2
	s_delay_alu instid0(VALU_DEP_1) | instskip(NEXT) | instid1(VALU_DEP_1)
	v_mul_f32_e32 v9, 0x2f800000, v2
	v_trunc_f32_e32 v9, v9
	s_delay_alu instid0(VALU_DEP_1) | instskip(SKIP_1) | instid1(VALU_DEP_2)
	v_fmac_f32_e32 v2, 0xcf800000, v9
	v_cvt_u32_f32_e32 v9, v9
	v_cvt_u32_f32_e32 v2, v2
	s_delay_alu instid0(VALU_DEP_2) | instskip(NEXT) | instid1(VALU_DEP_2)
	v_mul_lo_u32 v10, s0, v9
	v_mul_hi_u32 v16, s0, v2
	v_mul_lo_u32 v20, s27, v2
	s_delay_alu instid0(VALU_DEP_2) | instskip(SKIP_1) | instid1(VALU_DEP_2)
	v_add_nc_u32_e32 v10, v16, v10
	v_mul_lo_u32 v16, s0, v2
	v_add_nc_u32_e32 v10, v10, v20
	s_delay_alu instid0(VALU_DEP_2) | instskip(NEXT) | instid1(VALU_DEP_2)
	v_mul_hi_u32 v20, v2, v16
	v_mul_lo_u32 v21, v2, v10
	v_mul_hi_u32 v22, v2, v10
	v_mul_hi_u32 v23, v9, v16
	v_mul_lo_u32 v16, v9, v16
	v_mul_hi_u32 v24, v9, v10
	v_mul_lo_u32 v10, v9, v10
	v_add_co_u32 v20, vcc_lo, v20, v21
	v_add_co_ci_u32_e32 v21, vcc_lo, 0, v22, vcc_lo
	s_delay_alu instid0(VALU_DEP_2) | instskip(NEXT) | instid1(VALU_DEP_2)
	v_add_co_u32 v16, vcc_lo, v20, v16
	v_add_co_ci_u32_e32 v16, vcc_lo, v21, v23, vcc_lo
	v_add_co_ci_u32_e32 v20, vcc_lo, 0, v24, vcc_lo
	s_delay_alu instid0(VALU_DEP_2) | instskip(NEXT) | instid1(VALU_DEP_2)
	v_add_co_u32 v10, vcc_lo, v16, v10
	v_add_co_ci_u32_e32 v16, vcc_lo, 0, v20, vcc_lo
	s_delay_alu instid0(VALU_DEP_2) | instskip(NEXT) | instid1(VALU_DEP_2)
	v_add_co_u32 v2, vcc_lo, v2, v10
	v_add_co_ci_u32_e32 v9, vcc_lo, v9, v16, vcc_lo
	s_delay_alu instid0(VALU_DEP_2) | instskip(SKIP_1) | instid1(VALU_DEP_3)
	v_mul_hi_u32 v10, s0, v2
	v_mul_lo_u32 v20, s27, v2
	v_mul_lo_u32 v16, s0, v9
	s_delay_alu instid0(VALU_DEP_1) | instskip(SKIP_1) | instid1(VALU_DEP_2)
	v_add_nc_u32_e32 v10, v10, v16
	v_mul_lo_u32 v16, s0, v2
	v_add_nc_u32_e32 v10, v10, v20
	s_delay_alu instid0(VALU_DEP_2) | instskip(NEXT) | instid1(VALU_DEP_2)
	v_mul_hi_u32 v20, v2, v16
	v_mul_lo_u32 v21, v2, v10
	v_mul_hi_u32 v22, v2, v10
	v_mul_hi_u32 v23, v9, v16
	v_mul_lo_u32 v16, v9, v16
	v_mul_hi_u32 v24, v9, v10
	v_mul_lo_u32 v10, v9, v10
	v_add_co_u32 v20, vcc_lo, v20, v21
	v_add_co_ci_u32_e32 v21, vcc_lo, 0, v22, vcc_lo
	s_delay_alu instid0(VALU_DEP_2) | instskip(NEXT) | instid1(VALU_DEP_2)
	v_add_co_u32 v16, vcc_lo, v20, v16
	v_add_co_ci_u32_e32 v16, vcc_lo, v21, v23, vcc_lo
	v_add_co_ci_u32_e32 v20, vcc_lo, 0, v24, vcc_lo
	s_delay_alu instid0(VALU_DEP_2) | instskip(NEXT) | instid1(VALU_DEP_2)
	v_add_co_u32 v10, vcc_lo, v16, v10
	v_add_co_ci_u32_e32 v16, vcc_lo, 0, v20, vcc_lo
	s_delay_alu instid0(VALU_DEP_2) | instskip(NEXT) | instid1(VALU_DEP_2)
	v_add_co_u32 v2, vcc_lo, v2, v10
	v_add_co_ci_u32_e32 v16, vcc_lo, v9, v16, vcc_lo
	s_delay_alu instid0(VALU_DEP_2) | instskip(SKIP_1) | instid1(VALU_DEP_3)
	v_mul_hi_u32 v24, v7, v2
	v_mad_u64_u32 v[20:21], null, v8, v2, 0
	v_mad_u64_u32 v[9:10], null, v7, v16, 0
	;; [unrolled: 1-line block ×3, first 2 shown]
	s_delay_alu instid0(VALU_DEP_2) | instskip(NEXT) | instid1(VALU_DEP_3)
	v_add_co_u32 v2, vcc_lo, v24, v9
	v_add_co_ci_u32_e32 v9, vcc_lo, 0, v10, vcc_lo
	s_delay_alu instid0(VALU_DEP_2) | instskip(NEXT) | instid1(VALU_DEP_2)
	v_add_co_u32 v2, vcc_lo, v2, v20
	v_add_co_ci_u32_e32 v2, vcc_lo, v9, v21, vcc_lo
	v_add_co_ci_u32_e32 v9, vcc_lo, 0, v23, vcc_lo
	s_delay_alu instid0(VALU_DEP_2) | instskip(NEXT) | instid1(VALU_DEP_2)
	v_add_co_u32 v2, vcc_lo, v2, v22
	v_add_co_ci_u32_e32 v16, vcc_lo, 0, v9, vcc_lo
	s_delay_alu instid0(VALU_DEP_2) | instskip(SKIP_1) | instid1(VALU_DEP_3)
	v_mul_lo_u32 v20, s25, v2
	v_mad_u64_u32 v[9:10], null, s24, v2, 0
	v_mul_lo_u32 v21, s24, v16
	s_delay_alu instid0(VALU_DEP_2) | instskip(NEXT) | instid1(VALU_DEP_2)
	v_sub_co_u32 v9, vcc_lo, v7, v9
	v_add3_u32 v10, v10, v21, v20
	s_delay_alu instid0(VALU_DEP_1) | instskip(NEXT) | instid1(VALU_DEP_1)
	v_sub_nc_u32_e32 v20, v8, v10
	v_subrev_co_ci_u32_e64 v20, s0, s25, v20, vcc_lo
	v_add_co_u32 v21, s0, v2, 2
	s_delay_alu instid0(VALU_DEP_1) | instskip(SKIP_3) | instid1(VALU_DEP_3)
	v_add_co_ci_u32_e64 v22, s0, 0, v16, s0
	v_sub_co_u32 v23, s0, v9, s24
	v_sub_co_ci_u32_e32 v10, vcc_lo, v8, v10, vcc_lo
	v_subrev_co_ci_u32_e64 v20, s0, 0, v20, s0
	v_cmp_le_u32_e32 vcc_lo, s24, v23
	s_delay_alu instid0(VALU_DEP_3) | instskip(SKIP_1) | instid1(VALU_DEP_4)
	v_cmp_eq_u32_e64 s0, s25, v10
	v_cndmask_b32_e64 v23, 0, -1, vcc_lo
	v_cmp_le_u32_e32 vcc_lo, s25, v20
	v_cndmask_b32_e64 v24, 0, -1, vcc_lo
	v_cmp_le_u32_e32 vcc_lo, s24, v9
	v_cndmask_b32_e64 v9, 0, -1, vcc_lo
	v_cmp_le_u32_e32 vcc_lo, s25, v10
	v_cndmask_b32_e64 v25, 0, -1, vcc_lo
	v_cmp_eq_u32_e32 vcc_lo, s25, v20
	s_delay_alu instid0(VALU_DEP_2) | instskip(SKIP_3) | instid1(VALU_DEP_3)
	v_cndmask_b32_e64 v9, v25, v9, s0
	v_cndmask_b32_e32 v20, v24, v23, vcc_lo
	v_add_co_u32 v23, vcc_lo, v2, 1
	v_add_co_ci_u32_e32 v24, vcc_lo, 0, v16, vcc_lo
	v_cmp_ne_u32_e32 vcc_lo, 0, v20
	s_delay_alu instid0(VALU_DEP_2) | instskip(NEXT) | instid1(VALU_DEP_4)
	v_cndmask_b32_e32 v10, v24, v22, vcc_lo
	v_cndmask_b32_e32 v20, v23, v21, vcc_lo
	v_cmp_ne_u32_e32 vcc_lo, 0, v9
	s_delay_alu instid0(VALU_DEP_2)
	v_dual_cndmask_b32 v9, v2, v20 :: v_dual_cndmask_b32 v10, v16, v10
.LBB55_85:                              ;   in Loop: Header=BB55_83 Depth=2
	s_and_not1_saveexec_b32 s0, s26
	s_cbranch_execz .LBB55_82
; %bb.86:                               ;   in Loop: Header=BB55_83 Depth=2
	v_cvt_f32_u32_e32 v2, s24
	s_sub_i32 s26, 0, s24
	s_delay_alu instid0(VALU_DEP_1) | instskip(SKIP_2) | instid1(VALU_DEP_1)
	v_rcp_iflag_f32_e32 v2, v2
	s_waitcnt_depctr 0xfff
	v_mul_f32_e32 v2, 0x4f7ffffe, v2
	v_cvt_u32_f32_e32 v2, v2
	s_delay_alu instid0(VALU_DEP_1) | instskip(NEXT) | instid1(VALU_DEP_1)
	v_mul_lo_u32 v9, s26, v2
	v_mul_hi_u32 v9, v2, v9
	s_delay_alu instid0(VALU_DEP_1) | instskip(NEXT) | instid1(VALU_DEP_1)
	v_add_nc_u32_e32 v2, v2, v9
	v_mul_hi_u32 v2, v7, v2
	s_delay_alu instid0(VALU_DEP_1) | instskip(SKIP_1) | instid1(VALU_DEP_2)
	v_mul_lo_u32 v9, v2, s24
	v_add_nc_u32_e32 v10, 1, v2
	v_sub_nc_u32_e32 v9, v7, v9
	s_delay_alu instid0(VALU_DEP_1) | instskip(SKIP_1) | instid1(VALU_DEP_2)
	v_subrev_nc_u32_e32 v16, s24, v9
	v_cmp_le_u32_e32 vcc_lo, s24, v9
	v_dual_cndmask_b32 v9, v9, v16 :: v_dual_cndmask_b32 v2, v2, v10
	s_delay_alu instid0(VALU_DEP_1) | instskip(NEXT) | instid1(VALU_DEP_2)
	v_cmp_le_u32_e32 vcc_lo, s24, v9
	v_add_nc_u32_e32 v10, 1, v2
	s_delay_alu instid0(VALU_DEP_1)
	v_dual_cndmask_b32 v9, v2, v10 :: v_dual_mov_b32 v10, v15
	s_branch .LBB55_82
.LBB55_87:
	s_endpgm
.LBB55_88:
                                        ; implicit-def: $sgpr2_sgpr3
	s_branch .LBB55_4
	.section	.rodata,"a",@progbits
	.p2align	6, 0x0
	.amdhsa_kernel _ZN2at6native12_GLOBAL__N_120fused_dropout_kernelIN3c108BFloat16EfmLin1ELin1EbEEvNS_4cuda6detail10TensorInfoIKT_T1_EENS7_IS8_SA_EENS7_IT4_SA_EESA_T0_NS_15PhiloxCudaStateE
		.amdhsa_group_segment_fixed_size 0
		.amdhsa_private_segment_fixed_size 0
		.amdhsa_kernarg_size 1552
		.amdhsa_user_sgpr_count 15
		.amdhsa_user_sgpr_dispatch_ptr 0
		.amdhsa_user_sgpr_queue_ptr 0
		.amdhsa_user_sgpr_kernarg_segment_ptr 1
		.amdhsa_user_sgpr_dispatch_id 0
		.amdhsa_user_sgpr_private_segment_size 0
		.amdhsa_wavefront_size32 1
		.amdhsa_uses_dynamic_stack 0
		.amdhsa_enable_private_segment 0
		.amdhsa_system_sgpr_workgroup_id_x 1
		.amdhsa_system_sgpr_workgroup_id_y 0
		.amdhsa_system_sgpr_workgroup_id_z 0
		.amdhsa_system_sgpr_workgroup_info 0
		.amdhsa_system_vgpr_workitem_id 0
		.amdhsa_next_free_vgpr 61
		.amdhsa_next_free_sgpr 42
		.amdhsa_reserve_vcc 1
		.amdhsa_float_round_mode_32 0
		.amdhsa_float_round_mode_16_64 0
		.amdhsa_float_denorm_mode_32 3
		.amdhsa_float_denorm_mode_16_64 3
		.amdhsa_dx10_clamp 1
		.amdhsa_ieee_mode 1
		.amdhsa_fp16_overflow 0
		.amdhsa_workgroup_processor_mode 1
		.amdhsa_memory_ordered 1
		.amdhsa_forward_progress 0
		.amdhsa_shared_vgpr_count 0
		.amdhsa_exception_fp_ieee_invalid_op 0
		.amdhsa_exception_fp_denorm_src 0
		.amdhsa_exception_fp_ieee_div_zero 0
		.amdhsa_exception_fp_ieee_overflow 0
		.amdhsa_exception_fp_ieee_underflow 0
		.amdhsa_exception_fp_ieee_inexact 0
		.amdhsa_exception_int_div_zero 0
	.end_amdhsa_kernel
	.section	.text._ZN2at6native12_GLOBAL__N_120fused_dropout_kernelIN3c108BFloat16EfmLin1ELin1EbEEvNS_4cuda6detail10TensorInfoIKT_T1_EENS7_IS8_SA_EENS7_IT4_SA_EESA_T0_NS_15PhiloxCudaStateE,"axG",@progbits,_ZN2at6native12_GLOBAL__N_120fused_dropout_kernelIN3c108BFloat16EfmLin1ELin1EbEEvNS_4cuda6detail10TensorInfoIKT_T1_EENS7_IS8_SA_EENS7_IT4_SA_EESA_T0_NS_15PhiloxCudaStateE,comdat
.Lfunc_end55:
	.size	_ZN2at6native12_GLOBAL__N_120fused_dropout_kernelIN3c108BFloat16EfmLin1ELin1EbEEvNS_4cuda6detail10TensorInfoIKT_T1_EENS7_IS8_SA_EENS7_IT4_SA_EESA_T0_NS_15PhiloxCudaStateE, .Lfunc_end55-_ZN2at6native12_GLOBAL__N_120fused_dropout_kernelIN3c108BFloat16EfmLin1ELin1EbEEvNS_4cuda6detail10TensorInfoIKT_T1_EENS7_IS8_SA_EENS7_IT4_SA_EESA_T0_NS_15PhiloxCudaStateE
                                        ; -- End function
	.section	.AMDGPU.csdata,"",@progbits
; Kernel info:
; codeLenInByte = 12812
; NumSgprs: 44
; NumVgprs: 61
; ScratchSize: 0
; MemoryBound: 0
; FloatMode: 240
; IeeeMode: 1
; LDSByteSize: 0 bytes/workgroup (compile time only)
; SGPRBlocks: 5
; VGPRBlocks: 7
; NumSGPRsForWavesPerEU: 44
; NumVGPRsForWavesPerEU: 61
; Occupancy: 16
; WaveLimiterHint : 1
; COMPUTE_PGM_RSRC2:SCRATCH_EN: 0
; COMPUTE_PGM_RSRC2:USER_SGPR: 15
; COMPUTE_PGM_RSRC2:TRAP_HANDLER: 0
; COMPUTE_PGM_RSRC2:TGID_X_EN: 1
; COMPUTE_PGM_RSRC2:TGID_Y_EN: 0
; COMPUTE_PGM_RSRC2:TGID_Z_EN: 0
; COMPUTE_PGM_RSRC2:TIDIG_COMP_CNT: 0
	.section	.text._ZN2at6native12_GLOBAL__N_124fused_dropout_kernel_vecIddjLi1ELi16EhEEvNS_4cuda6detail10TensorInfoIKT_T1_EENS5_IS6_S8_EENS5_IT4_S8_EES8_T0_NS_15PhiloxCudaStateE,"axG",@progbits,_ZN2at6native12_GLOBAL__N_124fused_dropout_kernel_vecIddjLi1ELi16EhEEvNS_4cuda6detail10TensorInfoIKT_T1_EENS5_IS6_S8_EENS5_IT4_S8_EES8_T0_NS_15PhiloxCudaStateE,comdat
	.globl	_ZN2at6native12_GLOBAL__N_124fused_dropout_kernel_vecIddjLi1ELi16EhEEvNS_4cuda6detail10TensorInfoIKT_T1_EENS5_IS6_S8_EENS5_IT4_S8_EES8_T0_NS_15PhiloxCudaStateE ; -- Begin function _ZN2at6native12_GLOBAL__N_124fused_dropout_kernel_vecIddjLi1ELi16EhEEvNS_4cuda6detail10TensorInfoIKT_T1_EENS5_IS6_S8_EENS5_IT4_S8_EES8_T0_NS_15PhiloxCudaStateE
	.p2align	8
	.type	_ZN2at6native12_GLOBAL__N_124fused_dropout_kernel_vecIddjLi1ELi16EhEEvNS_4cuda6detail10TensorInfoIKT_T1_EENS5_IS6_S8_EENS5_IT4_S8_EES8_T0_NS_15PhiloxCudaStateE,@function
_ZN2at6native12_GLOBAL__N_124fused_dropout_kernel_vecIddjLi1ELi16EhEEvNS_4cuda6detail10TensorInfoIKT_T1_EENS5_IS6_S8_EENS5_IT4_S8_EES8_T0_NS_15PhiloxCudaStateE: ; @_ZN2at6native12_GLOBAL__N_124fused_dropout_kernel_vecIddjLi1ELi16EhEEvNS_4cuda6detail10TensorInfoIKT_T1_EENS5_IS6_S8_EENS5_IT4_S8_EES8_T0_NS_15PhiloxCudaStateE
; %bb.0:
	s_clause 0x2
	s_load_b64 s[2:3], s[0:1], 0x2a0
	s_load_b128 s[16:19], s[0:1], 0x290
	s_load_b32 s4, s[0:1], 0x2b0
	s_waitcnt lgkmcnt(0)
	v_dual_mov_b32 v4, s3 :: v_dual_mov_b32 v3, s2
	v_dual_mov_b32 v10, s18 :: v_dual_mov_b32 v11, s19
	s_bitcmp0_b32 s4, 0
	s_cbranch_scc1 .LBB56_2
; %bb.1:
	v_dual_mov_b32 v1, s2 :: v_dual_mov_b32 v2, s3
	v_dual_mov_b32 v3, s18 :: v_dual_mov_b32 v4, s19
	s_load_b64 s[2:3], s[0:1], 0x2a8
	flat_load_b64 v[1:2], v[1:2]
	flat_load_b64 v[10:11], v[3:4]
	s_waitcnt vmcnt(1) lgkmcnt(0)
	v_add_co_u32 v3, vcc_lo, v1, s2
	v_add_co_ci_u32_e32 v4, vcc_lo, s3, v2, vcc_lo
.LBB56_2:
	s_clause 0x1
	s_load_b32 s4, s[0:1], 0x2c4
	s_load_b32 s24, s[0:1], 0x288
	s_add_u32 s2, s0, 0x2b8
	s_addc_u32 s3, s1, 0
	s_mov_b32 s5, exec_lo
	s_waitcnt lgkmcnt(0)
	s_and_b32 s4, s4, 0xffff
	s_delay_alu instid0(SALU_CYCLE_1) | instskip(NEXT) | instid1(VALU_DEP_1)
	v_mad_u64_u32 v[8:9], null, s15, s4, v[0:1]
	v_lshlrev_b32_e32 v12, 4, v8
	s_delay_alu instid0(VALU_DEP_1)
	v_cmpx_gt_u32_e64 s24, v12
	s_cbranch_execz .LBB56_45
; %bb.3:
	v_div_scale_f64 v[0:1], null, s[16:17], s[16:17], 1.0
	v_div_scale_f64 v[15:16], vcc_lo, 1.0, s[16:17], 1.0
	v_alignbit_b32 v24, v4, v3, 2
	v_mad_u64_u32 v[17:18], null, 0xcd9e8d57, v8, 0
	v_lshrrev_b32_e32 v9, 2, v4
	s_waitcnt vmcnt(0)
	v_dual_mov_b32 v39, v11 :: v_dual_add_nc_u32 v42, 0x96a522ad, v11
	v_mad_u64_u32 v[19:20], null, 0xd2511f53, v24, 0
	v_add_co_u32 v26, null, 0x9e3779b9, v10
	v_xor3_b32 v2, v10, v18, v9
	s_delay_alu instid0(VALU_DEP_4) | instskip(SKIP_2) | instid1(VALU_DEP_4)
	v_add_co_u32 v25, null, 0xbb67ae85, v39
	v_add_co_u32 v27, null, 0x3c6ef372, v10
	v_xor_b32_e32 v4, v20, v11
	v_mad_u64_u32 v[20:21], null, 0xd2511f53, v2, 0
	v_add_co_u32 v28, null, 0x76cf5d0a, v39
	s_delay_alu instid0(VALU_DEP_3) | instskip(SKIP_1) | instid1(VALU_DEP_4)
	v_mad_u64_u32 v[22:23], null, 0xcd9e8d57, v4, 0
	v_add_co_u32 v29, null, 0x32370b8f, v39
	v_xor3_b32 v2, v25, v21, v19
	v_add_co_u32 v30, null, 0xdaa66d2b, v10
	v_add_co_u32 v33, null, 0x1715609d, v10
	v_xor3_b32 v4, v23, v26, v17
	s_delay_alu instid0(VALU_DEP_4) | instskip(SKIP_2) | instid1(VALU_DEP_3)
	v_mad_u64_u32 v[17:18], null, 0xcd9e8d57, v2, 0
	v_add_co_u32 v34, null, 0xa9066899, v39
	v_rcp_f64_e32 v[5:6], v[0:1]
	v_mad_u64_u32 v[31:32], null, 0xd2511f53, v4, 0
	v_add_co_u32 v35, null, 0x646e171e, v39
	s_delay_alu instid0(VALU_DEP_4)
	v_xor3_b32 v2, v27, v18, v22
	v_add_co_u32 v36, null, 0xb54cda56, v10
	v_add_co_u32 v37, null, 0x5384540f, v10
	v_xor3_b32 v4, v32, v28, v20
	v_add_co_u32 v32, null, 0xed9eba14, v39
	v_add_co_u32 v38, null, 0x1fd5c5a3, v39
	s_delay_alu instid0(VALU_DEP_3)
	v_mad_u64_u32 v[18:19], null, 0xcd9e8d57, v4, 0
	s_load_b32 s2, s[2:3], 0x0
	v_add_co_u32 v39, null, 0xdb3d7428, v39
	v_add_co_u32 v40, null, 0xf1bbcdc8, v10
	s_clause 0x2
	s_load_b64 s[18:19], s[0:1], 0x0
	s_load_b64 s[20:21], s[0:1], 0xd8
	;; [unrolled: 1-line block ×3, first 2 shown]
	v_xor3_b32 v4, v19, v30, v17
	v_add_nc_u32_e32 v41, 0x8ff34781, v10
	v_and_b32_e32 v43, 3, v3
	s_mov_b32 s15, 0
	s_delay_alu instid0(VALU_DEP_3) | instskip(SKIP_2) | instid1(SALU_CYCLE_1)
	v_mad_u64_u32 v[19:20], null, 0xd2511f53, v4, 0
	s_waitcnt lgkmcnt(0)
	s_mul_i32 s2, s2, s4
	s_lshl_b32 s25, s2, 4
	s_delay_alu instid0(TRANS32_DEP_1) | instskip(NEXT) | instid1(VALU_DEP_1)
	v_fma_f64 v[13:14], -v[0:1], v[5:6], 1.0
	v_fma_f64 v[5:6], v[5:6], v[13:14], v[5:6]
	s_delay_alu instid0(VALU_DEP_1) | instskip(NEXT) | instid1(VALU_DEP_1)
	v_fma_f64 v[13:14], -v[0:1], v[5:6], 1.0
	v_fma_f64 v[5:6], v[5:6], v[13:14], v[5:6]
	s_delay_alu instid0(VALU_DEP_1) | instskip(NEXT) | instid1(VALU_DEP_1)
	v_mul_f64 v[13:14], v[15:16], v[5:6]
	v_fma_f64 v[0:1], -v[0:1], v[13:14], v[15:16]
	v_mad_u64_u32 v[15:16], null, 0xd2511f53, v2, 0
	s_delay_alu instid0(VALU_DEP_1) | instskip(SKIP_1) | instid1(VALU_DEP_3)
	v_xor3_b32 v2, v29, v16, v31
	v_add_co_u32 v31, null, 0x78dde6e4, v10
	v_xor3_b32 v7, v20, v32, v15
	s_delay_alu instid0(VALU_DEP_3) | instskip(NEXT) | instid1(VALU_DEP_1)
	v_mad_u64_u32 v[16:17], null, 0xcd9e8d57, v2, 0
	v_xor3_b32 v2, v31, v17, v18
	v_div_fmas_f64 v[0:1], v[0:1], v[5:6], v[13:14]
	s_delay_alu instid0(VALU_DEP_4) | instskip(NEXT) | instid1(VALU_DEP_3)
	v_mad_u64_u32 v[4:5], null, 0xcd9e8d57, v7, 0
	v_mad_u64_u32 v[6:7], null, 0xd2511f53, v2, 0
	s_delay_alu instid0(VALU_DEP_2) | instskip(NEXT) | instid1(VALU_DEP_2)
	v_xor3_b32 v2, v5, v33, v16
	v_xor3_b32 v5, v34, v7, v19
	s_delay_alu instid0(VALU_DEP_2) | instskip(NEXT) | instid1(VALU_DEP_2)
	v_mad_u64_u32 v[13:14], null, 0xd2511f53, v2, 0
	v_mad_u64_u32 v[16:17], null, 0xcd9e8d57, v5, 0
	s_delay_alu instid0(VALU_DEP_2) | instskip(NEXT) | instid1(VALU_DEP_2)
	v_xor3_b32 v2, v14, v35, v6
	v_xor3_b32 v14, v36, v17, v4
	s_delay_alu instid0(VALU_DEP_2) | instskip(NEXT) | instid1(VALU_DEP_2)
	v_mad_u64_u32 v[4:5], null, 0xcd9e8d57, v2, 0
	v_mad_u64_u32 v[6:7], null, 0xd2511f53, v14, 0
	s_delay_alu instid0(VALU_DEP_1) | instskip(SKIP_1) | instid1(VALU_DEP_4)
	v_xor3_b32 v2, v38, v7, v13
	v_div_fixup_f64 v[14:15], v[0:1], s[16:17], 1.0
	v_xor3_b32 v0, v5, v37, v16
	v_mov_b32_e32 v13, 0
	s_delay_alu instid0(VALU_DEP_2) | instskip(SKIP_1) | instid1(VALU_DEP_3)
	v_mad_u64_u32 v[16:17], null, 0xd2511f53, v0, 0
	v_mad_u64_u32 v[0:1], null, 0xcd9e8d57, v2, 0
	v_mov_b32_e32 v23, v13
	s_delay_alu instid0(VALU_DEP_3) | instskip(NEXT) | instid1(VALU_DEP_3)
	v_xor3_b32 v5, v17, v39, v6
	v_xor3_b32 v6, v40, v1, v4
	s_delay_alu instid0(VALU_DEP_2) | instskip(NEXT) | instid1(VALU_DEP_2)
	v_mad_u64_u32 v[1:2], null, 0xcd9e8d57, v5, 0
	v_mad_u64_u32 v[4:5], null, 0xd2511f53, v6, 0
	s_delay_alu instid0(VALU_DEP_2) | instskip(NEXT) | instid1(VALU_DEP_2)
	v_xor3_b32 v0, v0, v2, v41
	v_xor3_b32 v2, v5, v16, v42
	s_delay_alu instid0(VALU_DEP_3)
	v_mov_b32_e32 v3, v4
	s_branch .LBB56_6
.LBB56_4:                               ;   in Loop: Header=BB56_6 Depth=1
	s_or_b32 exec_lo, exec_lo, s1
	s_delay_alu instid0(VALU_DEP_1)
	v_mov_b32_e32 v22, v21
.LBB56_5:                               ;   in Loop: Header=BB56_6 Depth=1
	s_or_b32 exec_lo, exec_lo, s0
	v_lshlrev_b64 v[20:21], 3, v[12:13]
	v_cvt_f32_u32_e32 v4, v4
	v_cvt_f32_u32_e32 v90, v3
	;; [unrolled: 1-line block ×4, first 2 shown]
	s_delay_alu instid0(VALU_DEP_4)
	v_dual_mov_b32 v3, v13 :: v_dual_fmaak_f32 v4, 0x2f800000, v4, 0x2f800000
	v_add_co_u32 v80, vcc_lo, s18, v20
	v_add_co_ci_u32_e32 v81, vcc_lo, s19, v21, vcc_lo
	v_cvt_f32_u32_e32 v92, v19
	v_cvt_f32_u32_e32 v94, v48
	s_clause 0x7
	global_load_b128 v[52:55], v[80:81], off
	global_load_b128 v[56:59], v[80:81], off offset:16
	global_load_b128 v[60:63], v[80:81], off offset:32
	;; [unrolled: 1-line block ×7, first 2 shown]
	v_cvt_f32_u32_e32 v96, v47
	v_cvt_f32_u32_e32 v84, v18
	;; [unrolled: 1-line block ×4, first 2 shown]
	v_mov_b32_e32 v17, v13
	v_fmaak_f32 v85, 0x2f800000, v6, 0x2f800000
	v_cvt_f64_f32_e32 v[47:48], v4
	v_dual_fmaak_f32 v4, 0x2f800000, v49, 0x2f800000 :: v_dual_fmaak_f32 v89, 0x2f800000, v84, 0x2f800000
	v_cvt_f32_u32_e32 v45, v45
	v_cvt_f32_u32_e32 v18, v5
	v_cvt_f32_u32_e32 v98, v46
	s_delay_alu instid0(VALU_DEP_4)
	v_cvt_f64_f32_e32 v[86:87], v4
	v_fmaak_f32 v4, 0x2f800000, v88, 0x2f800000
	v_cvt_f64_f32_e32 v[84:85], v85
	v_dual_fmaak_f32 v45, 0x2f800000, v45, 0x2f800000 :: v_dual_fmaak_f32 v100, 0x2f800000, v96, 0x2f800000
	v_cvt_f32_u32_e32 v22, v22
	v_cvt_f32_u32_e32 v7, v51
	;; [unrolled: 1-line block ×3, first 2 shown]
	v_dual_mov_b32 v5, v13 :: v_dual_fmaak_f32 v50, 0x2f800000, v18, 0x2f800000
	v_fmaak_f32 v95, 0x2f800000, v90, 0x2f800000
	v_cvt_f64_f32_e32 v[90:91], v45
	v_fmaak_f32 v45, 0x2f800000, v92, 0x2f800000
	v_cvt_f64_f32_e32 v[92:93], v4
	;; [unrolled: 2-line block ×3, first 2 shown]
	v_dual_mov_b32 v44, v13 :: v_dual_fmaak_f32 v7, 0x2f800000, v7, 0x2f800000
	v_cvt_f64_f32_e32 v[96:97], v45
	v_dual_fmaak_f32 v45, 0x2f800000, v98, 0x2f800000 :: v_dual_mov_b32 v104, v13
	v_cvt_f64_f32_e32 v[98:99], v4
	v_fmaak_f32 v4, 0x2f800000, v22, 0x2f800000
	v_fmaak_f32 v22, 0x2f800000, v51, 0x2f800000
	v_dual_mov_b32 v46, v13 :: v_dual_fmaak_f32 v19, 0x2f800000, v19, 0x2f800000
	v_cvt_f64_f32_e32 v[88:89], v89
	v_cvt_f64_f32_e32 v[6:7], v7
	s_delay_alu instid0(VALU_DEP_4)
	v_cvt_f64_f32_e32 v[112:113], v22
	v_cvt_f64_f32_e32 v[94:95], v95
	;; [unrolled: 1-line block ×6, first 2 shown]
	v_cmp_gt_f64_e64 s1, s[16:17], v[47:48]
	v_mov_b32_e32 v116, v13
	v_mov_b32_e32 v126, v13
	;; [unrolled: 1-line block ×3, first 2 shown]
	v_cmp_gt_f64_e64 s4, s[16:17], v[86:87]
	v_mov_b32_e32 v110, v13
	v_cmp_gt_f64_e64 s3, s[16:17], v[84:85]
	v_mov_b32_e32 v118, v13
	v_mov_b32_e32 v120, v13
	;; [unrolled: 1-line block ×4, first 2 shown]
	v_cmp_gt_f64_e64 s6, s[16:17], v[90:91]
	v_cmp_gt_f64_e64 s7, s[16:17], v[92:93]
	;; [unrolled: 1-line block ×6, first 2 shown]
	v_cmp_gt_f64_e32 vcc_lo, s[16:17], v[6:7]
	v_cmp_gt_f64_e64 s14, s[16:17], v[112:113]
	v_cmp_gt_f64_e64 s8, s[16:17], v[94:95]
	;; [unrolled: 1-line block ×6, first 2 shown]
	v_cndmask_b32_e64 v7, 0, 1, s1
	v_cndmask_b32_e64 v4, 0, 0x3ff00000, s1
	;; [unrolled: 1-line block ×10, first 2 shown]
	s_delay_alu instid0(VALU_DEP_3) | instskip(SKIP_1) | instid1(VALU_DEP_2)
	v_lshlrev_b16 v19, 8, v19
	v_cndmask_b32_e64 v117, 0, 0x3ff00000, s10
	v_or_b32_e32 v7, v7, v19
	v_cndmask_b32_e64 v47, 0, 0x3ff00000, s5
	v_mov_b32_e32 v114, v13
	v_cndmask_b32_e64 v127, 0, 0x3ff00000, s14
	v_cndmask_b32_e64 v125, 0, 0x3ff00000, vcc_lo
	v_and_b32_e32 v7, 0xffff, v7
	v_cndmask_b32_e64 v111, 0, 0x3ff00000, s8
	v_cndmask_b32_e64 v119, 0, 0x3ff00000, s11
	;; [unrolled: 1-line block ×6, first 2 shown]
	s_waitcnt vmcnt(7)
	v_mul_f64 v[3:4], v[52:53], v[3:4]
	s_waitcnt vmcnt(6)
	v_mul_f64 v[17:18], v[56:57], v[17:18]
	v_mul_f64 v[48:49], v[58:59], v[44:45]
	s_waitcnt vmcnt(5)
	v_mul_f64 v[50:51], v[60:61], v[46:47]
	s_waitcnt vmcnt(3)
	v_mul_f64 v[60:61], v[70:71], v[116:117]
	v_cndmask_b32_e64 v44, 0, 1, vcc_lo
	v_cndmask_b32_e64 v45, 0, 1, s0
	s_waitcnt vmcnt(0)
	v_mul_f64 v[70:71], v[80:81], v[126:127]
	v_cndmask_b32_e64 v80, 0, 1, s10
	v_mul_f64 v[58:59], v[68:69], v[114:115]
	v_mul_f64 v[68:69], v[78:79], v[124:125]
	v_cndmask_b32_e64 v79, 0, 1, s9
	v_lshlrev_b16 v85, 8, v44
	v_lshlrev_b16 v86, 8, v45
	v_mul_f64 v[5:6], v[54:55], v[5:6]
	v_mul_f64 v[52:53], v[62:63], v[104:105]
	;; [unrolled: 1-line block ×6, first 2 shown]
	v_cndmask_b32_e64 v76, 0, 1, s6
	v_cndmask_b32_e64 v78, 0, 1, s8
	;; [unrolled: 1-line block ×6, first 2 shown]
	v_mul_f64 v[3:4], v[14:15], v[3:4]
	v_mul_f64 v[44:45], v[14:15], v[17:18]
	v_lshlrev_b16 v17, 8, v80
	v_mul_f64 v[46:47], v[14:15], v[48:49]
	v_mul_f64 v[48:49], v[14:15], v[50:51]
	v_lshlrev_b16 v18, 8, v82
	s_delay_alu instid0(VALU_DEP_4) | instskip(SKIP_1) | instid1(VALU_DEP_3)
	v_or_b32_e32 v17, v79, v17
	v_mov_b32_e32 v108, v13
	v_or_b32_e32 v18, v81, v18
	s_delay_alu instid0(VALU_DEP_3) | instskip(NEXT) | instid1(VALU_DEP_3)
	v_and_b32_e32 v17, 0xffff, v17
	v_mul_f64 v[54:55], v[64:65], v[108:109]
	v_mul_f64 v[64:65], v[74:75], v[120:121]
	;; [unrolled: 1-line block ×4, first 2 shown]
	v_cndmask_b32_e64 v74, 0, 1, s4
	v_cndmask_b32_e64 v75, 0, 1, s5
	v_lshlrev_b32_e32 v18, 16, v18
	s_delay_alu instid0(VALU_DEP_3) | instskip(NEXT) | instid1(VALU_DEP_1)
	v_lshlrev_b16 v74, 8, v74
	v_or_b32_e32 v19, v22, v74
	v_mul_f64 v[52:53], v[14:15], v[54:55]
	v_mul_f64 v[54:55], v[14:15], v[56:57]
	;; [unrolled: 1-line block ×10, first 2 shown]
	v_lshlrev_b16 v72, 8, v76
	v_lshlrev_b16 v73, 8, v78
	v_or_b32_e32 v76, v83, v85
	v_or_b32_e32 v78, v84, v86
	s_delay_alu instid0(VALU_DEP_4) | instskip(NEXT) | instid1(VALU_DEP_4)
	v_or_b32_e32 v72, v75, v72
	v_or_b32_e32 v73, v77, v73
	s_delay_alu instid0(VALU_DEP_4) | instskip(NEXT) | instid1(VALU_DEP_4)
	v_and_b32_e32 v22, 0xffff, v76
	v_lshlrev_b32_e32 v74, 16, v78
	v_lshlrev_b32_e32 v77, 16, v19
	v_and_b32_e32 v75, 0xffff, v72
	v_add_co_u32 v72, vcc_lo, s20, v20
	v_lshlrev_b32_e32 v76, 16, v73
	v_add_co_ci_u32_e32 v73, vcc_lo, s21, v21, vcc_lo
	v_or_b32_e32 v20, v22, v74
	v_or_b32_e32 v19, v17, v18
	s_delay_alu instid0(VALU_DEP_4)
	v_or_b32_e32 v18, v75, v76
	v_or_b32_e32 v17, v7, v77
	s_clause 0x7
	global_store_b128 v[72:73], v[3:6], off
	global_store_b128 v[72:73], v[44:47], off offset:16
	global_store_b128 v[72:73], v[48:51], off offset:32
	;; [unrolled: 1-line block ×7, first 2 shown]
	global_store_b128 v12, v[17:20], s[22:23]
	v_dual_mov_b32 v3, v16 :: v_dual_add_nc_u32 v12, s25, v12
	s_waitcnt_vscnt null, 0x0
	s_barrier
	buffer_gl0_inv
	v_cmp_le_u32_e32 vcc_lo, s24, v12
	s_or_b32 s15, vcc_lo, s15
	s_delay_alu instid0(SALU_CYCLE_1)
	s_and_not1_b32 exec_lo, exec_lo, s15
	s_cbranch_execz .LBB56_45
.LBB56_6:                               ; =>This Inner Loop Header: Depth=1
	v_add_co_u32 v6, vcc_lo, v24, 1
	s_delay_alu instid0(VALU_DEP_1) | instskip(SKIP_2) | instid1(VALU_DEP_1)
	v_cndmask_b32_e64 v4, 0, 1, vcc_lo
	v_add_co_ci_u32_e32 v17, vcc_lo, 0, v9, vcc_lo
	s_mov_b32 s0, exec_lo
	v_cmp_eq_u32_e32 vcc_lo, 0, v17
	s_delay_alu instid0(VALU_DEP_3) | instskip(SKIP_1) | instid1(VALU_DEP_2)
	v_cndmask_b32_e32 v7, 0, v4, vcc_lo
	v_mad_u64_u32 v[4:5], null, 0xd2511f53, v6, 0
	v_add_nc_u32_e32 v21, v7, v8
	s_delay_alu instid0(VALU_DEP_2) | instskip(NEXT) | instid1(VALU_DEP_2)
	v_xor_b32_e32 v8, v5, v11
	v_cmp_eq_u32_e32 vcc_lo, 0, v21
	v_mad_u64_u32 v[5:6], null, 0xcd9e8d57, v21, 0
	v_cndmask_b32_e32 v7, 0, v7, vcc_lo
	s_delay_alu instid0(VALU_DEP_2) | instskip(NEXT) | instid1(VALU_DEP_2)
	v_xor3_b32 v16, v6, v10, v17
	v_add_nc_u32_e32 v20, v7, v23
	s_delay_alu instid0(VALU_DEP_1) | instskip(NEXT) | instid1(VALU_DEP_1)
	v_xor_b32_e32 v8, v20, v8
	v_mad_u64_u32 v[6:7], null, 0xcd9e8d57, v8, 0
	s_delay_alu instid0(VALU_DEP_4) | instskip(NEXT) | instid1(VALU_DEP_2)
	v_mad_u64_u32 v[8:9], null, 0xd2511f53, v16, 0
	v_xor3_b32 v7, v26, v7, v5
	s_delay_alu instid0(VALU_DEP_2) | instskip(NEXT) | instid1(VALU_DEP_2)
	v_xor3_b32 v9, v25, v9, v4
	v_mad_u64_u32 v[4:5], null, 0xd2511f53, v7, 0
	s_delay_alu instid0(VALU_DEP_2) | instskip(NEXT) | instid1(VALU_DEP_2)
	v_mad_u64_u32 v[18:19], null, 0xcd9e8d57, v9, 0
	v_xor3_b32 v7, v28, v5, v8
	s_delay_alu instid0(VALU_DEP_2) | instskip(NEXT) | instid1(VALU_DEP_2)
	v_xor3_b32 v9, v27, v19, v6
	v_mad_u64_u32 v[5:6], null, 0xcd9e8d57, v7, 0
	s_delay_alu instid0(VALU_DEP_2) | instskip(NEXT) | instid1(VALU_DEP_2)
	;; [unrolled: 6-line block ×8, first 2 shown]
	v_mad_u64_u32 v[18:19], null, 0xd2511f53, v4, 0
	v_xor3_b32 v16, v9, v22, v41
	s_delay_alu instid0(VALU_DEP_2)
	v_xor3_b32 v9, v19, v5, v42
                                        ; implicit-def: $vgpr4_vgpr5_vgpr6_vgpr7
	v_cmpx_lt_i32_e32 1, v43
	s_xor_b32 s0, exec_lo, s0
	s_cbranch_execz .LBB56_12
; %bb.7:                                ;   in Loop: Header=BB56_6 Depth=1
	s_mov_b32 s1, exec_lo
                                        ; implicit-def: $vgpr4_vgpr5_vgpr6_vgpr7
	v_cmpx_lt_i32_e32 2, v43
	s_xor_b32 s1, exec_lo, s1
; %bb.8:                                ;   in Loop: Header=BB56_6 Depth=1
	v_dual_mov_b32 v6, v3 :: v_dual_mov_b32 v7, v16
                                        ; implicit-def: $vgpr0_vgpr1_vgpr2_vgpr3
	s_delay_alu instid0(VALU_DEP_1) | instskip(NEXT) | instid1(VALU_DEP_2)
	v_mov_b32_e32 v4, v6
	v_dual_mov_b32 v5, v7 :: v_dual_mov_b32 v6, v8
	v_mov_b32_e32 v7, v9
; %bb.9:                                ;   in Loop: Header=BB56_6 Depth=1
	s_and_not1_saveexec_b32 s1, s1
; %bb.10:                               ;   in Loop: Header=BB56_6 Depth=1
	v_dual_mov_b32 v4, v2 :: v_dual_mov_b32 v5, v3
	v_mov_b32_e32 v6, v16
	v_mov_b32_e32 v7, v8
; %bb.11:                               ;   in Loop: Header=BB56_6 Depth=1
	s_or_b32 exec_lo, exec_lo, s1
                                        ; implicit-def: $vgpr0_vgpr1_vgpr2_vgpr3
.LBB56_12:                              ;   in Loop: Header=BB56_6 Depth=1
	s_and_not1_saveexec_b32 s0, s0
	s_cbranch_execz .LBB56_16
; %bb.13:                               ;   in Loop: Header=BB56_6 Depth=1
	s_mov_b32 s1, exec_lo
	v_cmpx_eq_u32_e32 1, v43
; %bb.14:                               ;   in Loop: Header=BB56_6 Depth=1
	v_dual_mov_b32 v0, v1 :: v_dual_mov_b32 v1, v2
	v_dual_mov_b32 v2, v3 :: v_dual_mov_b32 v3, v16
; %bb.15:                               ;   in Loop: Header=BB56_6 Depth=1
	s_or_b32 exec_lo, exec_lo, s1
	s_delay_alu instid0(VALU_DEP_1) | instskip(NEXT) | instid1(VALU_DEP_3)
	v_dual_mov_b32 v7, v3 :: v_dual_mov_b32 v6, v2
	v_dual_mov_b32 v5, v1 :: v_dual_mov_b32 v4, v0
.LBB56_16:                              ;   in Loop: Header=BB56_6 Depth=1
	s_or_b32 exec_lo, exec_lo, s0
	v_add_nc_u32_e32 v2, 2, v24
	s_mov_b32 s0, exec_lo
	s_delay_alu instid0(VALU_DEP_1) | instskip(SKIP_2) | instid1(VALU_DEP_1)
	v_cmp_eq_u32_e32 vcc_lo, 0, v2
	v_cndmask_b32_e64 v0, 0, 1, vcc_lo
	v_add_co_ci_u32_e32 v17, vcc_lo, 0, v17, vcc_lo
	v_cmp_eq_u32_e32 vcc_lo, 0, v17
	s_delay_alu instid0(VALU_DEP_3) | instskip(NEXT) | instid1(VALU_DEP_1)
	v_cndmask_b32_e32 v3, 0, v0, vcc_lo
	v_add_nc_u32_e32 v21, v3, v21
	s_delay_alu instid0(VALU_DEP_1) | instskip(SKIP_3) | instid1(VALU_DEP_3)
	v_cmp_eq_u32_e32 vcc_lo, 0, v21
	v_cndmask_b32_e32 v19, 0, v3, vcc_lo
	v_mad_u64_u32 v[0:1], null, 0xd2511f53, v2, 0
	v_mad_u64_u32 v[2:3], null, 0xcd9e8d57, v21, 0
	v_add_nc_u32_e32 v22, v19, v20
	s_delay_alu instid0(VALU_DEP_3) | instskip(NEXT) | instid1(VALU_DEP_3)
	v_xor_b32_e32 v1, v1, v11
	v_xor3_b32 v3, v3, v10, v17
	s_delay_alu instid0(VALU_DEP_2) | instskip(NEXT) | instid1(VALU_DEP_2)
	v_xor_b32_e32 v1, v22, v1
	v_mad_u64_u32 v[19:20], null, 0xd2511f53, v3, 0
	s_delay_alu instid0(VALU_DEP_2) | instskip(NEXT) | instid1(VALU_DEP_2)
	v_mad_u64_u32 v[44:45], null, 0xcd9e8d57, v1, 0
	v_xor3_b32 v3, v25, v20, v0
	s_delay_alu instid0(VALU_DEP_2) | instskip(NEXT) | instid1(VALU_DEP_2)
	v_xor3_b32 v20, v26, v45, v2
	v_mad_u64_u32 v[0:1], null, 0xcd9e8d57, v3, 0
	s_delay_alu instid0(VALU_DEP_2) | instskip(NEXT) | instid1(VALU_DEP_2)
	v_mad_u64_u32 v[2:3], null, 0xd2511f53, v20, 0
	v_xor3_b32 v1, v27, v1, v44
	s_delay_alu instid0(VALU_DEP_2) | instskip(NEXT) | instid1(VALU_DEP_2)
	v_xor3_b32 v3, v28, v3, v19
	;; [unrolled: 6-line block ×7, first 2 shown]
	v_mad_u64_u32 v[45:46], null, 0xcd9e8d57, v1, 0
	s_delay_alu instid0(VALU_DEP_2) | instskip(NEXT) | instid1(VALU_DEP_2)
	v_mad_u64_u32 v[2:3], null, 0xd2511f53, v0, 0
	v_xor3_b32 v0, v40, v46, v44
                                        ; implicit-def: $vgpr44
	s_delay_alu instid0(VALU_DEP_2) | instskip(NEXT) | instid1(VALU_DEP_2)
	v_xor3_b32 v3, v39, v3, v19
	v_mad_u64_u32 v[19:20], null, 0xd2511f53, v0, 0
	s_delay_alu instid0(VALU_DEP_2) | instskip(NEXT) | instid1(VALU_DEP_2)
	v_mad_u64_u32 v[0:1], null, 0xcd9e8d57, v3, 0
                                        ; implicit-def: $vgpr3
	v_xor3_b32 v2, v20, v2, v42
	s_delay_alu instid0(VALU_DEP_2)
	v_xor3_b32 v1, v1, v45, v41
                                        ; implicit-def: $vgpr45
	v_cmpx_lt_i32_e32 1, v43
	s_xor_b32 s0, exec_lo, s0
	s_cbranch_execz .LBB56_22
; %bb.17:                               ;   in Loop: Header=BB56_6 Depth=1
	s_mov_b32 s1, exec_lo
	v_cmpx_lt_i32_e32 2, v43
	s_xor_b32 s1, exec_lo, s1
; %bb.18:                               ;   in Loop: Header=BB56_6 Depth=1
                                        ; implicit-def: $vgpr9
; %bb.19:                               ;   in Loop: Header=BB56_6 Depth=1
	s_delay_alu instid0(SALU_CYCLE_1)
	s_or_saveexec_b32 s1, s1
	v_dual_mov_b32 v3, v2 :: v_dual_mov_b32 v44, v0
	v_mov_b32_e32 v45, v1
	s_xor_b32 exec_lo, exec_lo, s1
; %bb.20:                               ;   in Loop: Header=BB56_6 Depth=1
	v_dual_mov_b32 v3, v0 :: v_dual_mov_b32 v44, v1
	v_dual_mov_b32 v45, v18 :: v_dual_mov_b32 v18, v9
; %bb.21:                               ;   in Loop: Header=BB56_6 Depth=1
	s_or_b32 exec_lo, exec_lo, s1
                                        ; implicit-def: $vgpr9
                                        ; implicit-def: $vgpr16
.LBB56_22:                              ;   in Loop: Header=BB56_6 Depth=1
	s_and_not1_saveexec_b32 s0, s0
	s_cbranch_execz .LBB56_26
; %bb.23:                               ;   in Loop: Header=BB56_6 Depth=1
	s_delay_alu instid0(VALU_DEP_1)
	v_dual_mov_b32 v3, v18 :: v_dual_mov_b32 v44, v9
	v_mov_b32_e32 v45, v8
	s_mov_b32 s1, exec_lo
	v_cmpx_eq_u32_e32 1, v43
; %bb.24:                               ;   in Loop: Header=BB56_6 Depth=1
	v_dual_mov_b32 v3, v1 :: v_dual_mov_b32 v44, v18
	v_dual_mov_b32 v45, v9 :: v_dual_mov_b32 v16, v8
; %bb.25:                               ;   in Loop: Header=BB56_6 Depth=1
	s_or_b32 exec_lo, exec_lo, s1
	s_delay_alu instid0(VALU_DEP_1)
	v_mov_b32_e32 v18, v16
.LBB56_26:                              ;   in Loop: Header=BB56_6 Depth=1
	s_or_b32 exec_lo, exec_lo, s0
	v_add_nc_u32_e32 v9, 3, v24
	s_mov_b32 s0, exec_lo
	s_delay_alu instid0(VALU_DEP_1) | instskip(SKIP_2) | instid1(VALU_DEP_1)
	v_cmp_eq_u32_e32 vcc_lo, 0, v9
	v_cndmask_b32_e64 v16, 0, 1, vcc_lo
	v_add_co_ci_u32_e32 v8, vcc_lo, 0, v17, vcc_lo
	v_cmp_eq_u32_e32 vcc_lo, 0, v8
	s_delay_alu instid0(VALU_DEP_3) | instskip(NEXT) | instid1(VALU_DEP_1)
	v_cndmask_b32_e32 v17, 0, v16, vcc_lo
	v_add_nc_u32_e32 v16, v17, v21
	v_mad_u64_u32 v[20:21], null, 0xd2511f53, v9, 0
	s_delay_alu instid0(VALU_DEP_2) | instskip(SKIP_1) | instid1(VALU_DEP_3)
	v_cmp_eq_u32_e32 vcc_lo, 0, v16
	v_mad_u64_u32 v[46:47], null, 0xcd9e8d57, v16, 0
	v_xor_b32_e32 v21, v21, v11
	v_cndmask_b32_e32 v9, 0, v17, vcc_lo
	s_delay_alu instid0(VALU_DEP_1) | instskip(NEXT) | instid1(VALU_DEP_4)
	v_add_nc_u32_e32 v17, v9, v22
	v_xor3_b32 v9, v47, v10, v8
	s_delay_alu instid0(VALU_DEP_2) | instskip(NEXT) | instid1(VALU_DEP_2)
	v_xor_b32_e32 v23, v17, v21
	v_mad_u64_u32 v[21:22], null, 0xd2511f53, v9, 0
	s_delay_alu instid0(VALU_DEP_2) | instskip(NEXT) | instid1(VALU_DEP_2)
	v_mad_u64_u32 v[47:48], null, 0xcd9e8d57, v23, 0
	v_xor3_b32 v9, v25, v22, v20
	s_delay_alu instid0(VALU_DEP_2) | instskip(NEXT) | instid1(VALU_DEP_2)
	v_xor3_b32 v20, v26, v48, v46
	v_mad_u64_u32 v[22:23], null, 0xcd9e8d57, v9, 0
	s_delay_alu instid0(VALU_DEP_2) | instskip(NEXT) | instid1(VALU_DEP_2)
	v_mad_u64_u32 v[48:49], null, 0xd2511f53, v20, 0
	v_xor3_b32 v9, v27, v23, v47
	s_delay_alu instid0(VALU_DEP_2) | instskip(NEXT) | instid1(VALU_DEP_2)
	v_xor3_b32 v23, v28, v49, v21
	v_mad_u64_u32 v[20:21], null, 0xd2511f53, v9, 0
	s_delay_alu instid0(VALU_DEP_2) | instskip(NEXT) | instid1(VALU_DEP_2)
	v_mad_u64_u32 v[46:47], null, 0xcd9e8d57, v23, 0
	v_xor3_b32 v9, v29, v21, v48
	s_delay_alu instid0(VALU_DEP_2) | instskip(NEXT) | instid1(VALU_DEP_2)
	v_xor3_b32 v23, v30, v47, v22
	v_mad_u64_u32 v[21:22], null, 0xcd9e8d57, v9, 0
	s_delay_alu instid0(VALU_DEP_2) | instskip(NEXT) | instid1(VALU_DEP_2)
	v_mad_u64_u32 v[47:48], null, 0xd2511f53, v23, 0
	v_xor3_b32 v9, v31, v22, v46
	s_delay_alu instid0(VALU_DEP_2) | instskip(NEXT) | instid1(VALU_DEP_2)
	v_xor3_b32 v20, v32, v48, v20
	v_mad_u64_u32 v[22:23], null, 0xd2511f53, v9, 0
	s_delay_alu instid0(VALU_DEP_2) | instskip(NEXT) | instid1(VALU_DEP_2)
	v_mad_u64_u32 v[48:49], null, 0xcd9e8d57, v20, 0
	v_xor3_b32 v9, v34, v23, v47
	s_delay_alu instid0(VALU_DEP_2) | instskip(NEXT) | instid1(VALU_DEP_2)
	v_xor3_b32 v23, v33, v49, v21
	v_mad_u64_u32 v[20:21], null, 0xcd9e8d57, v9, 0
	s_delay_alu instid0(VALU_DEP_2) | instskip(NEXT) | instid1(VALU_DEP_2)
	v_mad_u64_u32 v[46:47], null, 0xd2511f53, v23, 0
	v_xor3_b32 v9, v36, v21, v48
	s_delay_alu instid0(VALU_DEP_2) | instskip(NEXT) | instid1(VALU_DEP_2)
	v_xor3_b32 v23, v35, v47, v22
	v_mad_u64_u32 v[21:22], null, 0xd2511f53, v9, 0
	s_delay_alu instid0(VALU_DEP_2) | instskip(NEXT) | instid1(VALU_DEP_2)
	v_mad_u64_u32 v[47:48], null, 0xcd9e8d57, v23, 0
	v_xor3_b32 v9, v38, v22, v46
	s_delay_alu instid0(VALU_DEP_2) | instskip(NEXT) | instid1(VALU_DEP_2)
	v_xor3_b32 v20, v37, v48, v20
	v_mad_u64_u32 v[48:49], null, 0xcd9e8d57, v9, 0
	s_delay_alu instid0(VALU_DEP_2) | instskip(NEXT) | instid1(VALU_DEP_2)
	v_mad_u64_u32 v[50:51], null, 0xd2511f53, v20, 0
	v_xor3_b32 v9, v40, v49, v47
                                        ; implicit-def: $vgpr47
	s_delay_alu instid0(VALU_DEP_2) | instskip(NEXT) | instid1(VALU_DEP_2)
	v_xor3_b32 v46, v39, v51, v21
	v_mad_u64_u32 v[22:23], null, 0xd2511f53, v9, 0
	s_delay_alu instid0(VALU_DEP_2) | instskip(NEXT) | instid1(VALU_DEP_2)
	v_mad_u64_u32 v[20:21], null, 0xcd9e8d57, v46, 0
                                        ; implicit-def: $vgpr46
	v_xor3_b32 v49, v23, v50, v42
	s_delay_alu instid0(VALU_DEP_2)
	v_xor3_b32 v21, v21, v48, v41
                                        ; implicit-def: $vgpr48
	v_cmpx_lt_i32_e32 1, v43
	s_xor_b32 s0, exec_lo, s0
	s_cbranch_execz .LBB56_32
; %bb.27:                               ;   in Loop: Header=BB56_6 Depth=1
	s_mov_b32 s1, exec_lo
	v_cmpx_lt_i32_e32 2, v43
	s_xor_b32 s1, exec_lo, s1
; %bb.28:                               ;   in Loop: Header=BB56_6 Depth=1
                                        ; implicit-def: $vgpr2
; %bb.29:                               ;   in Loop: Header=BB56_6 Depth=1
	s_delay_alu instid0(SALU_CYCLE_1)
	s_or_saveexec_b32 s1, s1
	v_dual_mov_b32 v46, v49 :: v_dual_mov_b32 v47, v20
	v_mov_b32_e32 v48, v21
	s_xor_b32 exec_lo, exec_lo, s1
; %bb.30:                               ;   in Loop: Header=BB56_6 Depth=1
	v_dual_mov_b32 v46, v20 :: v_dual_mov_b32 v47, v21
	v_dual_mov_b32 v48, v19 :: v_dual_mov_b32 v19, v2
; %bb.31:                               ;   in Loop: Header=BB56_6 Depth=1
	s_or_b32 exec_lo, exec_lo, s1
                                        ; implicit-def: $vgpr2
                                        ; implicit-def: $vgpr0
                                        ; implicit-def: $vgpr1
.LBB56_32:                              ;   in Loop: Header=BB56_6 Depth=1
	s_and_not1_saveexec_b32 s0, s0
	s_cbranch_execz .LBB56_36
; %bb.33:                               ;   in Loop: Header=BB56_6 Depth=1
	s_delay_alu instid0(VALU_DEP_1)
	v_dual_mov_b32 v46, v19 :: v_dual_mov_b32 v47, v2
	v_mov_b32_e32 v48, v0
	s_mov_b32 s1, exec_lo
	v_cmpx_eq_u32_e32 1, v43
; %bb.34:                               ;   in Loop: Header=BB56_6 Depth=1
	v_dual_mov_b32 v46, v21 :: v_dual_mov_b32 v47, v19
	v_dual_mov_b32 v48, v2 :: v_dual_mov_b32 v1, v0
; %bb.35:                               ;   in Loop: Header=BB56_6 Depth=1
	s_or_b32 exec_lo, exec_lo, s1
	s_delay_alu instid0(VALU_DEP_1)
	v_mov_b32_e32 v19, v1
.LBB56_36:                              ;   in Loop: Header=BB56_6 Depth=1
	s_or_b32 exec_lo, exec_lo, s0
	v_add_nc_u32_e32 v24, 4, v24
	s_mov_b32 s0, exec_lo
	s_delay_alu instid0(VALU_DEP_1) | instskip(SKIP_2) | instid1(VALU_DEP_1)
	v_cmp_eq_u32_e32 vcc_lo, 0, v24
	v_cndmask_b32_e64 v0, 0, 1, vcc_lo
	v_add_co_ci_u32_e32 v9, vcc_lo, 0, v8, vcc_lo
	v_cmp_eq_u32_e32 vcc_lo, 0, v9
	s_delay_alu instid0(VALU_DEP_3) | instskip(NEXT) | instid1(VALU_DEP_1)
	v_cndmask_b32_e32 v0, 0, v0, vcc_lo
	v_add_nc_u32_e32 v8, v0, v16
	s_delay_alu instid0(VALU_DEP_1) | instskip(SKIP_1) | instid1(VALU_DEP_1)
	v_cmp_eq_u32_e32 vcc_lo, 0, v8
	v_cndmask_b32_e32 v0, 0, v0, vcc_lo
	v_add_nc_u32_e32 v23, v0, v17
	v_mad_u64_u32 v[0:1], null, 0xd2511f53, v24, 0
	v_mad_u64_u32 v[16:17], null, 0xcd9e8d57, v8, 0
	s_delay_alu instid0(VALU_DEP_2) | instskip(NEXT) | instid1(VALU_DEP_2)
	v_xor_b32_e32 v1, v1, v11
	v_xor3_b32 v17, v17, v10, v9
	s_delay_alu instid0(VALU_DEP_2) | instskip(NEXT) | instid1(VALU_DEP_1)
	v_xor_b32_e32 v50, v23, v1
	v_mad_u64_u32 v[1:2], null, 0xcd9e8d57, v50, 0
	s_delay_alu instid0(VALU_DEP_3) | instskip(NEXT) | instid1(VALU_DEP_2)
	v_mad_u64_u32 v[50:51], null, 0xd2511f53, v17, 0
	v_xor3_b32 v2, v26, v2, v16
	s_delay_alu instid0(VALU_DEP_2) | instskip(NEXT) | instid1(VALU_DEP_2)
	v_xor3_b32 v0, v25, v51, v0
	v_mad_u64_u32 v[16:17], null, 0xd2511f53, v2, 0
	s_delay_alu instid0(VALU_DEP_2) | instskip(NEXT) | instid1(VALU_DEP_2)
	v_mad_u64_u32 v[51:52], null, 0xcd9e8d57, v0, 0
	v_xor3_b32 v2, v28, v17, v50
	s_delay_alu instid0(VALU_DEP_2) | instskip(NEXT) | instid1(VALU_DEP_2)
	v_xor3_b32 v17, v27, v52, v1
	v_mad_u64_u32 v[0:1], null, 0xcd9e8d57, v2, 0
	s_delay_alu instid0(VALU_DEP_2) | instskip(NEXT) | instid1(VALU_DEP_2)
	;; [unrolled: 6-line block ×8, first 2 shown]
	v_mad_u64_u32 v[16:17], null, 0xd2511f53, v50, 0
                                        ; implicit-def: $vgpr50
	v_xor3_b32 v0, v2, v53, v41
	s_delay_alu instid0(VALU_DEP_2)
	v_xor3_b32 v2, v17, v51, v42
                                        ; implicit-def: $vgpr17
                                        ; implicit-def: $vgpr51
	v_cmpx_lt_i32_e32 1, v43
	s_xor_b32 s0, exec_lo, s0
	s_cbranch_execz .LBB56_42
; %bb.37:                               ;   in Loop: Header=BB56_6 Depth=1
	s_mov_b32 s1, exec_lo
	v_cmpx_lt_i32_e32 2, v43
	s_xor_b32 s1, exec_lo, s1
; %bb.38:                               ;   in Loop: Header=BB56_6 Depth=1
                                        ; implicit-def: $vgpr49
; %bb.39:                               ;   in Loop: Header=BB56_6 Depth=1
	s_delay_alu instid0(SALU_CYCLE_1)
	s_or_saveexec_b32 s1, s1
	v_dual_mov_b32 v17, v2 :: v_dual_mov_b32 v50, v1
	v_mov_b32_e32 v51, v0
	s_xor_b32 exec_lo, exec_lo, s1
; %bb.40:                               ;   in Loop: Header=BB56_6 Depth=1
	v_dual_mov_b32 v17, v1 :: v_dual_mov_b32 v50, v0
	v_dual_mov_b32 v51, v22 :: v_dual_mov_b32 v22, v49
; %bb.41:                               ;   in Loop: Header=BB56_6 Depth=1
	s_or_b32 exec_lo, exec_lo, s1
                                        ; implicit-def: $vgpr49
                                        ; implicit-def: $vgpr20
                                        ; implicit-def: $vgpr21
.LBB56_42:                              ;   in Loop: Header=BB56_6 Depth=1
	s_and_not1_saveexec_b32 s0, s0
	s_cbranch_execz .LBB56_5
; %bb.43:                               ;   in Loop: Header=BB56_6 Depth=1
	s_delay_alu instid0(VALU_DEP_1)
	v_dual_mov_b32 v17, v22 :: v_dual_mov_b32 v50, v49
	v_mov_b32_e32 v51, v20
	s_mov_b32 s1, exec_lo
	v_cmpx_eq_u32_e32 1, v43
	s_cbranch_execz .LBB56_4
; %bb.44:                               ;   in Loop: Header=BB56_6 Depth=1
	v_dual_mov_b32 v17, v0 :: v_dual_mov_b32 v50, v22
	v_mov_b32_e32 v51, v49
	v_mov_b32_e32 v21, v20
	s_branch .LBB56_4
.LBB56_45:
	s_endpgm
	.section	.rodata,"a",@progbits
	.p2align	6, 0x0
	.amdhsa_kernel _ZN2at6native12_GLOBAL__N_124fused_dropout_kernel_vecIddjLi1ELi16EhEEvNS_4cuda6detail10TensorInfoIKT_T1_EENS5_IS6_S8_EENS5_IT4_S8_EES8_T0_NS_15PhiloxCudaStateE
		.amdhsa_group_segment_fixed_size 0
		.amdhsa_private_segment_fixed_size 0
		.amdhsa_kernarg_size 952
		.amdhsa_user_sgpr_count 15
		.amdhsa_user_sgpr_dispatch_ptr 0
		.amdhsa_user_sgpr_queue_ptr 0
		.amdhsa_user_sgpr_kernarg_segment_ptr 1
		.amdhsa_user_sgpr_dispatch_id 0
		.amdhsa_user_sgpr_private_segment_size 0
		.amdhsa_wavefront_size32 1
		.amdhsa_uses_dynamic_stack 0
		.amdhsa_enable_private_segment 0
		.amdhsa_system_sgpr_workgroup_id_x 1
		.amdhsa_system_sgpr_workgroup_id_y 0
		.amdhsa_system_sgpr_workgroup_id_z 0
		.amdhsa_system_sgpr_workgroup_info 0
		.amdhsa_system_vgpr_workitem_id 0
		.amdhsa_next_free_vgpr 130
		.amdhsa_next_free_sgpr 26
		.amdhsa_reserve_vcc 1
		.amdhsa_float_round_mode_32 0
		.amdhsa_float_round_mode_16_64 0
		.amdhsa_float_denorm_mode_32 3
		.amdhsa_float_denorm_mode_16_64 3
		.amdhsa_dx10_clamp 1
		.amdhsa_ieee_mode 1
		.amdhsa_fp16_overflow 0
		.amdhsa_workgroup_processor_mode 1
		.amdhsa_memory_ordered 1
		.amdhsa_forward_progress 0
		.amdhsa_shared_vgpr_count 0
		.amdhsa_exception_fp_ieee_invalid_op 0
		.amdhsa_exception_fp_denorm_src 0
		.amdhsa_exception_fp_ieee_div_zero 0
		.amdhsa_exception_fp_ieee_overflow 0
		.amdhsa_exception_fp_ieee_underflow 0
		.amdhsa_exception_fp_ieee_inexact 0
		.amdhsa_exception_int_div_zero 0
	.end_amdhsa_kernel
	.section	.text._ZN2at6native12_GLOBAL__N_124fused_dropout_kernel_vecIddjLi1ELi16EhEEvNS_4cuda6detail10TensorInfoIKT_T1_EENS5_IS6_S8_EENS5_IT4_S8_EES8_T0_NS_15PhiloxCudaStateE,"axG",@progbits,_ZN2at6native12_GLOBAL__N_124fused_dropout_kernel_vecIddjLi1ELi16EhEEvNS_4cuda6detail10TensorInfoIKT_T1_EENS5_IS6_S8_EENS5_IT4_S8_EES8_T0_NS_15PhiloxCudaStateE,comdat
.Lfunc_end56:
	.size	_ZN2at6native12_GLOBAL__N_124fused_dropout_kernel_vecIddjLi1ELi16EhEEvNS_4cuda6detail10TensorInfoIKT_T1_EENS5_IS6_S8_EENS5_IT4_S8_EES8_T0_NS_15PhiloxCudaStateE, .Lfunc_end56-_ZN2at6native12_GLOBAL__N_124fused_dropout_kernel_vecIddjLi1ELi16EhEEvNS_4cuda6detail10TensorInfoIKT_T1_EENS5_IS6_S8_EENS5_IT4_S8_EES8_T0_NS_15PhiloxCudaStateE
                                        ; -- End function
	.section	.AMDGPU.csdata,"",@progbits
; Kernel info:
; codeLenInByte = 5216
; NumSgprs: 28
; NumVgprs: 130
; ScratchSize: 0
; MemoryBound: 0
; FloatMode: 240
; IeeeMode: 1
; LDSByteSize: 0 bytes/workgroup (compile time only)
; SGPRBlocks: 3
; VGPRBlocks: 16
; NumSGPRsForWavesPerEU: 28
; NumVGPRsForWavesPerEU: 130
; Occupancy: 10
; WaveLimiterHint : 1
; COMPUTE_PGM_RSRC2:SCRATCH_EN: 0
; COMPUTE_PGM_RSRC2:USER_SGPR: 15
; COMPUTE_PGM_RSRC2:TRAP_HANDLER: 0
; COMPUTE_PGM_RSRC2:TGID_X_EN: 1
; COMPUTE_PGM_RSRC2:TGID_Y_EN: 0
; COMPUTE_PGM_RSRC2:TGID_Z_EN: 0
; COMPUTE_PGM_RSRC2:TIDIG_COMP_CNT: 0
	.section	.text._ZN2at6native12_GLOBAL__N_124fused_dropout_kernel_vecIddjLi1ELi8EhEEvNS_4cuda6detail10TensorInfoIKT_T1_EENS5_IS6_S8_EENS5_IT4_S8_EES8_T0_NS_15PhiloxCudaStateE,"axG",@progbits,_ZN2at6native12_GLOBAL__N_124fused_dropout_kernel_vecIddjLi1ELi8EhEEvNS_4cuda6detail10TensorInfoIKT_T1_EENS5_IS6_S8_EENS5_IT4_S8_EES8_T0_NS_15PhiloxCudaStateE,comdat
	.globl	_ZN2at6native12_GLOBAL__N_124fused_dropout_kernel_vecIddjLi1ELi8EhEEvNS_4cuda6detail10TensorInfoIKT_T1_EENS5_IS6_S8_EENS5_IT4_S8_EES8_T0_NS_15PhiloxCudaStateE ; -- Begin function _ZN2at6native12_GLOBAL__N_124fused_dropout_kernel_vecIddjLi1ELi8EhEEvNS_4cuda6detail10TensorInfoIKT_T1_EENS5_IS6_S8_EENS5_IT4_S8_EES8_T0_NS_15PhiloxCudaStateE
	.p2align	8
	.type	_ZN2at6native12_GLOBAL__N_124fused_dropout_kernel_vecIddjLi1ELi8EhEEvNS_4cuda6detail10TensorInfoIKT_T1_EENS5_IS6_S8_EENS5_IT4_S8_EES8_T0_NS_15PhiloxCudaStateE,@function
_ZN2at6native12_GLOBAL__N_124fused_dropout_kernel_vecIddjLi1ELi8EhEEvNS_4cuda6detail10TensorInfoIKT_T1_EENS5_IS6_S8_EENS5_IT4_S8_EES8_T0_NS_15PhiloxCudaStateE: ; @_ZN2at6native12_GLOBAL__N_124fused_dropout_kernel_vecIddjLi1ELi8EhEEvNS_4cuda6detail10TensorInfoIKT_T1_EENS5_IS6_S8_EENS5_IT4_S8_EES8_T0_NS_15PhiloxCudaStateE
; %bb.0:
	s_clause 0x2
	s_load_b64 s[2:3], s[0:1], 0x2a0
	s_load_b128 s[8:11], s[0:1], 0x290
	s_load_b32 s4, s[0:1], 0x2b0
	s_waitcnt lgkmcnt(0)
	v_dual_mov_b32 v4, s3 :: v_dual_mov_b32 v3, s2
	v_dual_mov_b32 v10, s10 :: v_dual_mov_b32 v11, s11
	s_bitcmp0_b32 s4, 0
	s_cbranch_scc1 .LBB57_2
; %bb.1:
	v_dual_mov_b32 v1, s2 :: v_dual_mov_b32 v2, s3
	v_dual_mov_b32 v3, s10 :: v_dual_mov_b32 v4, s11
	s_load_b64 s[2:3], s[0:1], 0x2a8
	flat_load_b64 v[1:2], v[1:2]
	flat_load_b64 v[10:11], v[3:4]
	s_waitcnt vmcnt(1) lgkmcnt(0)
	v_add_co_u32 v3, vcc_lo, v1, s2
	v_add_co_ci_u32_e32 v4, vcc_lo, s3, v2, vcc_lo
.LBB57_2:
	s_clause 0x1
	s_load_b32 s4, s[0:1], 0x2c4
	s_load_b32 s7, s[0:1], 0x288
	s_add_u32 s2, s0, 0x2b8
	s_addc_u32 s3, s1, 0
	s_mov_b32 s5, exec_lo
	s_waitcnt lgkmcnt(0)
	s_and_b32 s4, s4, 0xffff
	s_delay_alu instid0(SALU_CYCLE_1) | instskip(NEXT) | instid1(VALU_DEP_1)
	v_mad_u64_u32 v[16:17], null, s15, s4, v[0:1]
	v_lshlrev_b32_e32 v12, 3, v16
	s_delay_alu instid0(VALU_DEP_1)
	v_cmpx_gt_u32_e64 s7, v12
	s_cbranch_execz .LBB57_25
; %bb.3:
	v_div_scale_f64 v[0:1], null, s[8:9], s[8:9], 1.0
	v_div_scale_f64 v[13:14], vcc_lo, 1.0, s[8:9], 1.0
	v_alignbit_b32 v21, v4, v3, 2
	v_mad_u64_u32 v[17:18], null, 0xcd9e8d57, v16, 0
	v_lshrrev_b32_e32 v20, 2, v4
	s_waitcnt vmcnt(0)
	v_dual_mov_b32 v36, v11 :: v_dual_add_nc_u32 v39, 0x96a522ad, v11
	v_mad_u64_u32 v[24:25], null, 0xd2511f53, v21, 0
	v_add_co_u32 v23, null, 0x9e3779b9, v10
	v_xor3_b32 v2, v10, v18, v20
	s_delay_alu instid0(VALU_DEP_4) | instskip(SKIP_2) | instid1(VALU_DEP_4)
	v_add_co_u32 v22, null, 0xbb67ae85, v36
	v_add_co_u32 v32, null, 0x646e171e, v36
	v_xor_b32_e32 v4, v25, v11
	v_mad_u64_u32 v[18:19], null, 0xd2511f53, v2, 0
	v_add_co_u32 v25, null, 0x76cf5d0a, v36
	s_delay_alu instid0(VALU_DEP_3) | instskip(SKIP_1) | instid1(VALU_DEP_4)
	v_mad_u64_u32 v[26:27], null, 0xcd9e8d57, v4, 0
	v_add_co_u32 v33, null, 0xb54cda56, v10
	v_xor3_b32 v2, v22, v19, v24
	v_add_co_u32 v24, null, 0x3c6ef372, v10
	v_add_co_u32 v34, null, 0x5384540f, v10
	v_xor3_b32 v4, v27, v23, v17
	s_delay_alu instid0(VALU_DEP_4) | instskip(SKIP_2) | instid1(VALU_DEP_3)
	v_mad_u64_u32 v[28:29], null, 0xcd9e8d57, v2, 0
	v_add_co_u32 v27, null, 0xdaa66d2b, v10
	v_rcp_f64_e32 v[5:6], v[0:1]
	v_mad_u64_u32 v[30:31], null, 0xd2511f53, v4, 0
	v_add_co_u32 v35, null, 0x1fd5c5a3, v36
	s_delay_alu instid0(VALU_DEP_4)
	v_xor3_b32 v2, v24, v29, v26
	v_add_co_u32 v26, null, 0x32370b8f, v36
	v_add_co_u32 v29, null, 0xed9eba14, v36
	v_xor3_b32 v4, v31, v25, v18
	v_add_co_u32 v31, null, 0xa9066899, v36
	s_load_b32 s2, s[2:3], 0x0
	v_add_co_u32 v36, null, 0xdb3d7428, v36
	s_delay_alu instid0(VALU_DEP_3)
	v_mad_u64_u32 v[17:18], null, 0xcd9e8d57, v4, 0
	v_add_co_u32 v37, null, 0xf1bbcdc8, v10
	s_clause 0x2
	s_load_b64 s[10:11], s[0:1], 0x0
	s_load_b64 s[12:13], s[0:1], 0xd8
	;; [unrolled: 1-line block ×3, first 2 shown]
	v_add_nc_u32_e32 v38, 0x8ff34781, v10
	s_mov_b32 s16, 0
	v_xor3_b32 v4, v18, v27, v28
	v_add_co_u32 v28, null, 0x78dde6e4, v10
	s_delay_alu instid0(VALU_DEP_2) | instskip(SKIP_2) | instid1(SALU_CYCLE_1)
	v_mad_u64_u32 v[18:19], null, 0xd2511f53, v4, 0
	s_waitcnt lgkmcnt(0)
	s_mul_i32 s2, s2, s4
	s_lshl_b32 s17, s2, 3
	s_delay_alu instid0(TRANS32_DEP_1) | instskip(NEXT) | instid1(VALU_DEP_1)
	v_fma_f64 v[7:8], -v[0:1], v[5:6], 1.0
	v_fma_f64 v[5:6], v[5:6], v[7:8], v[5:6]
	s_delay_alu instid0(VALU_DEP_1) | instskip(NEXT) | instid1(VALU_DEP_1)
	v_fma_f64 v[7:8], -v[0:1], v[5:6], 1.0
	v_fma_f64 v[5:6], v[5:6], v[7:8], v[5:6]
	s_delay_alu instid0(VALU_DEP_1) | instskip(NEXT) | instid1(VALU_DEP_1)
	v_mul_f64 v[7:8], v[13:14], v[5:6]
	v_fma_f64 v[0:1], -v[0:1], v[7:8], v[13:14]
	v_mad_u64_u32 v[13:14], null, 0xd2511f53, v2, 0
	s_delay_alu instid0(VALU_DEP_1) | instskip(NEXT) | instid1(VALU_DEP_2)
	v_xor3_b32 v2, v26, v14, v30
	v_xor3_b32 v9, v19, v29, v13
	v_add_co_u32 v30, null, 0x1715609d, v10
	s_delay_alu instid0(VALU_DEP_3) | instskip(NEXT) | instid1(VALU_DEP_1)
	v_mad_u64_u32 v[14:15], null, 0xcd9e8d57, v2, 0
	v_xor3_b32 v2, v28, v15, v17
	v_div_fmas_f64 v[0:1], v[0:1], v[5:6], v[7:8]
	v_mad_u64_u32 v[4:5], null, 0xcd9e8d57, v9, 0
	s_delay_alu instid0(VALU_DEP_3) | instskip(NEXT) | instid1(VALU_DEP_2)
	v_mad_u64_u32 v[6:7], null, 0xd2511f53, v2, 0
	v_xor3_b32 v2, v5, v30, v14
	s_delay_alu instid0(VALU_DEP_2) | instskip(NEXT) | instid1(VALU_DEP_2)
	v_xor3_b32 v5, v31, v7, v18
	v_mad_u64_u32 v[7:8], null, 0xd2511f53, v2, 0
	s_delay_alu instid0(VALU_DEP_2) | instskip(NEXT) | instid1(VALU_DEP_2)
	v_mad_u64_u32 v[13:14], null, 0xcd9e8d57, v5, 0
	v_xor3_b32 v2, v8, v32, v6
	s_delay_alu instid0(VALU_DEP_2) | instskip(NEXT) | instid1(VALU_DEP_2)
	v_xor3_b32 v6, v33, v14, v4
	v_mad_u64_u32 v[4:5], null, 0xcd9e8d57, v2, 0
	s_delay_alu instid0(VALU_DEP_2) | instskip(NEXT) | instid1(VALU_DEP_1)
	v_mad_u64_u32 v[8:9], null, 0xd2511f53, v6, 0
	v_xor3_b32 v2, v35, v9, v7
	v_div_fixup_f64 v[14:15], v[0:1], s[8:9], 1.0
	s_delay_alu instid0(VALU_DEP_4) | instskip(SKIP_1) | instid1(VALU_DEP_2)
	v_xor3_b32 v0, v5, v34, v13
	v_mov_b32_e32 v13, 0
	v_mad_u64_u32 v[5:6], null, 0xd2511f53, v0, 0
	v_mad_u64_u32 v[0:1], null, 0xcd9e8d57, v2, 0
	s_delay_alu instid0(VALU_DEP_3) | instskip(NEXT) | instid1(VALU_DEP_3)
	v_mov_b32_e32 v41, v13
	v_xor3_b32 v6, v6, v36, v8
	s_delay_alu instid0(VALU_DEP_3) | instskip(NEXT) | instid1(VALU_DEP_2)
	v_xor3_b32 v4, v37, v1, v4
	v_mad_u64_u32 v[1:2], null, 0xcd9e8d57, v6, 0
	s_delay_alu instid0(VALU_DEP_2) | instskip(SKIP_1) | instid1(VALU_DEP_3)
	v_mad_u64_u32 v[6:7], null, 0xd2511f53, v4, 0
	v_and_b32_e32 v40, 3, v3
	v_xor3_b32 v0, v0, v2, v38
	s_delay_alu instid0(VALU_DEP_3) | instskip(NEXT) | instid1(VALU_DEP_4)
	v_mov_b32_e32 v3, v6
	v_xor3_b32 v2, v7, v5, v39
	s_branch .LBB57_6
.LBB57_4:                               ;   in Loop: Header=BB57_6 Depth=1
	s_or_b32 exec_lo, exec_lo, s1
	s_delay_alu instid0(VALU_DEP_1)
	v_mov_b32_e32 v19, v42
.LBB57_5:                               ;   in Loop: Header=BB57_6 Depth=1
	s_or_b32 exec_lo, exec_lo, s0
	v_lshlrev_b64 v[8:9], 3, v[12:13]
	v_cvt_f32_u32_e32 v6, v6
	v_cvt_f32_u32_e32 v7, v7
	;; [unrolled: 1-line block ×5, first 2 shown]
	v_add_co_u32 v56, vcc_lo, s10, v8
	v_add_co_ci_u32_e32 v57, vcc_lo, s11, v9, vcc_lo
	v_dual_fmaak_f32 v18, 0x2f800000, v6, 0x2f800000 :: v_dual_fmaak_f32 v7, 0x2f800000, v7, 0x2f800000
	s_delay_alu instid0(VALU_DEP_4)
	v_dual_fmaak_f32 v61, 0x2f800000, v19, 0x2f800000 :: v_dual_fmaak_f32 v66, 0x2f800000, v62, 0x2f800000
	s_clause 0x3
	global_load_b128 v[44:47], v[56:57], off
	global_load_b128 v[48:51], v[56:57], off offset:16
	global_load_b128 v[52:55], v[56:57], off offset:32
	;; [unrolled: 1-line block ×3, first 2 shown]
	v_cvt_f64_f32_e32 v[18:19], v18
	v_cvt_f32_u32_e32 v4, v4
	v_cvt_f32_u32_e32 v5, v5
	;; [unrolled: 1-line block ×3, first 2 shown]
	v_mov_b32_e32 v68, v13
	v_cvt_f64_f32_e32 v[66:67], v66
	s_delay_alu instid0(VALU_DEP_4) | instskip(NEXT) | instid1(VALU_DEP_4)
	v_dual_fmaak_f32 v4, 0x2f800000, v4, 0x2f800000 :: v_dual_fmaak_f32 v5, 0x2f800000, v5, 0x2f800000
	v_fmaak_f32 v63, 0x2f800000, v42, 0x2f800000
	v_cvt_f64_f32_e32 v[42:43], v7
	v_dual_fmaak_f32 v7, 0x2f800000, v60, 0x2f800000 :: v_dual_mov_b32 v70, v13
	s_delay_alu instid0(VALU_DEP_4)
	v_cvt_f64_f32_e32 v[5:6], v5
	v_cvt_f64_f32_e32 v[3:4], v4
	v_cvt_f64_f32_e32 v[60:61], v61
	v_cvt_f64_f32_e32 v[62:63], v63
	v_cvt_f64_f32_e32 v[64:65], v7
	v_mov_b32_e32 v72, v13
	v_mov_b32_e32 v76, v13
	;; [unrolled: 1-line block ×5, first 2 shown]
	v_cmp_gt_f64_e64 s1, s[8:9], v[18:19]
	v_cmp_gt_f64_e64 s6, s[8:9], v[66:67]
	;; [unrolled: 1-line block ×4, first 2 shown]
	v_cmp_gt_f64_e32 vcc_lo, s[8:9], v[3:4]
	v_cmp_gt_f64_e64 s3, s[8:9], v[60:61]
	v_cmp_gt_f64_e64 s4, s[8:9], v[62:63]
	;; [unrolled: 1-line block ×3, first 2 shown]
	v_cndmask_b32_e64 v73, 0, 0x3ff00000, s1
	v_cndmask_b32_e64 v83, 0, 0x3ff00000, s6
	;; [unrolled: 1-line block ×4, first 2 shown]
	v_cndmask_b32_e64 v7, 0, 1, vcc_lo
	v_cndmask_b32_e64 v69, 0, 0x3ff00000, vcc_lo
	v_cndmask_b32_e64 v77, 0, 0x3ff00000, s3
	v_cndmask_b32_e64 v79, 0, 0x3ff00000, s4
	;; [unrolled: 1-line block ×3, first 2 shown]
	s_waitcnt vmcnt(3)
	v_mul_f64 v[3:4], v[44:45], v[68:69]
	s_waitcnt vmcnt(2)
	v_mul_f64 v[18:19], v[48:49], v[72:73]
	v_mul_f64 v[5:6], v[46:47], v[70:71]
	s_waitcnt vmcnt(1)
	v_mul_f64 v[46:47], v[52:53], v[76:77]
	;; [unrolled: 3-line block ×3, first 2 shown]
	v_cndmask_b32_e64 v54, 0, 1, s4
	v_cndmask_b32_e64 v55, 0, 1, s6
	;; [unrolled: 1-line block ×3, first 2 shown]
	s_delay_alu instid0(VALU_DEP_3) | instskip(NEXT) | instid1(VALU_DEP_3)
	v_lshlrev_b16 v54, 8, v54
	v_lshlrev_b16 v55, 8, v55
	s_delay_alu instid0(VALU_DEP_1)
	v_or_b32_e32 v55, v58, v55
	v_mul_f64 v[3:4], v[14:15], v[3:4]
	v_mul_f64 v[42:43], v[14:15], v[18:19]
	v_cndmask_b32_e64 v18, 0, 1, s0
	v_mul_f64 v[5:6], v[14:15], v[5:6]
	v_mul_f64 v[46:47], v[14:15], v[46:47]
	;; [unrolled: 1-line block ×4, first 2 shown]
	v_lshlrev_b16 v18, 8, v18
	v_cndmask_b32_e64 v19, 0, 1, s1
	s_delay_alu instid0(VALU_DEP_2) | instskip(SKIP_1) | instid1(VALU_DEP_1)
	v_or_b32_e32 v7, v7, v18
	v_mov_b32_e32 v74, v13
	v_mul_f64 v[44:45], v[50:51], v[74:75]
	v_mul_f64 v[50:51], v[56:57], v[80:81]
	v_cndmask_b32_e64 v56, 0, 1, s2
	v_cndmask_b32_e64 v57, 0, 1, s3
	s_delay_alu instid0(VALU_DEP_2) | instskip(NEXT) | instid1(VALU_DEP_2)
	v_lshlrev_b16 v56, 8, v56
	v_or_b32_e32 v54, v57, v54
	s_delay_alu instid0(VALU_DEP_2) | instskip(NEXT) | instid1(VALU_DEP_2)
	v_or_b32_e32 v18, v19, v56
	v_and_b32_e32 v19, 0xffff, v54
	v_lshlrev_b32_e32 v54, 16, v55
	v_and_b32_e32 v55, 0xffff, v7
	v_add_co_u32 v7, vcc_lo, s12, v8
	v_lshlrev_b32_e32 v18, 16, v18
	v_add_co_ci_u32_e32 v8, vcc_lo, s13, v9, vcc_lo
	v_or_b32_e32 v19, v19, v54
	s_delay_alu instid0(VALU_DEP_3)
	v_or_b32_e32 v18, v55, v18
	v_mul_f64 v[44:45], v[14:15], v[44:45]
	v_mul_f64 v[50:51], v[14:15], v[50:51]
	s_clause 0x3
	global_store_b128 v[7:8], v[3:6], off
	global_store_b128 v[7:8], v[42:45], off offset:16
	global_store_b128 v[7:8], v[46:49], off offset:32
	;; [unrolled: 1-line block ×3, first 2 shown]
	global_store_b64 v12, v[18:19], s[14:15]
	v_dual_mov_b32 v3, v17 :: v_dual_add_nc_u32 v12, s17, v12
	s_waitcnt_vscnt null, 0x0
	s_barrier
	buffer_gl0_inv
	v_cmp_le_u32_e32 vcc_lo, s7, v12
	s_or_b32 s16, vcc_lo, s16
	s_delay_alu instid0(SALU_CYCLE_1)
	s_and_not1_b32 exec_lo, exec_lo, s16
	s_cbranch_execz .LBB57_25
.LBB57_6:                               ; =>This Inner Loop Header: Depth=1
	v_add_co_u32 v6, vcc_lo, v21, 1
	s_delay_alu instid0(VALU_DEP_1) | instskip(SKIP_2) | instid1(VALU_DEP_1)
	v_cndmask_b32_e64 v4, 0, 1, vcc_lo
	v_add_co_ci_u32_e32 v17, vcc_lo, 0, v20, vcc_lo
	s_mov_b32 s0, exec_lo
	v_cmp_eq_u32_e32 vcc_lo, 0, v17
	s_delay_alu instid0(VALU_DEP_3) | instskip(SKIP_1) | instid1(VALU_DEP_2)
	v_cndmask_b32_e32 v7, 0, v4, vcc_lo
	v_mad_u64_u32 v[4:5], null, 0xd2511f53, v6, 0
	v_add_nc_u32_e32 v16, v7, v16
	s_delay_alu instid0(VALU_DEP_2) | instskip(NEXT) | instid1(VALU_DEP_2)
	v_xor_b32_e32 v8, v5, v11
	v_cmp_eq_u32_e32 vcc_lo, 0, v16
	v_cndmask_b32_e32 v7, 0, v7, vcc_lo
	v_mad_u64_u32 v[5:6], null, 0xcd9e8d57, v16, 0
	s_delay_alu instid0(VALU_DEP_2) | instskip(NEXT) | instid1(VALU_DEP_2)
	v_add_nc_u32_e32 v18, v7, v41
	v_xor3_b32 v19, v6, v10, v17
	s_delay_alu instid0(VALU_DEP_2) | instskip(NEXT) | instid1(VALU_DEP_1)
	v_xor_b32_e32 v8, v18, v8
	v_mad_u64_u32 v[6:7], null, 0xcd9e8d57, v8, 0
	s_delay_alu instid0(VALU_DEP_3) | instskip(NEXT) | instid1(VALU_DEP_2)
	v_mad_u64_u32 v[8:9], null, 0xd2511f53, v19, 0
	v_xor3_b32 v7, v23, v7, v5
	s_delay_alu instid0(VALU_DEP_2) | instskip(NEXT) | instid1(VALU_DEP_2)
	v_xor3_b32 v9, v22, v9, v4
	v_mad_u64_u32 v[4:5], null, 0xd2511f53, v7, 0
	s_delay_alu instid0(VALU_DEP_2) | instskip(NEXT) | instid1(VALU_DEP_2)
	v_mad_u64_u32 v[19:20], null, 0xcd9e8d57, v9, 0
	v_xor3_b32 v7, v25, v5, v8
	s_delay_alu instid0(VALU_DEP_2) | instskip(NEXT) | instid1(VALU_DEP_2)
	v_xor3_b32 v9, v24, v20, v6
	v_mad_u64_u32 v[5:6], null, 0xcd9e8d57, v7, 0
	s_delay_alu instid0(VALU_DEP_2) | instskip(NEXT) | instid1(VALU_DEP_2)
	;; [unrolled: 6-line block ×8, first 2 shown]
	v_mad_u64_u32 v[19:20], null, 0xd2511f53, v4, 0
	v_xor3_b32 v42, v9, v41, v38
	s_delay_alu instid0(VALU_DEP_2)
	v_xor3_b32 v9, v20, v5, v39
                                        ; implicit-def: $vgpr4_vgpr5_vgpr6_vgpr7
	v_cmpx_lt_i32_e32 1, v40
	s_xor_b32 s0, exec_lo, s0
	s_cbranch_execz .LBB57_12
; %bb.7:                                ;   in Loop: Header=BB57_6 Depth=1
	s_mov_b32 s1, exec_lo
                                        ; implicit-def: $vgpr4_vgpr5_vgpr6_vgpr7
	v_cmpx_lt_i32_e32 2, v40
	s_xor_b32 s1, exec_lo, s1
; %bb.8:                                ;   in Loop: Header=BB57_6 Depth=1
	v_dual_mov_b32 v6, v3 :: v_dual_mov_b32 v7, v42
                                        ; implicit-def: $vgpr0_vgpr1_vgpr2_vgpr3
	s_delay_alu instid0(VALU_DEP_1) | instskip(NEXT) | instid1(VALU_DEP_2)
	v_mov_b32_e32 v4, v6
	v_dual_mov_b32 v5, v7 :: v_dual_mov_b32 v6, v8
	v_mov_b32_e32 v7, v9
; %bb.9:                                ;   in Loop: Header=BB57_6 Depth=1
	s_and_not1_saveexec_b32 s1, s1
; %bb.10:                               ;   in Loop: Header=BB57_6 Depth=1
	v_dual_mov_b32 v4, v2 :: v_dual_mov_b32 v5, v3
	v_dual_mov_b32 v6, v42 :: v_dual_mov_b32 v7, v8
; %bb.11:                               ;   in Loop: Header=BB57_6 Depth=1
	s_or_b32 exec_lo, exec_lo, s1
                                        ; implicit-def: $vgpr0_vgpr1_vgpr2_vgpr3
.LBB57_12:                              ;   in Loop: Header=BB57_6 Depth=1
	s_and_not1_saveexec_b32 s0, s0
	s_cbranch_execz .LBB57_16
; %bb.13:                               ;   in Loop: Header=BB57_6 Depth=1
	s_mov_b32 s1, exec_lo
	v_cmpx_eq_u32_e32 1, v40
; %bb.14:                               ;   in Loop: Header=BB57_6 Depth=1
	v_dual_mov_b32 v0, v1 :: v_dual_mov_b32 v1, v2
	v_dual_mov_b32 v2, v3 :: v_dual_mov_b32 v3, v42
; %bb.15:                               ;   in Loop: Header=BB57_6 Depth=1
	s_or_b32 exec_lo, exec_lo, s1
	s_delay_alu instid0(VALU_DEP_1) | instskip(NEXT) | instid1(VALU_DEP_3)
	v_dual_mov_b32 v7, v3 :: v_dual_mov_b32 v6, v2
	v_dual_mov_b32 v5, v1 :: v_dual_mov_b32 v4, v0
.LBB57_16:                              ;   in Loop: Header=BB57_6 Depth=1
	s_or_b32 exec_lo, exec_lo, s0
	v_add_nc_u32_e32 v21, 2, v21
	s_mov_b32 s0, exec_lo
	s_delay_alu instid0(VALU_DEP_1) | instskip(SKIP_2) | instid1(VALU_DEP_1)
	v_cmp_eq_u32_e32 vcc_lo, 0, v21
	v_cndmask_b32_e64 v0, 0, 1, vcc_lo
	v_add_co_ci_u32_e32 v20, vcc_lo, 0, v17, vcc_lo
	v_cmp_eq_u32_e32 vcc_lo, 0, v20
	s_delay_alu instid0(VALU_DEP_3) | instskip(NEXT) | instid1(VALU_DEP_1)
	v_cndmask_b32_e32 v0, 0, v0, vcc_lo
	v_add_nc_u32_e32 v16, v0, v16
	s_delay_alu instid0(VALU_DEP_1) | instskip(SKIP_2) | instid1(VALU_DEP_2)
	v_cmp_eq_u32_e32 vcc_lo, 0, v16
	v_mad_u64_u32 v[2:3], null, 0xcd9e8d57, v16, 0
	v_cndmask_b32_e32 v0, 0, v0, vcc_lo
	v_xor3_b32 v3, v3, v10, v20
	s_delay_alu instid0(VALU_DEP_2) | instskip(SKIP_1) | instid1(VALU_DEP_3)
	v_add_nc_u32_e32 v41, v0, v18
	v_mad_u64_u32 v[0:1], null, 0xd2511f53, v21, 0
	v_mad_u64_u32 v[43:44], null, 0xd2511f53, v3, 0
	s_delay_alu instid0(VALU_DEP_2) | instskip(NEXT) | instid1(VALU_DEP_1)
	v_xor_b32_e32 v1, v1, v11
	v_xor_b32_e32 v1, v41, v1
	s_delay_alu instid0(VALU_DEP_1) | instskip(NEXT) | instid1(VALU_DEP_1)
	v_mad_u64_u32 v[17:18], null, 0xcd9e8d57, v1, 0
	v_xor3_b32 v2, v23, v18, v2
	v_xor3_b32 v18, v22, v44, v0
	s_delay_alu instid0(VALU_DEP_2) | instskip(NEXT) | instid1(VALU_DEP_2)
	v_mad_u64_u32 v[0:1], null, 0xd2511f53, v2, 0
	v_mad_u64_u32 v[2:3], null, 0xcd9e8d57, v18, 0
	s_delay_alu instid0(VALU_DEP_2) | instskip(NEXT) | instid1(VALU_DEP_2)
	v_xor3_b32 v1, v25, v1, v43
	v_xor3_b32 v3, v24, v3, v17
	s_delay_alu instid0(VALU_DEP_2) | instskip(NEXT) | instid1(VALU_DEP_2)
	v_mad_u64_u32 v[17:18], null, 0xcd9e8d57, v1, 0
	v_mad_u64_u32 v[43:44], null, 0xd2511f53, v3, 0
	s_delay_alu instid0(VALU_DEP_2) | instskip(NEXT) | instid1(VALU_DEP_2)
	;; [unrolled: 6-line block ×7, first 2 shown]
	v_xor3_b32 v3, v36, v45, v43
	v_xor3_b32 v43, v37, v1, v17
	s_delay_alu instid0(VALU_DEP_2) | instskip(NEXT) | instid1(VALU_DEP_2)
	v_mad_u64_u32 v[1:2], null, 0xcd9e8d57, v3, 0
	v_mad_u64_u32 v[17:18], null, 0xd2511f53, v43, 0
                                        ; implicit-def: $vgpr3
                                        ; implicit-def: $vgpr43
	s_delay_alu instid0(VALU_DEP_2) | instskip(NEXT) | instid1(VALU_DEP_2)
	v_xor3_b32 v0, v2, v0, v38
	v_xor3_b32 v2, v18, v44, v39
                                        ; implicit-def: $vgpr18
	v_cmpx_lt_i32_e32 1, v40
	s_xor_b32 s0, exec_lo, s0
	s_cbranch_execz .LBB57_22
; %bb.17:                               ;   in Loop: Header=BB57_6 Depth=1
	s_mov_b32 s1, exec_lo
	v_cmpx_lt_i32_e32 2, v40
	s_xor_b32 s1, exec_lo, s1
; %bb.18:                               ;   in Loop: Header=BB57_6 Depth=1
                                        ; implicit-def: $vgpr9
; %bb.19:                               ;   in Loop: Header=BB57_6 Depth=1
	s_delay_alu instid0(SALU_CYCLE_1)
	s_or_saveexec_b32 s1, s1
	v_dual_mov_b32 v3, v2 :: v_dual_mov_b32 v18, v1
	v_mov_b32_e32 v43, v0
	s_xor_b32 exec_lo, exec_lo, s1
; %bb.20:                               ;   in Loop: Header=BB57_6 Depth=1
	v_dual_mov_b32 v3, v1 :: v_dual_mov_b32 v18, v0
	v_mov_b32_e32 v43, v19
	v_mov_b32_e32 v19, v9
; %bb.21:                               ;   in Loop: Header=BB57_6 Depth=1
	s_or_b32 exec_lo, exec_lo, s1
                                        ; implicit-def: $vgpr9
                                        ; implicit-def: $vgpr42
.LBB57_22:                              ;   in Loop: Header=BB57_6 Depth=1
	s_and_not1_saveexec_b32 s0, s0
	s_cbranch_execz .LBB57_5
; %bb.23:                               ;   in Loop: Header=BB57_6 Depth=1
	s_delay_alu instid0(VALU_DEP_1)
	v_dual_mov_b32 v3, v19 :: v_dual_mov_b32 v18, v9
	v_mov_b32_e32 v43, v8
	s_mov_b32 s1, exec_lo
	v_cmpx_eq_u32_e32 1, v40
	s_cbranch_execz .LBB57_4
; %bb.24:                               ;   in Loop: Header=BB57_6 Depth=1
	v_dual_mov_b32 v3, v0 :: v_dual_mov_b32 v18, v19
	v_dual_mov_b32 v43, v9 :: v_dual_mov_b32 v42, v8
	s_branch .LBB57_4
.LBB57_25:
	s_endpgm
	.section	.rodata,"a",@progbits
	.p2align	6, 0x0
	.amdhsa_kernel _ZN2at6native12_GLOBAL__N_124fused_dropout_kernel_vecIddjLi1ELi8EhEEvNS_4cuda6detail10TensorInfoIKT_T1_EENS5_IS6_S8_EENS5_IT4_S8_EES8_T0_NS_15PhiloxCudaStateE
		.amdhsa_group_segment_fixed_size 0
		.amdhsa_private_segment_fixed_size 0
		.amdhsa_kernarg_size 952
		.amdhsa_user_sgpr_count 15
		.amdhsa_user_sgpr_dispatch_ptr 0
		.amdhsa_user_sgpr_queue_ptr 0
		.amdhsa_user_sgpr_kernarg_segment_ptr 1
		.amdhsa_user_sgpr_dispatch_id 0
		.amdhsa_user_sgpr_private_segment_size 0
		.amdhsa_wavefront_size32 1
		.amdhsa_uses_dynamic_stack 0
		.amdhsa_enable_private_segment 0
		.amdhsa_system_sgpr_workgroup_id_x 1
		.amdhsa_system_sgpr_workgroup_id_y 0
		.amdhsa_system_sgpr_workgroup_id_z 0
		.amdhsa_system_sgpr_workgroup_info 0
		.amdhsa_system_vgpr_workitem_id 0
		.amdhsa_next_free_vgpr 84
		.amdhsa_next_free_sgpr 18
		.amdhsa_reserve_vcc 1
		.amdhsa_float_round_mode_32 0
		.amdhsa_float_round_mode_16_64 0
		.amdhsa_float_denorm_mode_32 3
		.amdhsa_float_denorm_mode_16_64 3
		.amdhsa_dx10_clamp 1
		.amdhsa_ieee_mode 1
		.amdhsa_fp16_overflow 0
		.amdhsa_workgroup_processor_mode 1
		.amdhsa_memory_ordered 1
		.amdhsa_forward_progress 0
		.amdhsa_shared_vgpr_count 0
		.amdhsa_exception_fp_ieee_invalid_op 0
		.amdhsa_exception_fp_denorm_src 0
		.amdhsa_exception_fp_ieee_div_zero 0
		.amdhsa_exception_fp_ieee_overflow 0
		.amdhsa_exception_fp_ieee_underflow 0
		.amdhsa_exception_fp_ieee_inexact 0
		.amdhsa_exception_int_div_zero 0
	.end_amdhsa_kernel
	.section	.text._ZN2at6native12_GLOBAL__N_124fused_dropout_kernel_vecIddjLi1ELi8EhEEvNS_4cuda6detail10TensorInfoIKT_T1_EENS5_IS6_S8_EENS5_IT4_S8_EES8_T0_NS_15PhiloxCudaStateE,"axG",@progbits,_ZN2at6native12_GLOBAL__N_124fused_dropout_kernel_vecIddjLi1ELi8EhEEvNS_4cuda6detail10TensorInfoIKT_T1_EENS5_IS6_S8_EENS5_IT4_S8_EES8_T0_NS_15PhiloxCudaStateE,comdat
.Lfunc_end57:
	.size	_ZN2at6native12_GLOBAL__N_124fused_dropout_kernel_vecIddjLi1ELi8EhEEvNS_4cuda6detail10TensorInfoIKT_T1_EENS5_IS6_S8_EENS5_IT4_S8_EES8_T0_NS_15PhiloxCudaStateE, .Lfunc_end57-_ZN2at6native12_GLOBAL__N_124fused_dropout_kernel_vecIddjLi1ELi8EhEEvNS_4cuda6detail10TensorInfoIKT_T1_EENS5_IS6_S8_EENS5_IT4_S8_EES8_T0_NS_15PhiloxCudaStateE
                                        ; -- End function
	.section	.AMDGPU.csdata,"",@progbits
; Kernel info:
; codeLenInByte = 3196
; NumSgprs: 20
; NumVgprs: 84
; ScratchSize: 0
; MemoryBound: 0
; FloatMode: 240
; IeeeMode: 1
; LDSByteSize: 0 bytes/workgroup (compile time only)
; SGPRBlocks: 2
; VGPRBlocks: 10
; NumSGPRsForWavesPerEU: 20
; NumVGPRsForWavesPerEU: 84
; Occupancy: 16
; WaveLimiterHint : 1
; COMPUTE_PGM_RSRC2:SCRATCH_EN: 0
; COMPUTE_PGM_RSRC2:USER_SGPR: 15
; COMPUTE_PGM_RSRC2:TRAP_HANDLER: 0
; COMPUTE_PGM_RSRC2:TGID_X_EN: 1
; COMPUTE_PGM_RSRC2:TGID_Y_EN: 0
; COMPUTE_PGM_RSRC2:TGID_Z_EN: 0
; COMPUTE_PGM_RSRC2:TIDIG_COMP_CNT: 0
	.section	.text._ZN2at6native12_GLOBAL__N_124fused_dropout_kernel_vecIddjLi1ELi4EhEEvNS_4cuda6detail10TensorInfoIKT_T1_EENS5_IS6_S8_EENS5_IT4_S8_EES8_T0_NS_15PhiloxCudaStateE,"axG",@progbits,_ZN2at6native12_GLOBAL__N_124fused_dropout_kernel_vecIddjLi1ELi4EhEEvNS_4cuda6detail10TensorInfoIKT_T1_EENS5_IS6_S8_EENS5_IT4_S8_EES8_T0_NS_15PhiloxCudaStateE,comdat
	.globl	_ZN2at6native12_GLOBAL__N_124fused_dropout_kernel_vecIddjLi1ELi4EhEEvNS_4cuda6detail10TensorInfoIKT_T1_EENS5_IS6_S8_EENS5_IT4_S8_EES8_T0_NS_15PhiloxCudaStateE ; -- Begin function _ZN2at6native12_GLOBAL__N_124fused_dropout_kernel_vecIddjLi1ELi4EhEEvNS_4cuda6detail10TensorInfoIKT_T1_EENS5_IS6_S8_EENS5_IT4_S8_EES8_T0_NS_15PhiloxCudaStateE
	.p2align	8
	.type	_ZN2at6native12_GLOBAL__N_124fused_dropout_kernel_vecIddjLi1ELi4EhEEvNS_4cuda6detail10TensorInfoIKT_T1_EENS5_IS6_S8_EENS5_IT4_S8_EES8_T0_NS_15PhiloxCudaStateE,@function
_ZN2at6native12_GLOBAL__N_124fused_dropout_kernel_vecIddjLi1ELi4EhEEvNS_4cuda6detail10TensorInfoIKT_T1_EENS5_IS6_S8_EENS5_IT4_S8_EES8_T0_NS_15PhiloxCudaStateE: ; @_ZN2at6native12_GLOBAL__N_124fused_dropout_kernel_vecIddjLi1ELi4EhEEvNS_4cuda6detail10TensorInfoIKT_T1_EENS5_IS6_S8_EENS5_IT4_S8_EES8_T0_NS_15PhiloxCudaStateE
; %bb.0:
	s_clause 0x2
	s_load_b64 s[2:3], s[0:1], 0x2a0
	s_load_b128 s[4:7], s[0:1], 0x290
	s_load_b32 s8, s[0:1], 0x2b0
	s_waitcnt lgkmcnt(0)
	v_dual_mov_b32 v1, s2 :: v_dual_mov_b32 v2, s3
	v_dual_mov_b32 v9, s7 :: v_dual_mov_b32 v8, s6
	s_bitcmp0_b32 s8, 0
	s_cbranch_scc1 .LBB58_2
; %bb.1:
	v_dual_mov_b32 v1, s2 :: v_dual_mov_b32 v2, s3
	v_dual_mov_b32 v3, s6 :: v_dual_mov_b32 v4, s7
	s_load_b64 s[2:3], s[0:1], 0x2a8
	flat_load_b64 v[1:2], v[1:2]
	flat_load_b64 v[8:9], v[3:4]
	s_waitcnt vmcnt(1) lgkmcnt(0)
	v_add_co_u32 v1, vcc_lo, v1, s2
	v_add_co_ci_u32_e32 v2, vcc_lo, s3, v2, vcc_lo
.LBB58_2:
	s_clause 0x1
	s_load_b32 s6, s[0:1], 0x2c4
	s_load_b32 s12, s[0:1], 0x288
	s_add_u32 s2, s0, 0x2b8
	s_addc_u32 s3, s1, 0
	s_waitcnt lgkmcnt(0)
	s_and_b32 s13, s6, 0xffff
	s_mov_b32 s6, exec_lo
	v_mad_u64_u32 v[10:11], null, s15, s13, v[0:1]
	s_delay_alu instid0(VALU_DEP_1) | instskip(NEXT) | instid1(VALU_DEP_1)
	v_lshlrev_b32_e32 v11, 2, v10
	v_cmpx_gt_u32_e64 s12, v11
	s_cbranch_execz .LBB58_15
; %bb.3:
	v_div_scale_f64 v[3:4], null, s[4:5], s[4:5], 1.0
	v_div_scale_f64 v[14:15], vcc_lo, 1.0, s[4:5], 1.0
	v_alignbit_b32 v17, v2, v1, 2
	v_lshrrev_b32_e32 v18, 2, v2
	v_mad_u64_u32 v[21:22], null, 0xcd9e8d57, v10, 0
	s_waitcnt vmcnt(0)
	v_add_co_u32 v20, null, 0x9e3779b9, v8
	v_mad_u64_u32 v[23:24], null, 0xd2511f53, v17, 0
	v_dual_mov_b32 v33, v9 :: v_dual_add_nc_u32 v36, 0x96a522ad, v9
	s_delay_alu instid0(VALU_DEP_4) | instskip(SKIP_2) | instid1(VALU_DEP_4)
	v_xor3_b32 v0, v8, v22, v18
	s_load_b32 s2, s[2:3], 0x0
	v_add_co_u32 v34, null, 0xf1bbcdc8, v8
	v_xor_b32_e32 v2, v24, v9
	s_delay_alu instid0(VALU_DEP_3) | instskip(SKIP_1) | instid1(VALU_DEP_3)
	v_mad_u64_u32 v[24:25], null, 0xd2511f53, v0, 0
	v_add_co_u32 v19, null, 0xbb67ae85, v33
	v_mad_u64_u32 v[26:27], null, 0xcd9e8d57, v2, 0
	v_add_co_u32 v22, null, 0x76cf5d0a, v33
	s_delay_alu instid0(VALU_DEP_3) | instskip(SKIP_3) | instid1(VALU_DEP_4)
	v_xor3_b32 v0, v19, v25, v23
	v_add_co_u32 v23, null, 0x32370b8f, v33
	v_add_co_u32 v25, null, 0x78dde6e4, v8
	v_xor3_b32 v2, v27, v20, v21
	v_mad_u64_u32 v[27:28], null, 0xcd9e8d57, v0, 0
	v_add_co_u32 v21, null, 0x3c6ef372, v8
	s_delay_alu instid0(VALU_DEP_3)
	v_mad_u64_u32 v[29:30], null, 0xd2511f53, v2, 0
	v_rcp_f64_e32 v[5:6], v[3:4]
	s_clause 0x2
	s_load_b64 s[6:7], s[0:1], 0x0
	s_load_b64 s[8:9], s[0:1], 0xd8
	;; [unrolled: 1-line block ×3, first 2 shown]
	v_xor3_b32 v0, v21, v28, v26
	v_add_co_u32 v26, null, 0xed9eba14, v33
	v_add_co_u32 v28, null, 0xa9066899, v33
	v_add_nc_u32_e32 v35, 0x8ff34781, v8
	s_waitcnt lgkmcnt(0)
	s_mul_i32 s2, s2, s13
	s_mov_b32 s3, 0
	s_lshl_b32 s13, s2, 2
	s_waitcnt_depctr 0xfff
	v_fma_f64 v[12:13], -v[3:4], v[5:6], 1.0
	s_delay_alu instid0(VALU_DEP_1) | instskip(NEXT) | instid1(VALU_DEP_1)
	v_fma_f64 v[5:6], v[5:6], v[12:13], v[5:6]
	v_fma_f64 v[12:13], -v[3:4], v[5:6], 1.0
	s_delay_alu instid0(VALU_DEP_1) | instskip(NEXT) | instid1(VALU_DEP_1)
	v_fma_f64 v[5:6], v[5:6], v[12:13], v[5:6]
	v_mul_f64 v[12:13], v[14:15], v[5:6]
	s_delay_alu instid0(VALU_DEP_1) | instskip(SKIP_3) | instid1(VALU_DEP_3)
	v_fma_f64 v[2:3], -v[3:4], v[12:13], v[14:15]
	v_xor3_b32 v4, v30, v22, v24
	v_mad_u64_u32 v[14:15], null, 0xd2511f53, v0, 0
	v_add_co_u32 v24, null, 0xdaa66d2b, v8
	v_mad_u64_u32 v[30:31], null, 0xcd9e8d57, v4, 0
	s_delay_alu instid0(VALU_DEP_3) | instskip(SKIP_1) | instid1(VALU_DEP_3)
	v_xor3_b32 v0, v23, v15, v29
	v_add_co_u32 v29, null, 0x646e171e, v33
	v_xor3_b32 v4, v31, v24, v27
	s_delay_alu instid0(VALU_DEP_3) | instskip(SKIP_1) | instid1(VALU_DEP_3)
	v_mad_u64_u32 v[15:16], null, 0xcd9e8d57, v0, 0
	v_add_co_u32 v27, null, 0x1715609d, v8
	v_mad_u64_u32 v[31:32], null, 0xd2511f53, v4, 0
	s_delay_alu instid0(VALU_DEP_3) | instskip(SKIP_1) | instid1(VALU_DEP_3)
	v_xor3_b32 v0, v25, v16, v30
	v_add_co_u32 v30, null, 0xb54cda56, v8
	v_xor3_b32 v7, v32, v26, v14
	v_add_co_u32 v32, null, 0x1fd5c5a3, v33
	v_add_co_u32 v33, null, 0xdb3d7428, v33
	v_div_fmas_f64 v[2:3], v[2:3], v[5:6], v[12:13]
	s_delay_alu instid0(VALU_DEP_4) | instskip(SKIP_1) | instid1(VALU_DEP_2)
	v_mad_u64_u32 v[4:5], null, 0xcd9e8d57, v7, 0
	v_mad_u64_u32 v[6:7], null, 0xd2511f53, v0, 0
	v_xor3_b32 v0, v5, v27, v15
	s_delay_alu instid0(VALU_DEP_2) | instskip(SKIP_1) | instid1(VALU_DEP_3)
	v_xor3_b32 v5, v28, v7, v31
	v_add_co_u32 v31, null, 0x5384540f, v8
	v_mad_u64_u32 v[12:13], null, 0xd2511f53, v0, 0
	s_delay_alu instid0(VALU_DEP_3) | instskip(NEXT) | instid1(VALU_DEP_2)
	v_mad_u64_u32 v[15:16], null, 0xcd9e8d57, v5, 0
	v_xor3_b32 v0, v13, v29, v6
	s_delay_alu instid0(VALU_DEP_2) | instskip(NEXT) | instid1(VALU_DEP_2)
	v_xor3_b32 v13, v30, v16, v4
	v_mad_u64_u32 v[4:5], null, 0xcd9e8d57, v0, 0
	s_delay_alu instid0(VALU_DEP_2) | instskip(NEXT) | instid1(VALU_DEP_2)
	v_mad_u64_u32 v[6:7], null, 0xd2511f53, v13, 0
	v_xor3_b32 v0, v5, v31, v15
	s_delay_alu instid0(VALU_DEP_2) | instskip(SKIP_2) | instid1(VALU_DEP_4)
	v_xor3_b32 v5, v32, v7, v12
	v_mov_b32_e32 v12, 0
	v_div_fixup_f64 v[13:14], v[2:3], s[4:5], 1.0
	v_mad_u64_u32 v[2:3], null, 0xd2511f53, v0, 0
	s_delay_alu instid0(VALU_DEP_4) | instskip(NEXT) | instid1(VALU_DEP_4)
	v_mad_u64_u32 v[15:16], null, 0xcd9e8d57, v5, 0
	v_dual_mov_b32 v38, v12 :: v_dual_and_b32 v37, 3, v1
	s_delay_alu instid0(VALU_DEP_3) | instskip(NEXT) | instid1(VALU_DEP_3)
	v_xor3_b32 v0, v3, v33, v6
	v_xor3_b32 v3, v34, v16, v4
	s_delay_alu instid0(VALU_DEP_2) | instskip(NEXT) | instid1(VALU_DEP_2)
	v_mad_u64_u32 v[4:5], null, 0xcd9e8d57, v0, 0
	v_mad_u64_u32 v[6:7], null, 0xd2511f53, v3, 0
	s_delay_alu instid0(VALU_DEP_2) | instskip(NEXT) | instid1(VALU_DEP_2)
	v_xor3_b32 v3, v15, v5, v35
	v_xor3_b32 v5, v7, v2, v36
	s_branch .LBB58_6
.LBB58_4:                               ;   in Loop: Header=BB58_6 Depth=1
	s_or_b32 exec_lo, exec_lo, s1
.LBB58_5:                               ;   in Loop: Header=BB58_6 Depth=1
	s_delay_alu instid0(SALU_CYCLE_1)
	s_or_b32 exec_lo, exec_lo, s0
	v_lshlrev_b64 v[47:48], 3, v[11:12]
	v_cvt_f32_u32_e32 v3, v3
	v_cvt_f32_u32_e32 v4, v4
	;; [unrolled: 1-line block ×4, first 2 shown]
	v_mov_b32_e32 v53, v12
	v_add_co_u32 v43, vcc_lo, s6, v47
	v_add_co_ci_u32_e32 v44, vcc_lo, s7, v48, vcc_lo
	v_dual_fmaak_f32 v3, 0x2f800000, v3, 0x2f800000 :: v_dual_fmaak_f32 v16, 0x2f800000, v5, 0x2f800000
	v_fmaak_f32 v7, 0x2f800000, v4, 0x2f800000
	s_clause 0x1
	global_load_b128 v[39:42], v[43:44], off
	global_load_b128 v[43:46], v[43:44], off offset:16
	v_fmaak_f32 v51, 0x2f800000, v6, 0x2f800000
	v_cvt_f64_f32_e32 v[3:4], v3
	v_cvt_f64_f32_e32 v[49:50], v16
	;; [unrolled: 1-line block ×3, first 2 shown]
	v_mov_b32_e32 v55, v12
	v_cvt_f64_f32_e32 v[51:52], v51
	v_mov_b32_e32 v57, v12
	v_mov_b32_e32 v59, v12
	v_cmp_gt_f64_e32 vcc_lo, s[4:5], v[3:4]
	v_cmp_gt_f64_e64 s1, s[4:5], v[49:50]
	v_cmp_gt_f64_e64 s0, s[4:5], v[5:6]
	;; [unrolled: 1-line block ×3, first 2 shown]
	v_cndmask_b32_e64 v54, 0, 0x3ff00000, vcc_lo
	s_delay_alu instid0(VALU_DEP_4) | instskip(NEXT) | instid1(VALU_DEP_4)
	v_cndmask_b32_e64 v58, 0, 0x3ff00000, s1
	v_cndmask_b32_e64 v56, 0, 0x3ff00000, s0
	;; [unrolled: 1-line block ×5, first 2 shown]
	s_delay_alu instid0(VALU_DEP_3) | instskip(NEXT) | instid1(VALU_DEP_2)
	v_lshlrev_b16 v7, 8, v7
	v_lshlrev_b16 v16, 8, v16
	s_waitcnt vmcnt(1)
	v_mul_f64 v[3:4], v[39:40], v[53:54]
	v_mul_f64 v[5:6], v[41:42], v[55:56]
	s_waitcnt vmcnt(0)
	v_mul_f64 v[39:40], v[43:44], v[57:58]
	v_mul_f64 v[41:42], v[45:46], v[59:60]
	v_cndmask_b32_e64 v43, 0, 1, vcc_lo
	v_cndmask_b32_e64 v44, 0, 1, s1
	s_delay_alu instid0(VALU_DEP_2) | instskip(NEXT) | instid1(VALU_DEP_2)
	v_or_b32_e32 v7, v43, v7
	v_or_b32_e32 v16, v44, v16
	v_add_co_u32 v43, vcc_lo, s8, v47
	v_add_co_ci_u32_e32 v44, vcc_lo, s9, v48, vcc_lo
	s_delay_alu instid0(VALU_DEP_3) | instskip(SKIP_1) | instid1(VALU_DEP_1)
	v_lshlrev_b32_e32 v16, 16, v16
	v_and_b32_e32 v7, 0xffff, v7
	v_or_b32_e32 v7, v7, v16
	v_mul_f64 v[3:4], v[13:14], v[3:4]
	v_mul_f64 v[5:6], v[13:14], v[5:6]
	v_mul_f64 v[39:40], v[13:14], v[39:40]
	v_mul_f64 v[41:42], v[13:14], v[41:42]
	s_clause 0x1
	global_store_b128 v[43:44], v[3:6], off
	global_store_b128 v[43:44], v[39:42], off offset:16
	global_store_b32 v11, v7, s[10:11]
	v_add_nc_u32_e32 v11, s13, v11
	v_mov_b32_e32 v3, v15
	s_waitcnt_vscnt null, 0x0
	s_barrier
	buffer_gl0_inv
	v_cmp_le_u32_e32 vcc_lo, s12, v11
	v_mov_b32_e32 v6, v3
	v_dual_mov_b32 v5, v2 :: v_dual_mov_b32 v4, v1
	v_mov_b32_e32 v3, v0
	s_or_b32 s3, vcc_lo, s3
	s_delay_alu instid0(SALU_CYCLE_1)
	s_and_not1_b32 exec_lo, exec_lo, s3
	s_cbranch_execz .LBB58_15
.LBB58_6:                               ; =>This Inner Loop Header: Depth=1
	v_add_co_u32 v17, vcc_lo, v17, 1
	s_delay_alu instid0(VALU_DEP_1) | instskip(SKIP_2) | instid1(VALU_DEP_1)
	v_cndmask_b32_e64 v0, 0, 1, vcc_lo
	v_add_co_ci_u32_e32 v18, vcc_lo, 0, v18, vcc_lo
	s_mov_b32 s0, exec_lo
	v_cmp_eq_u32_e32 vcc_lo, 0, v18
	s_delay_alu instid0(VALU_DEP_3) | instskip(NEXT) | instid1(VALU_DEP_1)
	v_cndmask_b32_e32 v0, 0, v0, vcc_lo
	v_add_nc_u32_e32 v10, v0, v10
	s_delay_alu instid0(VALU_DEP_1) | instskip(SKIP_2) | instid1(VALU_DEP_2)
	v_cmp_eq_u32_e32 vcc_lo, 0, v10
	v_mad_u64_u32 v[15:16], null, 0xcd9e8d57, v10, 0
	v_cndmask_b32_e32 v0, 0, v0, vcc_lo
	v_xor3_b32 v7, v16, v8, v18
	s_delay_alu instid0(VALU_DEP_2) | instskip(SKIP_1) | instid1(VALU_DEP_1)
	v_add_nc_u32_e32 v38, v0, v38
	v_mad_u64_u32 v[0:1], null, 0xd2511f53, v17, 0
	v_xor_b32_e32 v1, v1, v9
	s_delay_alu instid0(VALU_DEP_1) | instskip(SKIP_1) | instid1(VALU_DEP_2)
	v_xor_b32_e32 v16, v38, v1
	v_mad_u64_u32 v[1:2], null, 0xd2511f53, v7, 0
	v_mad_u64_u32 v[39:40], null, 0xcd9e8d57, v16, 0
	s_delay_alu instid0(VALU_DEP_2) | instskip(NEXT) | instid1(VALU_DEP_2)
	v_xor3_b32 v0, v19, v2, v0
	v_xor3_b32 v2, v20, v40, v15
	s_delay_alu instid0(VALU_DEP_2) | instskip(NEXT) | instid1(VALU_DEP_2)
	v_mad_u64_u32 v[15:16], null, 0xcd9e8d57, v0, 0
	v_mad_u64_u32 v[40:41], null, 0xd2511f53, v2, 0
	s_delay_alu instid0(VALU_DEP_2) | instskip(NEXT) | instid1(VALU_DEP_2)
	v_xor3_b32 v2, v21, v16, v39
	v_xor3_b32 v7, v22, v41, v1
	s_delay_alu instid0(VALU_DEP_2) | instskip(NEXT) | instid1(VALU_DEP_2)
	;; [unrolled: 6-line block ×8, first 2 shown]
	v_mad_u64_u32 v[15:16], null, 0xd2511f53, v0, 0
	v_mad_u64_u32 v[1:2], null, 0xcd9e8d57, v7, 0
	s_delay_alu instid0(VALU_DEP_2) | instskip(NEXT) | instid1(VALU_DEP_2)
	v_xor3_b32 v7, v16, v42, v36
	v_xor3_b32 v0, v2, v40, v35
	s_delay_alu instid0(VALU_DEP_2)
	v_mov_b32_e32 v2, v7
	v_cmpx_lt_i32_e32 1, v37
	s_xor_b32 s0, exec_lo, s0
	s_cbranch_execz .LBB58_12
; %bb.7:                                ;   in Loop: Header=BB58_6 Depth=1
	s_mov_b32 s1, exec_lo
	v_cmpx_lt_i32_e32 2, v37
	s_xor_b32 s1, exec_lo, s1
; %bb.8:                                ;   in Loop: Header=BB58_6 Depth=1
	v_dual_mov_b32 v4, v6 :: v_dual_mov_b32 v5, v0
	v_mov_b32_e32 v6, v1
	s_delay_alu instid0(VALU_DEP_2) | instskip(NEXT) | instid1(VALU_DEP_3)
	v_mov_b32_e32 v3, v4
	v_mov_b32_e32 v4, v5
	s_delay_alu instid0(VALU_DEP_3)
	v_mov_b32_e32 v5, v6
	v_mov_b32_e32 v6, v7
; %bb.9:                                ;   in Loop: Header=BB58_6 Depth=1
	s_and_not1_saveexec_b32 s1, s1
; %bb.10:                               ;   in Loop: Header=BB58_6 Depth=1
	s_delay_alu instid0(VALU_DEP_1)
	v_dual_mov_b32 v3, v5 :: v_dual_mov_b32 v4, v6
	v_dual_mov_b32 v5, v0 :: v_dual_mov_b32 v6, v1
; %bb.11:                               ;   in Loop: Header=BB58_6 Depth=1
	s_or_b32 exec_lo, exec_lo, s1
.LBB58_12:                              ;   in Loop: Header=BB58_6 Depth=1
	s_and_not1_saveexec_b32 s0, s0
	s_cbranch_execz .LBB58_5
; %bb.13:                               ;   in Loop: Header=BB58_6 Depth=1
	s_mov_b32 s1, exec_lo
	v_cmpx_eq_u32_e32 1, v37
	s_cbranch_execz .LBB58_4
; %bb.14:                               ;   in Loop: Header=BB58_6 Depth=1
	v_dual_mov_b32 v3, v4 :: v_dual_mov_b32 v4, v5
	v_dual_mov_b32 v5, v6 :: v_dual_mov_b32 v6, v0
	s_branch .LBB58_4
.LBB58_15:
	s_endpgm
	.section	.rodata,"a",@progbits
	.p2align	6, 0x0
	.amdhsa_kernel _ZN2at6native12_GLOBAL__N_124fused_dropout_kernel_vecIddjLi1ELi4EhEEvNS_4cuda6detail10TensorInfoIKT_T1_EENS5_IS6_S8_EENS5_IT4_S8_EES8_T0_NS_15PhiloxCudaStateE
		.amdhsa_group_segment_fixed_size 0
		.amdhsa_private_segment_fixed_size 0
		.amdhsa_kernarg_size 952
		.amdhsa_user_sgpr_count 15
		.amdhsa_user_sgpr_dispatch_ptr 0
		.amdhsa_user_sgpr_queue_ptr 0
		.amdhsa_user_sgpr_kernarg_segment_ptr 1
		.amdhsa_user_sgpr_dispatch_id 0
		.amdhsa_user_sgpr_private_segment_size 0
		.amdhsa_wavefront_size32 1
		.amdhsa_uses_dynamic_stack 0
		.amdhsa_enable_private_segment 0
		.amdhsa_system_sgpr_workgroup_id_x 1
		.amdhsa_system_sgpr_workgroup_id_y 0
		.amdhsa_system_sgpr_workgroup_id_z 0
		.amdhsa_system_sgpr_workgroup_info 0
		.amdhsa_system_vgpr_workitem_id 0
		.amdhsa_next_free_vgpr 61
		.amdhsa_next_free_sgpr 16
		.amdhsa_reserve_vcc 1
		.amdhsa_float_round_mode_32 0
		.amdhsa_float_round_mode_16_64 0
		.amdhsa_float_denorm_mode_32 3
		.amdhsa_float_denorm_mode_16_64 3
		.amdhsa_dx10_clamp 1
		.amdhsa_ieee_mode 1
		.amdhsa_fp16_overflow 0
		.amdhsa_workgroup_processor_mode 1
		.amdhsa_memory_ordered 1
		.amdhsa_forward_progress 0
		.amdhsa_shared_vgpr_count 0
		.amdhsa_exception_fp_ieee_invalid_op 0
		.amdhsa_exception_fp_denorm_src 0
		.amdhsa_exception_fp_ieee_div_zero 0
		.amdhsa_exception_fp_ieee_overflow 0
		.amdhsa_exception_fp_ieee_underflow 0
		.amdhsa_exception_fp_ieee_inexact 0
		.amdhsa_exception_int_div_zero 0
	.end_amdhsa_kernel
	.section	.text._ZN2at6native12_GLOBAL__N_124fused_dropout_kernel_vecIddjLi1ELi4EhEEvNS_4cuda6detail10TensorInfoIKT_T1_EENS5_IS6_S8_EENS5_IT4_S8_EES8_T0_NS_15PhiloxCudaStateE,"axG",@progbits,_ZN2at6native12_GLOBAL__N_124fused_dropout_kernel_vecIddjLi1ELi4EhEEvNS_4cuda6detail10TensorInfoIKT_T1_EENS5_IS6_S8_EENS5_IT4_S8_EES8_T0_NS_15PhiloxCudaStateE,comdat
.Lfunc_end58:
	.size	_ZN2at6native12_GLOBAL__N_124fused_dropout_kernel_vecIddjLi1ELi4EhEEvNS_4cuda6detail10TensorInfoIKT_T1_EENS5_IS6_S8_EENS5_IT4_S8_EES8_T0_NS_15PhiloxCudaStateE, .Lfunc_end58-_ZN2at6native12_GLOBAL__N_124fused_dropout_kernel_vecIddjLi1ELi4EhEEvNS_4cuda6detail10TensorInfoIKT_T1_EENS5_IS6_S8_EENS5_IT4_S8_EES8_T0_NS_15PhiloxCudaStateE
                                        ; -- End function
	.section	.AMDGPU.csdata,"",@progbits
; Kernel info:
; codeLenInByte = 2188
; NumSgprs: 18
; NumVgprs: 61
; ScratchSize: 0
; MemoryBound: 0
; FloatMode: 240
; IeeeMode: 1
; LDSByteSize: 0 bytes/workgroup (compile time only)
; SGPRBlocks: 2
; VGPRBlocks: 7
; NumSGPRsForWavesPerEU: 18
; NumVGPRsForWavesPerEU: 61
; Occupancy: 16
; WaveLimiterHint : 1
; COMPUTE_PGM_RSRC2:SCRATCH_EN: 0
; COMPUTE_PGM_RSRC2:USER_SGPR: 15
; COMPUTE_PGM_RSRC2:TRAP_HANDLER: 0
; COMPUTE_PGM_RSRC2:TGID_X_EN: 1
; COMPUTE_PGM_RSRC2:TGID_Y_EN: 0
; COMPUTE_PGM_RSRC2:TGID_Z_EN: 0
; COMPUTE_PGM_RSRC2:TIDIG_COMP_CNT: 0
	.section	.text._ZN2at6native12_GLOBAL__N_124fused_dropout_kernel_vecIddjLi1ELi2EhEEvNS_4cuda6detail10TensorInfoIKT_T1_EENS5_IS6_S8_EENS5_IT4_S8_EES8_T0_NS_15PhiloxCudaStateE,"axG",@progbits,_ZN2at6native12_GLOBAL__N_124fused_dropout_kernel_vecIddjLi1ELi2EhEEvNS_4cuda6detail10TensorInfoIKT_T1_EENS5_IS6_S8_EENS5_IT4_S8_EES8_T0_NS_15PhiloxCudaStateE,comdat
	.globl	_ZN2at6native12_GLOBAL__N_124fused_dropout_kernel_vecIddjLi1ELi2EhEEvNS_4cuda6detail10TensorInfoIKT_T1_EENS5_IS6_S8_EENS5_IT4_S8_EES8_T0_NS_15PhiloxCudaStateE ; -- Begin function _ZN2at6native12_GLOBAL__N_124fused_dropout_kernel_vecIddjLi1ELi2EhEEvNS_4cuda6detail10TensorInfoIKT_T1_EENS5_IS6_S8_EENS5_IT4_S8_EES8_T0_NS_15PhiloxCudaStateE
	.p2align	8
	.type	_ZN2at6native12_GLOBAL__N_124fused_dropout_kernel_vecIddjLi1ELi2EhEEvNS_4cuda6detail10TensorInfoIKT_T1_EENS5_IS6_S8_EENS5_IT4_S8_EES8_T0_NS_15PhiloxCudaStateE,@function
_ZN2at6native12_GLOBAL__N_124fused_dropout_kernel_vecIddjLi1ELi2EhEEvNS_4cuda6detail10TensorInfoIKT_T1_EENS5_IS6_S8_EENS5_IT4_S8_EES8_T0_NS_15PhiloxCudaStateE: ; @_ZN2at6native12_GLOBAL__N_124fused_dropout_kernel_vecIddjLi1ELi2EhEEvNS_4cuda6detail10TensorInfoIKT_T1_EENS5_IS6_S8_EENS5_IT4_S8_EES8_T0_NS_15PhiloxCudaStateE
; %bb.0:
	s_clause 0x2
	s_load_b64 s[2:3], s[0:1], 0x2a0
	s_load_b128 s[4:7], s[0:1], 0x290
	s_load_b32 s8, s[0:1], 0x2b0
	s_waitcnt lgkmcnt(0)
	v_dual_mov_b32 v4, s3 :: v_dual_mov_b32 v3, s2
	v_dual_mov_b32 v9, s7 :: v_dual_mov_b32 v8, s6
	s_bitcmp0_b32 s8, 0
	s_cbranch_scc1 .LBB59_2
; %bb.1:
	v_dual_mov_b32 v1, s2 :: v_dual_mov_b32 v2, s3
	v_dual_mov_b32 v3, s6 :: v_dual_mov_b32 v4, s7
	s_load_b64 s[2:3], s[0:1], 0x2a8
	flat_load_b64 v[1:2], v[1:2]
	flat_load_b64 v[8:9], v[3:4]
	s_waitcnt vmcnt(1) lgkmcnt(0)
	v_add_co_u32 v3, vcc_lo, v1, s2
	v_add_co_ci_u32_e32 v4, vcc_lo, s3, v2, vcc_lo
.LBB59_2:
	s_clause 0x1
	s_load_b32 s6, s[0:1], 0x2c4
	s_load_b32 s10, s[0:1], 0x288
	s_add_u32 s2, s0, 0x2b8
	s_addc_u32 s3, s1, 0
	s_waitcnt lgkmcnt(0)
	s_and_b32 s11, s6, 0xffff
	s_mov_b32 s6, exec_lo
	v_mad_u64_u32 v[10:11], null, s15, s11, v[0:1]
	s_delay_alu instid0(VALU_DEP_1) | instskip(NEXT) | instid1(VALU_DEP_1)
	v_lshlrev_b32_e32 v11, 1, v10
	v_cmpx_gt_u32_e64 s10, v11
	s_cbranch_execz .LBB59_15
; %bb.3:
	v_div_scale_f64 v[0:1], null, s[4:5], s[4:5], 1.0
	v_div_scale_f64 v[14:15], vcc_lo, 1.0, s[4:5], 1.0
	v_alignbit_b32 v17, v4, v3, 2
	v_mad_u64_u32 v[21:22], null, 0xcd9e8d57, v10, 0
	v_lshrrev_b32_e32 v18, 2, v4
	s_waitcnt vmcnt(0)
	v_dual_mov_b32 v33, v9 :: v_dual_add_nc_u32 v36, 0x96a522ad, v9
	v_mad_u64_u32 v[23:24], null, 0xd2511f53, v17, 0
	v_add_co_u32 v20, null, 0x9e3779b9, v8
	v_xor3_b32 v2, v8, v22, v18
	s_delay_alu instid0(VALU_DEP_4) | instskip(SKIP_2) | instid1(VALU_DEP_4)
	v_add_co_u32 v19, null, 0xbb67ae85, v33
	v_add_co_u32 v22, null, 0x76cf5d0a, v33
	v_xor_b32_e32 v4, v24, v9
	v_mad_u64_u32 v[24:25], null, 0xd2511f53, v2, 0
	s_load_b32 s12, s[2:3], 0x0
	v_add_co_u32 v34, null, 0xf1bbcdc8, v8
	s_delay_alu instid0(VALU_DEP_3)
	v_mad_u64_u32 v[26:27], null, 0xcd9e8d57, v4, 0
	s_clause 0x2
	s_load_b64 s[2:3], s[0:1], 0x0
	s_load_b64 s[6:7], s[0:1], 0xd8
	;; [unrolled: 1-line block ×3, first 2 shown]
	v_xor3_b32 v2, v19, v25, v23
	v_add_co_u32 v23, null, 0x32370b8f, v33
	v_add_co_u32 v25, null, 0x78dde6e4, v8
	v_xor3_b32 v4, v27, v20, v21
	s_delay_alu instid0(VALU_DEP_4) | instskip(SKIP_2) | instid1(VALU_DEP_3)
	v_mad_u64_u32 v[27:28], null, 0xcd9e8d57, v2, 0
	v_add_co_u32 v21, null, 0x3c6ef372, v8
	v_rcp_f64_e32 v[5:6], v[0:1]
	v_mad_u64_u32 v[29:30], null, 0xd2511f53, v4, 0
	v_add_nc_u32_e32 v35, 0x8ff34781, v8
	s_delay_alu instid0(VALU_DEP_3)
	v_xor3_b32 v2, v21, v28, v26
	v_add_co_u32 v26, null, 0xed9eba14, v33
	v_add_co_u32 v28, null, 0xa9066899, v33
	v_xor3_b32 v4, v30, v22, v24
	v_add_co_u32 v24, null, 0xdaa66d2b, v8
	s_waitcnt lgkmcnt(0)
	s_mul_i32 s12, s12, s11
	s_mov_b32 s1, 0
	v_mad_u64_u32 v[30:31], null, 0xcd9e8d57, v4, 0
	s_lshl_b32 s11, s12, 1
	s_delay_alu instid0(VALU_DEP_1) | instskip(SKIP_1) | instid1(VALU_DEP_2)
	v_xor3_b32 v4, v31, v24, v27
	v_add_co_u32 v27, null, 0x1715609d, v8
	v_mad_u64_u32 v[31:32], null, 0xd2511f53, v4, 0
	s_delay_alu instid0(TRANS32_DEP_1) | instskip(NEXT) | instid1(VALU_DEP_1)
	v_fma_f64 v[12:13], -v[0:1], v[5:6], 1.0
	v_fma_f64 v[5:6], v[5:6], v[12:13], v[5:6]
	s_delay_alu instid0(VALU_DEP_1) | instskip(NEXT) | instid1(VALU_DEP_1)
	v_fma_f64 v[12:13], -v[0:1], v[5:6], 1.0
	v_fma_f64 v[5:6], v[5:6], v[12:13], v[5:6]
	s_delay_alu instid0(VALU_DEP_1) | instskip(NEXT) | instid1(VALU_DEP_1)
	v_mul_f64 v[12:13], v[14:15], v[5:6]
	v_fma_f64 v[0:1], -v[0:1], v[12:13], v[14:15]
	v_mad_u64_u32 v[14:15], null, 0xd2511f53, v2, 0
	s_delay_alu instid0(VALU_DEP_1) | instskip(NEXT) | instid1(VALU_DEP_2)
	v_xor3_b32 v2, v23, v15, v29
	v_xor3_b32 v7, v32, v26, v14
	v_add_co_u32 v29, null, 0x646e171e, v33
	v_add_co_u32 v32, null, 0x1fd5c5a3, v33
	s_delay_alu instid0(VALU_DEP_4) | instskip(SKIP_1) | instid1(VALU_DEP_2)
	v_mad_u64_u32 v[15:16], null, 0xcd9e8d57, v2, 0
	v_add_co_u32 v33, null, 0xdb3d7428, v33
	v_xor3_b32 v2, v25, v16, v30
	v_add_co_u32 v30, null, 0xb54cda56, v8
	v_div_fmas_f64 v[0:1], v[0:1], v[5:6], v[12:13]
	v_mad_u64_u32 v[4:5], null, 0xcd9e8d57, v7, 0
	s_delay_alu instid0(VALU_DEP_4) | instskip(NEXT) | instid1(VALU_DEP_2)
	v_mad_u64_u32 v[6:7], null, 0xd2511f53, v2, 0
	v_xor3_b32 v2, v5, v27, v15
	s_delay_alu instid0(VALU_DEP_2) | instskip(SKIP_1) | instid1(VALU_DEP_3)
	v_xor3_b32 v5, v28, v7, v31
	v_add_co_u32 v31, null, 0x5384540f, v8
	v_mad_u64_u32 v[12:13], null, 0xd2511f53, v2, 0
	s_delay_alu instid0(VALU_DEP_3) | instskip(NEXT) | instid1(VALU_DEP_2)
	v_mad_u64_u32 v[15:16], null, 0xcd9e8d57, v5, 0
	v_xor3_b32 v2, v13, v29, v6
	s_delay_alu instid0(VALU_DEP_2) | instskip(NEXT) | instid1(VALU_DEP_2)
	v_xor3_b32 v13, v30, v16, v4
	v_mad_u64_u32 v[4:5], null, 0xcd9e8d57, v2, 0
	s_delay_alu instid0(VALU_DEP_2) | instskip(NEXT) | instid1(VALU_DEP_1)
	v_mad_u64_u32 v[6:7], null, 0xd2511f53, v13, 0
	v_xor3_b32 v2, v32, v7, v12
	v_mov_b32_e32 v12, 0
	v_div_fixup_f64 v[13:14], v[0:1], s[4:5], 1.0
	v_xor3_b32 v0, v5, v31, v15
	s_delay_alu instid0(VALU_DEP_3) | instskip(NEXT) | instid1(VALU_DEP_2)
	v_dual_mov_b32 v38, v12 :: v_dual_and_b32 v37, 3, v3
	v_mad_u64_u32 v[15:16], null, 0xd2511f53, v0, 0
	v_mad_u64_u32 v[0:1], null, 0xcd9e8d57, v2, 0
	s_delay_alu instid0(VALU_DEP_2) | instskip(NEXT) | instid1(VALU_DEP_2)
	v_xor3_b32 v5, v16, v33, v6
	v_xor3_b32 v6, v34, v1, v4
	s_delay_alu instid0(VALU_DEP_2) | instskip(NEXT) | instid1(VALU_DEP_2)
	v_mad_u64_u32 v[1:2], null, 0xcd9e8d57, v5, 0
	v_mad_u64_u32 v[4:5], null, 0xd2511f53, v6, 0
	s_delay_alu instid0(VALU_DEP_2) | instskip(NEXT) | instid1(VALU_DEP_2)
	v_xor3_b32 v0, v0, v2, v35
	v_xor3_b32 v2, v5, v15, v36
	s_delay_alu instid0(VALU_DEP_3)
	v_mov_b32_e32 v3, v4
	s_branch .LBB59_6
.LBB59_4:                               ;   in Loop: Header=BB59_6 Depth=1
	s_or_b32 exec_lo, exec_lo, s12
.LBB59_5:                               ;   in Loop: Header=BB59_6 Depth=1
	s_delay_alu instid0(SALU_CYCLE_1)
	s_or_b32 exec_lo, exec_lo, s0
	v_lshlrev_b64 v[43:44], 3, v[11:12]
	v_cvt_f32_u32_e32 v0, v0
	v_cvt_f32_u32_e32 v1, v1
	v_mov_b32_e32 v45, v12
	v_mov_b32_e32 v47, v12
	v_add_co_u32 v2, vcc_lo, s2, v43
	v_add_co_ci_u32_e32 v3, vcc_lo, s3, v44, vcc_lo
	v_fmaak_f32 v0, 0x2f800000, v0, 0x2f800000
	global_load_b128 v[39:42], v[2:3], off
	v_fmaak_f32 v2, 0x2f800000, v1, 0x2f800000
	v_cvt_f64_f32_e32 v[0:1], v0
	s_delay_alu instid0(VALU_DEP_2) | instskip(NEXT) | instid1(VALU_DEP_2)
	v_cvt_f64_f32_e32 v[2:3], v2
	v_cmp_gt_f64_e32 vcc_lo, s[4:5], v[0:1]
	s_delay_alu instid0(VALU_DEP_2) | instskip(SKIP_2) | instid1(VALU_DEP_3)
	v_cmp_gt_f64_e64 s0, s[4:5], v[2:3]
	v_cndmask_b32_e64 v46, 0, 0x3ff00000, vcc_lo
	v_cndmask_b32_e64 v16, 0, 1, vcc_lo
	v_cndmask_b32_e64 v48, 0, 0x3ff00000, s0
	v_cndmask_b32_e64 v7, 0, 1, s0
	s_delay_alu instid0(VALU_DEP_1) | instskip(NEXT) | instid1(VALU_DEP_1)
	v_lshlrev_b16 v7, 8, v7
	v_or_b32_e32 v7, v16, v7
	s_waitcnt vmcnt(0)
	v_mul_f64 v[0:1], v[39:40], v[45:46]
	v_mul_f64 v[2:3], v[41:42], v[47:48]
	v_add_co_u32 v39, vcc_lo, s6, v43
	v_add_co_ci_u32_e32 v40, vcc_lo, s7, v44, vcc_lo
	s_delay_alu instid0(VALU_DEP_4) | instskip(NEXT) | instid1(VALU_DEP_4)
	v_mul_f64 v[0:1], v[13:14], v[0:1]
	v_mul_f64 v[2:3], v[13:14], v[2:3]
	global_store_b128 v[39:40], v[0:3], off
	global_store_b16 v11, v7, s[8:9]
	v_mov_b32_e32 v7, v15
	v_dual_mov_b32 v0, v4 :: v_dual_add_nc_u32 v11, s11, v11
	v_dual_mov_b32 v1, v5 :: v_dual_mov_b32 v2, v6
	s_delay_alu instid0(VALU_DEP_3) | instskip(NEXT) | instid1(VALU_DEP_3)
	v_mov_b32_e32 v3, v7
	v_cmp_le_u32_e32 vcc_lo, s10, v11
	s_waitcnt_vscnt null, 0x0
	s_barrier
	buffer_gl0_inv
	s_or_b32 s1, vcc_lo, s1
	s_delay_alu instid0(SALU_CYCLE_1)
	s_and_not1_b32 exec_lo, exec_lo, s1
	s_cbranch_execz .LBB59_15
.LBB59_6:                               ; =>This Inner Loop Header: Depth=1
	v_add_co_u32 v17, vcc_lo, v17, 1
	s_delay_alu instid0(VALU_DEP_1) | instskip(SKIP_2) | instid1(VALU_DEP_1)
	v_cndmask_b32_e64 v4, 0, 1, vcc_lo
	v_add_co_ci_u32_e32 v18, vcc_lo, 0, v18, vcc_lo
	s_mov_b32 s0, exec_lo
	v_cmp_eq_u32_e32 vcc_lo, 0, v18
	s_delay_alu instid0(VALU_DEP_3) | instskip(NEXT) | instid1(VALU_DEP_1)
	v_cndmask_b32_e32 v4, 0, v4, vcc_lo
	v_add_nc_u32_e32 v10, v4, v10
	s_delay_alu instid0(VALU_DEP_1) | instskip(SKIP_2) | instid1(VALU_DEP_2)
	v_cmp_eq_u32_e32 vcc_lo, 0, v10
	v_mad_u64_u32 v[6:7], null, 0xcd9e8d57, v10, 0
	v_cndmask_b32_e32 v4, 0, v4, vcc_lo
	v_xor3_b32 v7, v7, v8, v18
	s_delay_alu instid0(VALU_DEP_2) | instskip(SKIP_1) | instid1(VALU_DEP_3)
	v_add_nc_u32_e32 v38, v4, v38
	v_mad_u64_u32 v[4:5], null, 0xd2511f53, v17, 0
	v_mad_u64_u32 v[39:40], null, 0xd2511f53, v7, 0
	s_delay_alu instid0(VALU_DEP_2) | instskip(NEXT) | instid1(VALU_DEP_1)
	v_xor_b32_e32 v5, v5, v9
	v_xor_b32_e32 v5, v38, v5
	s_delay_alu instid0(VALU_DEP_1) | instskip(NEXT) | instid1(VALU_DEP_1)
	v_mad_u64_u32 v[15:16], null, 0xcd9e8d57, v5, 0
	v_xor3_b32 v6, v20, v16, v6
	v_xor3_b32 v16, v19, v40, v4
	s_delay_alu instid0(VALU_DEP_2) | instskip(NEXT) | instid1(VALU_DEP_2)
	v_mad_u64_u32 v[4:5], null, 0xd2511f53, v6, 0
	v_mad_u64_u32 v[6:7], null, 0xcd9e8d57, v16, 0
	s_delay_alu instid0(VALU_DEP_2) | instskip(NEXT) | instid1(VALU_DEP_2)
	v_xor3_b32 v5, v22, v5, v39
	v_xor3_b32 v7, v21, v7, v15
	s_delay_alu instid0(VALU_DEP_2) | instskip(NEXT) | instid1(VALU_DEP_2)
	v_mad_u64_u32 v[15:16], null, 0xcd9e8d57, v5, 0
	v_mad_u64_u32 v[39:40], null, 0xd2511f53, v7, 0
	s_delay_alu instid0(VALU_DEP_2) | instskip(NEXT) | instid1(VALU_DEP_2)
	;; [unrolled: 6-line block ×8, first 2 shown]
	v_xor3_b32 v4, v6, v4, v35
	v_xor3_b32 v6, v16, v40, v36
	v_cmpx_lt_i32_e32 1, v37
	s_xor_b32 s0, exec_lo, s0
	s_cbranch_execz .LBB59_12
; %bb.7:                                ;   in Loop: Header=BB59_6 Depth=1
	s_mov_b32 s12, exec_lo
	v_cmpx_lt_i32_e32 2, v37
	s_xor_b32 s12, exec_lo, s12
; %bb.8:                                ;   in Loop: Header=BB59_6 Depth=1
	v_dual_mov_b32 v0, v3 :: v_dual_mov_b32 v1, v4
; %bb.9:                                ;   in Loop: Header=BB59_6 Depth=1
	s_and_not1_saveexec_b32 s12, s12
; %bb.10:                               ;   in Loop: Header=BB59_6 Depth=1
	v_dual_mov_b32 v0, v2 :: v_dual_mov_b32 v1, v3
; %bb.11:                               ;   in Loop: Header=BB59_6 Depth=1
	s_or_b32 exec_lo, exec_lo, s12
.LBB59_12:                              ;   in Loop: Header=BB59_6 Depth=1
	s_and_not1_saveexec_b32 s0, s0
	s_cbranch_execz .LBB59_5
; %bb.13:                               ;   in Loop: Header=BB59_6 Depth=1
	s_mov_b32 s12, exec_lo
	v_cmpx_eq_u32_e32 1, v37
	s_cbranch_execz .LBB59_4
; %bb.14:                               ;   in Loop: Header=BB59_6 Depth=1
	v_dual_mov_b32 v0, v1 :: v_dual_mov_b32 v1, v2
	s_branch .LBB59_4
.LBB59_15:
	s_endpgm
	.section	.rodata,"a",@progbits
	.p2align	6, 0x0
	.amdhsa_kernel _ZN2at6native12_GLOBAL__N_124fused_dropout_kernel_vecIddjLi1ELi2EhEEvNS_4cuda6detail10TensorInfoIKT_T1_EENS5_IS6_S8_EENS5_IT4_S8_EES8_T0_NS_15PhiloxCudaStateE
		.amdhsa_group_segment_fixed_size 0
		.amdhsa_private_segment_fixed_size 0
		.amdhsa_kernarg_size 952
		.amdhsa_user_sgpr_count 15
		.amdhsa_user_sgpr_dispatch_ptr 0
		.amdhsa_user_sgpr_queue_ptr 0
		.amdhsa_user_sgpr_kernarg_segment_ptr 1
		.amdhsa_user_sgpr_dispatch_id 0
		.amdhsa_user_sgpr_private_segment_size 0
		.amdhsa_wavefront_size32 1
		.amdhsa_uses_dynamic_stack 0
		.amdhsa_enable_private_segment 0
		.amdhsa_system_sgpr_workgroup_id_x 1
		.amdhsa_system_sgpr_workgroup_id_y 0
		.amdhsa_system_sgpr_workgroup_id_z 0
		.amdhsa_system_sgpr_workgroup_info 0
		.amdhsa_system_vgpr_workitem_id 0
		.amdhsa_next_free_vgpr 49
		.amdhsa_next_free_sgpr 16
		.amdhsa_reserve_vcc 1
		.amdhsa_float_round_mode_32 0
		.amdhsa_float_round_mode_16_64 0
		.amdhsa_float_denorm_mode_32 3
		.amdhsa_float_denorm_mode_16_64 3
		.amdhsa_dx10_clamp 1
		.amdhsa_ieee_mode 1
		.amdhsa_fp16_overflow 0
		.amdhsa_workgroup_processor_mode 1
		.amdhsa_memory_ordered 1
		.amdhsa_forward_progress 0
		.amdhsa_shared_vgpr_count 0
		.amdhsa_exception_fp_ieee_invalid_op 0
		.amdhsa_exception_fp_denorm_src 0
		.amdhsa_exception_fp_ieee_div_zero 0
		.amdhsa_exception_fp_ieee_overflow 0
		.amdhsa_exception_fp_ieee_underflow 0
		.amdhsa_exception_fp_ieee_inexact 0
		.amdhsa_exception_int_div_zero 0
	.end_amdhsa_kernel
	.section	.text._ZN2at6native12_GLOBAL__N_124fused_dropout_kernel_vecIddjLi1ELi2EhEEvNS_4cuda6detail10TensorInfoIKT_T1_EENS5_IS6_S8_EENS5_IT4_S8_EES8_T0_NS_15PhiloxCudaStateE,"axG",@progbits,_ZN2at6native12_GLOBAL__N_124fused_dropout_kernel_vecIddjLi1ELi2EhEEvNS_4cuda6detail10TensorInfoIKT_T1_EENS5_IS6_S8_EENS5_IT4_S8_EES8_T0_NS_15PhiloxCudaStateE,comdat
.Lfunc_end59:
	.size	_ZN2at6native12_GLOBAL__N_124fused_dropout_kernel_vecIddjLi1ELi2EhEEvNS_4cuda6detail10TensorInfoIKT_T1_EENS5_IS6_S8_EENS5_IT4_S8_EES8_T0_NS_15PhiloxCudaStateE, .Lfunc_end59-_ZN2at6native12_GLOBAL__N_124fused_dropout_kernel_vecIddjLi1ELi2EhEEvNS_4cuda6detail10TensorInfoIKT_T1_EENS5_IS6_S8_EENS5_IT4_S8_EES8_T0_NS_15PhiloxCudaStateE
                                        ; -- End function
	.section	.AMDGPU.csdata,"",@progbits
; Kernel info:
; codeLenInByte = 1956
; NumSgprs: 18
; NumVgprs: 49
; ScratchSize: 0
; MemoryBound: 0
; FloatMode: 240
; IeeeMode: 1
; LDSByteSize: 0 bytes/workgroup (compile time only)
; SGPRBlocks: 2
; VGPRBlocks: 6
; NumSGPRsForWavesPerEU: 18
; NumVGPRsForWavesPerEU: 49
; Occupancy: 16
; WaveLimiterHint : 1
; COMPUTE_PGM_RSRC2:SCRATCH_EN: 0
; COMPUTE_PGM_RSRC2:USER_SGPR: 15
; COMPUTE_PGM_RSRC2:TRAP_HANDLER: 0
; COMPUTE_PGM_RSRC2:TGID_X_EN: 1
; COMPUTE_PGM_RSRC2:TGID_Y_EN: 0
; COMPUTE_PGM_RSRC2:TGID_Z_EN: 0
; COMPUTE_PGM_RSRC2:TIDIG_COMP_CNT: 0
	.section	.text._ZN2at6native12_GLOBAL__N_120fused_dropout_kernelIddjLi1ELi1EhEEvNS_4cuda6detail10TensorInfoIKT_T1_EENS5_IS6_S8_EENS5_IT4_S8_EES8_T0_NS_15PhiloxCudaStateE,"axG",@progbits,_ZN2at6native12_GLOBAL__N_120fused_dropout_kernelIddjLi1ELi1EhEEvNS_4cuda6detail10TensorInfoIKT_T1_EENS5_IS6_S8_EENS5_IT4_S8_EES8_T0_NS_15PhiloxCudaStateE,comdat
	.globl	_ZN2at6native12_GLOBAL__N_120fused_dropout_kernelIddjLi1ELi1EhEEvNS_4cuda6detail10TensorInfoIKT_T1_EENS5_IS6_S8_EENS5_IT4_S8_EES8_T0_NS_15PhiloxCudaStateE ; -- Begin function _ZN2at6native12_GLOBAL__N_120fused_dropout_kernelIddjLi1ELi1EhEEvNS_4cuda6detail10TensorInfoIKT_T1_EENS5_IS6_S8_EENS5_IT4_S8_EES8_T0_NS_15PhiloxCudaStateE
	.p2align	8
	.type	_ZN2at6native12_GLOBAL__N_120fused_dropout_kernelIddjLi1ELi1EhEEvNS_4cuda6detail10TensorInfoIKT_T1_EENS5_IS6_S8_EENS5_IT4_S8_EES8_T0_NS_15PhiloxCudaStateE,@function
_ZN2at6native12_GLOBAL__N_120fused_dropout_kernelIddjLi1ELi1EhEEvNS_4cuda6detail10TensorInfoIKT_T1_EENS5_IS6_S8_EENS5_IT4_S8_EES8_T0_NS_15PhiloxCudaStateE: ; @_ZN2at6native12_GLOBAL__N_120fused_dropout_kernelIddjLi1ELi1EhEEvNS_4cuda6detail10TensorInfoIKT_T1_EENS5_IS6_S8_EENS5_IT4_S8_EES8_T0_NS_15PhiloxCudaStateE
; %bb.0:
	s_clause 0x2
	s_load_b64 s[2:3], s[0:1], 0x2a0
	s_load_b128 s[4:7], s[0:1], 0x290
	s_load_b32 s8, s[0:1], 0x2b0
	s_waitcnt lgkmcnt(0)
	v_dual_mov_b32 v1, s2 :: v_dual_mov_b32 v2, s3
	v_dual_mov_b32 v21, s7 :: v_dual_mov_b32 v20, s6
	s_bitcmp0_b32 s8, 0
	s_cbranch_scc1 .LBB60_2
; %bb.1:
	v_dual_mov_b32 v1, s2 :: v_dual_mov_b32 v2, s3
	v_dual_mov_b32 v3, s6 :: v_dual_mov_b32 v4, s7
	s_load_b64 s[2:3], s[0:1], 0x2a8
	flat_load_b64 v[1:2], v[1:2]
	flat_load_b64 v[20:21], v[3:4]
	s_waitcnt vmcnt(1) lgkmcnt(0)
	v_add_co_u32 v1, vcc_lo, v1, s2
	v_add_co_ci_u32_e32 v2, vcc_lo, s3, v2, vcc_lo
.LBB60_2:
	s_clause 0x2
	s_load_b32 s2, s[0:1], 0x2c4
	s_load_b32 s3, s[0:1], 0x2b8
	;; [unrolled: 1-line block ×3, first 2 shown]
	s_waitcnt lgkmcnt(0)
	s_and_b32 s2, s2, 0xffff
	s_add_i32 s8, s13, -1
	s_mul_i32 s6, s3, s2
	s_mul_i32 s14, s15, s2
	s_lshl_b32 s12, s6, 2
	v_add_nc_u32_e32 v28, s14, v0
	v_cvt_f32_u32_e32 v3, s12
	s_sub_i32 s7, 0, s12
	s_delay_alu instid0(VALU_DEP_1) | instskip(SKIP_2) | instid1(VALU_DEP_1)
	v_rcp_iflag_f32_e32 v3, v3
	s_waitcnt_depctr 0xfff
	v_mul_f32_e32 v3, 0x4f7ffffe, v3
	v_cvt_u32_f32_e32 v3, v3
	s_delay_alu instid0(VALU_DEP_1) | instskip(NEXT) | instid1(VALU_DEP_1)
	v_readfirstlane_b32 s6, v3
	s_mul_i32 s7, s7, s6
	s_delay_alu instid0(SALU_CYCLE_1) | instskip(NEXT) | instid1(SALU_CYCLE_1)
	s_mul_hi_u32 s7, s6, s7
	s_add_i32 s6, s6, s7
	s_delay_alu instid0(SALU_CYCLE_1) | instskip(NEXT) | instid1(SALU_CYCLE_1)
	s_mul_hi_u32 s6, s8, s6
	s_mul_i32 s7, s6, s12
	s_delay_alu instid0(SALU_CYCLE_1)
	s_sub_i32 s7, s8, s7
	s_add_i32 s8, s6, 1
	s_sub_i32 s9, s7, s12
	s_cmp_ge_u32 s7, s12
	s_cselect_b32 s6, s8, s6
	s_cselect_b32 s7, s9, s7
	s_add_i32 s8, s6, 1
	s_cmp_ge_u32 s7, s12
	s_cselect_b32 s6, s8, s6
	s_delay_alu instid0(SALU_CYCLE_1) | instskip(NEXT) | instid1(SALU_CYCLE_1)
	s_add_i32 s6, s6, 1
	s_mul_i32 s16, s12, s6
	s_mov_b32 s6, exec_lo
	v_cmpx_gt_u32_e64 s16, v28
	s_cbranch_execz .LBB60_31
; %bb.3:
	v_div_scale_f64 v[3:4], null, s[4:5], s[4:5], 1.0
	v_div_scale_f64 v[9:10], vcc_lo, 1.0, s[4:5], 1.0
	v_alignbit_b32 v29, v2, v1, 2
	v_lshrrev_b32_e32 v30, 2, v2
	s_waitcnt vmcnt(0)
	v_dual_mov_b32 v22, v21 :: v_dual_add_nc_u32 v47, 0x8ff34781, v20
	v_add_co_u32 v32, null, 0x9e3779b9, v20
	v_mad_u64_u32 v[11:12], null, 0xd2511f53, v29, 0
	s_delay_alu instid0(VALU_DEP_3)
	v_add_co_u32 v31, null, 0xbb67ae85, v22
	v_add_co_u32 v33, null, 0x3c6ef372, v20
	;; [unrolled: 1-line block ×13, first 2 shown]
	v_rcp_f64_e32 v[5:6], v[3:4]
	v_add_co_u32 v43, null, 0x5384540f, v20
	s_clause 0x3
	s_load_b32 s20, s[0:1], 0x144
	s_load_b64 s[10:11], s[0:1], 0x1b0
	s_load_b64 s[8:9], s[0:1], 0xd8
	s_load_b32 s21, s[0:1], 0x6c
	v_add_co_u32 v46, null, 0xf1bbcdc8, v20
	s_load_b64 s[6:7], s[0:1], 0x0
	s_lshl_b32 s1, s3, 1
	v_dual_mov_b32 v25, 0 :: v_dual_add_nc_u32 v48, 0x96a522ad, v21
	s_add_i32 s18, s15, s1
	s_mul_i32 s1, s3, 3
	s_mul_i32 s18, s18, s2
	s_add_i32 s19, s15, s1
	s_add_i32 s15, s15, s3
	s_mul_i32 s19, s19, s2
	s_mul_i32 s15, s15, s2
	s_mov_b32 s17, 0
	s_mov_b32 s22, 0
	;; [unrolled: 1-line block ×3, first 2 shown]
	v_mov_b32_e32 v58, 0
	s_waitcnt lgkmcnt(0)
	v_mul_lo_u32 v50, s20, v28
	s_mul_i32 s0, s3, s20
	v_mul_lo_u32 v51, s21, v28
	s_mul_i32 s1, s3, s21
	s_mul_i32 s0, s0, s2
	;; [unrolled: 1-line block ×3, first 2 shown]
	s_delay_alu instid0(TRANS32_DEP_1) | instskip(NEXT) | instid1(VALU_DEP_1)
	v_fma_f64 v[7:8], -v[3:4], v[5:6], 1.0
	v_fma_f64 v[5:6], v[5:6], v[7:8], v[5:6]
	s_delay_alu instid0(VALU_DEP_1) | instskip(NEXT) | instid1(VALU_DEP_1)
	v_fma_f64 v[7:8], -v[3:4], v[5:6], 1.0
	v_fma_f64 v[5:6], v[5:6], v[7:8], v[5:6]
	v_mad_u64_u32 v[7:8], null, 0xcd9e8d57, v28, 0
	s_delay_alu instid0(VALU_DEP_1) | instskip(SKIP_1) | instid1(VALU_DEP_2)
	v_xor3_b32 v2, v20, v8, v30
	v_xor_b32_e32 v8, v12, v21
	v_mad_u64_u32 v[12:13], null, 0xd2511f53, v2, 0
	s_delay_alu instid0(VALU_DEP_2) | instskip(NEXT) | instid1(VALU_DEP_2)
	v_mad_u64_u32 v[14:15], null, 0xcd9e8d57, v8, 0
	v_xor3_b32 v2, v31, v13, v11
	s_delay_alu instid0(VALU_DEP_2) | instskip(NEXT) | instid1(VALU_DEP_2)
	v_xor3_b32 v11, v15, v32, v7
	v_mad_u64_u32 v[7:8], null, 0xcd9e8d57, v2, 0
	s_delay_alu instid0(VALU_DEP_2) | instskip(NEXT) | instid1(VALU_DEP_2)
	v_mad_u64_u32 v[18:19], null, 0xd2511f53, v11, 0
	v_xor3_b32 v2, v33, v8, v14
	s_delay_alu instid0(VALU_DEP_2) | instskip(SKIP_1) | instid1(VALU_DEP_3)
	v_xor3_b32 v8, v19, v34, v12
	v_mul_f64 v[16:17], v[9:10], v[5:6]
	v_mad_u64_u32 v[11:12], null, 0xd2511f53, v2, 0
	s_delay_alu instid0(VALU_DEP_3) | instskip(NEXT) | instid1(VALU_DEP_2)
	v_mad_u64_u32 v[13:14], null, 0xcd9e8d57, v8, 0
	v_xor3_b32 v12, v35, v12, v18
	s_delay_alu instid0(VALU_DEP_2) | instskip(NEXT) | instid1(VALU_DEP_2)
	v_xor3_b32 v14, v14, v36, v7
	v_mad_u64_u32 v[7:8], null, 0xcd9e8d57, v12, 0
	v_fma_f64 v[2:3], -v[3:4], v[16:17], v[9:10]
	s_delay_alu instid0(VALU_DEP_3) | instskip(NEXT) | instid1(VALU_DEP_3)
	v_mad_u64_u32 v[9:10], null, 0xd2511f53, v14, 0
	v_xor3_b32 v4, v37, v8, v13
	s_delay_alu instid0(VALU_DEP_2) | instskip(NEXT) | instid1(VALU_DEP_2)
	v_xor3_b32 v8, v10, v38, v11
	v_mad_u64_u32 v[10:11], null, 0xd2511f53, v4, 0
	s_delay_alu instid0(VALU_DEP_2) | instskip(NEXT) | instid1(VALU_DEP_2)
	v_mad_u64_u32 v[12:13], null, 0xcd9e8d57, v8, 0
	v_xor3_b32 v4, v39, v11, v9
	s_delay_alu instid0(VALU_DEP_2) | instskip(NEXT) | instid1(VALU_DEP_2)
	v_xor3_b32 v9, v13, v40, v7
	v_mad_u64_u32 v[7:8], null, 0xcd9e8d57, v4, 0
	s_delay_alu instid0(VALU_DEP_2) | instskip(SKIP_1) | instid1(VALU_DEP_2)
	v_mad_u64_u32 v[13:14], null, 0xd2511f53, v9, 0
	v_div_fmas_f64 v[2:3], v[2:3], v[5:6], v[16:17]
	v_xor3_b32 v6, v14, v41, v10
	s_delay_alu instid0(VALU_DEP_4) | instskip(NEXT) | instid1(VALU_DEP_2)
	v_xor3_b32 v10, v42, v8, v12
	v_mad_u64_u32 v[4:5], null, 0xcd9e8d57, v6, 0
	s_delay_alu instid0(VALU_DEP_2) | instskip(NEXT) | instid1(VALU_DEP_2)
	v_mad_u64_u32 v[8:9], null, 0xd2511f53, v10, 0
	v_xor3_b32 v7, v5, v43, v7
	s_delay_alu instid0(VALU_DEP_2) | instskip(NEXT) | instid1(VALU_DEP_2)
	v_xor3_b32 v11, v44, v9, v13
	v_mad_u64_u32 v[5:6], null, 0xd2511f53, v7, 0
	s_delay_alu instid0(VALU_DEP_2) | instskip(NEXT) | instid1(VALU_DEP_2)
	v_mad_u64_u32 v[9:10], null, 0xcd9e8d57, v11, 0
	v_xor3_b32 v6, v6, v45, v8
	s_delay_alu instid0(VALU_DEP_2) | instskip(NEXT) | instid1(VALU_DEP_2)
	v_xor3_b32 v4, v46, v10, v4
	v_mad_u64_u32 v[10:11], null, 0xcd9e8d57, v6, 0
	s_delay_alu instid0(VALU_DEP_2)
	v_mad_u64_u32 v[6:7], null, 0xd2511f53, v4, 0
	v_and_b32_e32 v49, 3, v1
	v_add_nc_u32_e32 v1, s18, v0
	v_div_fixup_f64 v[22:23], v[2:3], s[4:5], 1.0
	v_add_nc_u32_e32 v2, s19, v0
	v_add_nc_u32_e32 v3, s15, v0
	v_xor3_b32 v9, v9, v11, v47
	v_mul_lo_u32 v52, s21, v1
	v_mul_lo_u32 v53, s20, v1
	;; [unrolled: 1-line block ×6, first 2 shown]
	v_xor3_b32 v11, v7, v5, v48
	v_mov_b32_e32 v12, v6
	s_lshl_b32 s20, s0, 2
	s_lshl_b32 s21, s1, 2
                                        ; implicit-def: $vgpr1_vgpr2_vgpr3_vgpr4_vgpr5_vgpr6_vgpr7_vgpr8
	s_branch .LBB60_5
.LBB60_4:                               ;   in Loop: Header=BB60_5 Depth=1
	s_or_b32 exec_lo, exec_lo, s1
	v_mov_b32_e32 v16, v26
	v_add_nc_u32_e32 v0, s12, v0
	s_add_i32 s23, s23, s20
	s_add_i32 s22, s22, s21
	s_waitcnt vmcnt(0)
	s_waitcnt_vscnt null, 0x0
	s_barrier
	v_add_nc_u32_e32 v9, s14, v0
	buffer_gl0_inv
	v_cmp_le_u32_e32 vcc_lo, s16, v9
	v_dual_mov_b32 v9, v13 :: v_dual_mov_b32 v10, v14
	v_dual_mov_b32 v11, v15 :: v_dual_mov_b32 v12, v16
	s_or_b32 s17, vcc_lo, s17
	s_delay_alu instid0(SALU_CYCLE_1)
	s_and_not1_b32 exec_lo, exec_lo, s17
	s_cbranch_execz .LBB60_31
.LBB60_5:                               ; =>This Inner Loop Header: Depth=1
	v_add_co_u32 v29, vcc_lo, v29, 1
	s_delay_alu instid0(VALU_DEP_1) | instskip(SKIP_2) | instid1(VALU_DEP_1)
	v_cndmask_b32_e64 v13, 0, 1, vcc_lo
	v_add_co_ci_u32_e32 v30, vcc_lo, 0, v30, vcc_lo
	s_mov_b32 s0, exec_lo
	v_cmp_eq_u32_e32 vcc_lo, 0, v30
	s_delay_alu instid0(VALU_DEP_3) | instskip(NEXT) | instid1(VALU_DEP_1)
	v_cndmask_b32_e32 v13, 0, v13, vcc_lo
	v_add_nc_u32_e32 v28, v13, v28
	s_delay_alu instid0(VALU_DEP_1) | instskip(SKIP_2) | instid1(VALU_DEP_2)
	v_cmp_eq_u32_e32 vcc_lo, 0, v28
	v_cndmask_b32_e32 v13, 0, v13, vcc_lo
	v_mad_u64_u32 v[15:16], null, 0xcd9e8d57, v28, 0
	v_add_nc_u32_e32 v58, v13, v58
	v_mad_u64_u32 v[13:14], null, 0xd2511f53, v29, 0
	s_delay_alu instid0(VALU_DEP_3) | instskip(NEXT) | instid1(VALU_DEP_2)
	v_xor3_b32 v18, v16, v20, v30
	v_xor_b32_e32 v14, v14, v21
	s_delay_alu instid0(VALU_DEP_2) | instskip(NEXT) | instid1(VALU_DEP_2)
	v_mad_u64_u32 v[16:17], null, 0xd2511f53, v18, 0
	v_xor_b32_e32 v14, v58, v14
	s_delay_alu instid0(VALU_DEP_2) | instskip(NEXT) | instid1(VALU_DEP_2)
	v_xor3_b32 v17, v31, v17, v13
	v_mad_u64_u32 v[18:19], null, 0xcd9e8d57, v14, 0
	s_delay_alu instid0(VALU_DEP_2) | instskip(NEXT) | instid1(VALU_DEP_2)
	v_mad_u64_u32 v[13:14], null, 0xcd9e8d57, v17, 0
	v_xor3_b32 v15, v32, v19, v15
	s_delay_alu instid0(VALU_DEP_2) | instskip(NEXT) | instid1(VALU_DEP_2)
	v_xor3_b32 v17, v33, v14, v18
	v_mad_u64_u32 v[26:27], null, 0xd2511f53, v15, 0
	s_delay_alu instid0(VALU_DEP_2) | instskip(NEXT) | instid1(VALU_DEP_2)
	v_mad_u64_u32 v[14:15], null, 0xd2511f53, v17, 0
	v_xor3_b32 v18, v34, v27, v16
	s_delay_alu instid0(VALU_DEP_2) | instskip(NEXT) | instid1(VALU_DEP_2)
	v_xor3_b32 v15, v35, v15, v26
	v_mad_u64_u32 v[16:17], null, 0xcd9e8d57, v18, 0
	s_delay_alu instid0(VALU_DEP_1) | instskip(NEXT) | instid1(VALU_DEP_3)
	v_xor3_b32 v13, v36, v17, v13
	v_mad_u64_u32 v[17:18], null, 0xcd9e8d57, v15, 0
	s_delay_alu instid0(VALU_DEP_2) | instskip(NEXT) | instid1(VALU_DEP_2)
	v_mad_u64_u32 v[26:27], null, 0xd2511f53, v13, 0
	v_xor3_b32 v15, v37, v18, v16
	s_delay_alu instid0(VALU_DEP_2) | instskip(NEXT) | instid1(VALU_DEP_2)
	v_xor3_b32 v18, v38, v27, v14
	v_mad_u64_u32 v[13:14], null, 0xd2511f53, v15, 0
	s_delay_alu instid0(VALU_DEP_2) | instskip(NEXT) | instid1(VALU_DEP_2)
	v_mad_u64_u32 v[15:16], null, 0xcd9e8d57, v18, 0
	v_xor3_b32 v14, v39, v14, v26
	s_delay_alu instid0(VALU_DEP_2) | instskip(NEXT) | instid1(VALU_DEP_2)
	;; [unrolled: 6-line block ×6, first 2 shown]
	v_xor3_b32 v13, v15, v16, v47
	v_mov_b32_e32 v15, v19
	v_cmpx_lt_i32_e32 1, v49
	s_xor_b32 s0, exec_lo, s0
	s_cbranch_execz .LBB60_11
; %bb.6:                                ;   in Loop: Header=BB60_5 Depth=1
	s_mov_b32 s1, exec_lo
	v_cmpx_lt_i32_e32 2, v49
	s_xor_b32 s1, exec_lo, s1
; %bb.7:                                ;   in Loop: Header=BB60_5 Depth=1
	v_dual_mov_b32 v16, v12 :: v_dual_mov_b32 v17, v13
	v_mov_b32_e32 v18, v14
	s_delay_alu instid0(VALU_DEP_2) | instskip(NEXT) | instid1(VALU_DEP_2)
	v_dual_mov_b32 v9, v16 :: v_dual_mov_b32 v10, v17
	v_dual_mov_b32 v11, v18 :: v_dual_mov_b32 v12, v19
; %bb.8:                                ;   in Loop: Header=BB60_5 Depth=1
	s_and_not1_saveexec_b32 s1, s1
; %bb.9:                                ;   in Loop: Header=BB60_5 Depth=1
	s_delay_alu instid0(VALU_DEP_1)
	v_dual_mov_b32 v9, v11 :: v_dual_mov_b32 v10, v12
	v_dual_mov_b32 v11, v13 :: v_dual_mov_b32 v12, v14
; %bb.10:                               ;   in Loop: Header=BB60_5 Depth=1
	s_or_b32 exec_lo, exec_lo, s1
.LBB60_11:                              ;   in Loop: Header=BB60_5 Depth=1
	s_and_not1_saveexec_b32 s0, s0
	s_cbranch_execz .LBB60_15
; %bb.12:                               ;   in Loop: Header=BB60_5 Depth=1
	s_mov_b32 s1, exec_lo
	v_cmpx_eq_u32_e32 1, v49
; %bb.13:                               ;   in Loop: Header=BB60_5 Depth=1
	v_dual_mov_b32 v9, v10 :: v_dual_mov_b32 v10, v11
	v_dual_mov_b32 v11, v12 :: v_dual_mov_b32 v12, v13
; %bb.14:                               ;   in Loop: Header=BB60_5 Depth=1
	s_or_b32 exec_lo, exec_lo, s1
.LBB60_15:                              ;   in Loop: Header=BB60_5 Depth=1
	s_delay_alu instid0(SALU_CYCLE_1) | instskip(SKIP_1) | instid1(VALU_DEP_1)
	s_or_b32 exec_lo, exec_lo, s0
	v_add_nc_u32_e32 v16, s14, v0
	v_cmp_gt_u32_e64 s2, s13, v16
	s_delay_alu instid0(VALU_DEP_1)
	s_and_saveexec_b32 s0, s2
	s_cbranch_execz .LBB60_17
; %bb.16:                               ;   in Loop: Header=BB60_5 Depth=1
	v_add_nc_u32_e32 v24, s22, v51
	s_delay_alu instid0(VALU_DEP_1) | instskip(NEXT) | instid1(VALU_DEP_1)
	v_lshlrev_b64 v[1:2], 3, v[24:25]
	v_add_co_u32 v1, vcc_lo, s6, v1
	s_delay_alu instid0(VALU_DEP_2)
	v_add_co_ci_u32_e32 v2, vcc_lo, s7, v2, vcc_lo
	global_load_b64 v[1:2], v[1:2], off
.LBB60_17:                              ;   in Loop: Header=BB60_5 Depth=1
	s_or_b32 exec_lo, exec_lo, s0
	v_add_nc_u32_e32 v16, s15, v0
	s_delay_alu instid0(VALU_DEP_1) | instskip(NEXT) | instid1(VALU_DEP_1)
	v_cmp_gt_u32_e64 s1, s13, v16
	s_and_saveexec_b32 s0, s1
	s_cbranch_execz .LBB60_19
; %bb.18:                               ;   in Loop: Header=BB60_5 Depth=1
	v_add_nc_u32_e32 v24, s22, v57
	s_delay_alu instid0(VALU_DEP_1) | instskip(NEXT) | instid1(VALU_DEP_1)
	v_lshlrev_b64 v[3:4], 3, v[24:25]
	v_add_co_u32 v3, vcc_lo, s6, v3
	s_delay_alu instid0(VALU_DEP_2)
	v_add_co_ci_u32_e32 v4, vcc_lo, s7, v4, vcc_lo
	global_load_b64 v[3:4], v[3:4], off
.LBB60_19:                              ;   in Loop: Header=BB60_5 Depth=1
	s_or_b32 exec_lo, exec_lo, s0
	v_add_nc_u32_e32 v16, s18, v0
	s_delay_alu instid0(VALU_DEP_1) | instskip(NEXT) | instid1(VALU_DEP_1)
	v_cmp_gt_u32_e64 s0, s13, v16
	s_and_saveexec_b32 s3, s0
	s_cbranch_execz .LBB60_21
; %bb.20:                               ;   in Loop: Header=BB60_5 Depth=1
	v_add_nc_u32_e32 v24, s22, v52
	s_delay_alu instid0(VALU_DEP_1) | instskip(NEXT) | instid1(VALU_DEP_1)
	v_lshlrev_b64 v[5:6], 3, v[24:25]
	v_add_co_u32 v5, vcc_lo, s6, v5
	s_delay_alu instid0(VALU_DEP_2)
	v_add_co_ci_u32_e32 v6, vcc_lo, s7, v6, vcc_lo
	global_load_b64 v[5:6], v[5:6], off
.LBB60_21:                              ;   in Loop: Header=BB60_5 Depth=1
	s_or_b32 exec_lo, exec_lo, s3
	v_add_nc_u32_e32 v16, s19, v0
	s_delay_alu instid0(VALU_DEP_1)
	v_cmp_gt_u32_e32 vcc_lo, s13, v16
	s_and_saveexec_b32 s24, vcc_lo
	s_cbranch_execnz .LBB60_26
; %bb.22:                               ;   in Loop: Header=BB60_5 Depth=1
	s_or_b32 exec_lo, exec_lo, s24
	s_and_saveexec_b32 s24, s2
	s_cbranch_execnz .LBB60_27
.LBB60_23:                              ;   in Loop: Header=BB60_5 Depth=1
	s_or_b32 exec_lo, exec_lo, s24
	s_and_saveexec_b32 s3, s1
	s_cbranch_execnz .LBB60_28
.LBB60_24:                              ;   in Loop: Header=BB60_5 Depth=1
	s_or_b32 exec_lo, exec_lo, s3
	s_and_saveexec_b32 s2, s0
	s_cbranch_execnz .LBB60_29
.LBB60_25:                              ;   in Loop: Header=BB60_5 Depth=1
	s_or_b32 exec_lo, exec_lo, s2
	s_and_saveexec_b32 s1, vcc_lo
	s_cbranch_execz .LBB60_4
	s_branch .LBB60_30
.LBB60_26:                              ;   in Loop: Header=BB60_5 Depth=1
	v_add_nc_u32_e32 v24, s22, v54
	s_delay_alu instid0(VALU_DEP_1) | instskip(NEXT) | instid1(VALU_DEP_1)
	v_lshlrev_b64 v[7:8], 3, v[24:25]
	v_add_co_u32 v7, s3, s6, v7
	s_delay_alu instid0(VALU_DEP_1)
	v_add_co_ci_u32_e64 v8, s3, s7, v8, s3
	global_load_b64 v[7:8], v[7:8], off
	s_or_b32 exec_lo, exec_lo, s24
	s_and_saveexec_b32 s24, s2
	s_cbranch_execz .LBB60_23
.LBB60_27:                              ;   in Loop: Header=BB60_5 Depth=1
	v_cvt_f32_u32_e32 v9, v9
	v_add_nc_u32_e32 v24, s23, v50
	s_delay_alu instid0(VALU_DEP_2) | instskip(NEXT) | instid1(VALU_DEP_1)
	v_dual_mov_b32 v18, v25 :: v_dual_fmaak_f32 v9, 0x2f800000, v9, 0x2f800000
	v_cvt_f64_f32_e32 v[16:17], v9
	s_delay_alu instid0(VALU_DEP_1) | instskip(NEXT) | instid1(VALU_DEP_1)
	v_cmp_gt_f64_e64 s2, s[4:5], v[16:17]
	v_cndmask_b32_e64 v19, 0, 0x3ff00000, s2
	v_cndmask_b32_e64 v9, 0, 1, s2
	s_waitcnt vmcnt(0)
	s_delay_alu instid0(VALU_DEP_2) | instskip(SKIP_1) | instid1(VALU_DEP_1)
	v_mul_f64 v[16:17], v[1:2], v[18:19]
	v_lshlrev_b64 v[18:19], 3, v[24:25]
	v_add_co_u32 v18, s3, s8, v18
	s_delay_alu instid0(VALU_DEP_1) | instskip(NEXT) | instid1(VALU_DEP_4)
	v_add_co_ci_u32_e64 v19, s3, s9, v19, s3
	v_mul_f64 v[16:17], v[22:23], v[16:17]
	global_store_b64 v[18:19], v[16:17], off
	global_store_b8 v24, v9, s[10:11]
	s_or_b32 exec_lo, exec_lo, s24
	s_and_saveexec_b32 s3, s1
	s_cbranch_execz .LBB60_24
.LBB60_28:                              ;   in Loop: Header=BB60_5 Depth=1
	v_cvt_f32_u32_e32 v9, v10
	v_add_nc_u32_e32 v24, s23, v56
	s_delay_alu instid0(VALU_DEP_2) | instskip(NEXT) | instid1(VALU_DEP_1)
	v_dual_mov_b32 v16, v25 :: v_dual_fmaak_f32 v9, 0x2f800000, v9, 0x2f800000
	v_cvt_f64_f32_e32 v[9:10], v9
	s_delay_alu instid0(VALU_DEP_1) | instskip(NEXT) | instid1(VALU_DEP_1)
	v_cmp_gt_f64_e64 s1, s[4:5], v[9:10]
	v_cndmask_b32_e64 v17, 0, 0x3ff00000, s1
	v_cndmask_b32_e64 v18, 0, 1, s1
	s_waitcnt vmcnt(0)
	s_delay_alu instid0(VALU_DEP_2) | instskip(SKIP_1) | instid1(VALU_DEP_1)
	v_mul_f64 v[9:10], v[3:4], v[16:17]
	v_lshlrev_b64 v[16:17], 3, v[24:25]
	v_add_co_u32 v16, s2, s8, v16
	s_delay_alu instid0(VALU_DEP_1) | instskip(NEXT) | instid1(VALU_DEP_4)
	v_add_co_ci_u32_e64 v17, s2, s9, v17, s2
	v_mul_f64 v[9:10], v[22:23], v[9:10]
	global_store_b64 v[16:17], v[9:10], off
	global_store_b8 v24, v18, s[10:11]
	s_or_b32 exec_lo, exec_lo, s3
	s_and_saveexec_b32 s2, s0
	s_cbranch_execz .LBB60_25
.LBB60_29:                              ;   in Loop: Header=BB60_5 Depth=1
	v_cvt_f32_u32_e32 v9, v11
	v_add_nc_u32_e32 v24, s23, v53
	s_delay_alu instid0(VALU_DEP_2) | instskip(NEXT) | instid1(VALU_DEP_1)
	v_dual_mov_b32 v16, v25 :: v_dual_fmaak_f32 v9, 0x2f800000, v9, 0x2f800000
	v_cvt_f64_f32_e32 v[9:10], v9
	s_delay_alu instid0(VALU_DEP_1) | instskip(NEXT) | instid1(VALU_DEP_1)
	v_cmp_gt_f64_e64 s0, s[4:5], v[9:10]
	v_cndmask_b32_e64 v17, 0, 0x3ff00000, s0
	v_cndmask_b32_e64 v11, 0, 1, s0
	s_waitcnt vmcnt(0)
	s_delay_alu instid0(VALU_DEP_2) | instskip(SKIP_1) | instid1(VALU_DEP_1)
	v_mul_f64 v[9:10], v[5:6], v[16:17]
	v_lshlrev_b64 v[16:17], 3, v[24:25]
	v_add_co_u32 v16, s1, s8, v16
	s_delay_alu instid0(VALU_DEP_1) | instskip(NEXT) | instid1(VALU_DEP_4)
	v_add_co_ci_u32_e64 v17, s1, s9, v17, s1
	v_mul_f64 v[9:10], v[22:23], v[9:10]
	global_store_b64 v[16:17], v[9:10], off
	global_store_b8 v24, v11, s[10:11]
	s_or_b32 exec_lo, exec_lo, s2
	s_and_saveexec_b32 s1, vcc_lo
	s_cbranch_execz .LBB60_4
.LBB60_30:                              ;   in Loop: Header=BB60_5 Depth=1
	v_cvt_f32_u32_e32 v9, v12
	v_dual_mov_b32 v11, v25 :: v_dual_add_nc_u32 v24, s23, v55
	s_delay_alu instid0(VALU_DEP_2) | instskip(NEXT) | instid1(VALU_DEP_1)
	v_fmaak_f32 v9, 0x2f800000, v9, 0x2f800000
	v_cvt_f64_f32_e32 v[9:10], v9
	s_delay_alu instid0(VALU_DEP_1) | instskip(SKIP_3) | instid1(VALU_DEP_2)
	v_cmp_gt_f64_e32 vcc_lo, s[4:5], v[9:10]
	v_cndmask_b32_e64 v12, 0, 0x3ff00000, vcc_lo
	v_cndmask_b32_e64 v16, 0, 1, vcc_lo
	s_waitcnt vmcnt(0)
	v_mul_f64 v[9:10], v[7:8], v[11:12]
	v_lshlrev_b64 v[11:12], 3, v[24:25]
	s_delay_alu instid0(VALU_DEP_1) | instskip(NEXT) | instid1(VALU_DEP_1)
	v_add_co_u32 v11, s0, s8, v11
	v_add_co_ci_u32_e64 v12, s0, s9, v12, s0
	s_delay_alu instid0(VALU_DEP_4)
	v_mul_f64 v[9:10], v[22:23], v[9:10]
	global_store_b64 v[11:12], v[9:10], off
	global_store_b8 v24, v16, s[10:11]
	s_branch .LBB60_4
.LBB60_31:
	s_endpgm
	.section	.rodata,"a",@progbits
	.p2align	6, 0x0
	.amdhsa_kernel _ZN2at6native12_GLOBAL__N_120fused_dropout_kernelIddjLi1ELi1EhEEvNS_4cuda6detail10TensorInfoIKT_T1_EENS5_IS6_S8_EENS5_IT4_S8_EES8_T0_NS_15PhiloxCudaStateE
		.amdhsa_group_segment_fixed_size 0
		.amdhsa_private_segment_fixed_size 0
		.amdhsa_kernarg_size 952
		.amdhsa_user_sgpr_count 15
		.amdhsa_user_sgpr_dispatch_ptr 0
		.amdhsa_user_sgpr_queue_ptr 0
		.amdhsa_user_sgpr_kernarg_segment_ptr 1
		.amdhsa_user_sgpr_dispatch_id 0
		.amdhsa_user_sgpr_private_segment_size 0
		.amdhsa_wavefront_size32 1
		.amdhsa_uses_dynamic_stack 0
		.amdhsa_enable_private_segment 0
		.amdhsa_system_sgpr_workgroup_id_x 1
		.amdhsa_system_sgpr_workgroup_id_y 0
		.amdhsa_system_sgpr_workgroup_id_z 0
		.amdhsa_system_sgpr_workgroup_info 0
		.amdhsa_system_vgpr_workitem_id 0
		.amdhsa_next_free_vgpr 59
		.amdhsa_next_free_sgpr 25
		.amdhsa_reserve_vcc 1
		.amdhsa_float_round_mode_32 0
		.amdhsa_float_round_mode_16_64 0
		.amdhsa_float_denorm_mode_32 3
		.amdhsa_float_denorm_mode_16_64 3
		.amdhsa_dx10_clamp 1
		.amdhsa_ieee_mode 1
		.amdhsa_fp16_overflow 0
		.amdhsa_workgroup_processor_mode 1
		.amdhsa_memory_ordered 1
		.amdhsa_forward_progress 0
		.amdhsa_shared_vgpr_count 0
		.amdhsa_exception_fp_ieee_invalid_op 0
		.amdhsa_exception_fp_denorm_src 0
		.amdhsa_exception_fp_ieee_div_zero 0
		.amdhsa_exception_fp_ieee_overflow 0
		.amdhsa_exception_fp_ieee_underflow 0
		.amdhsa_exception_fp_ieee_inexact 0
		.amdhsa_exception_int_div_zero 0
	.end_amdhsa_kernel
	.section	.text._ZN2at6native12_GLOBAL__N_120fused_dropout_kernelIddjLi1ELi1EhEEvNS_4cuda6detail10TensorInfoIKT_T1_EENS5_IS6_S8_EENS5_IT4_S8_EES8_T0_NS_15PhiloxCudaStateE,"axG",@progbits,_ZN2at6native12_GLOBAL__N_120fused_dropout_kernelIddjLi1ELi1EhEEvNS_4cuda6detail10TensorInfoIKT_T1_EENS5_IS6_S8_EENS5_IT4_S8_EES8_T0_NS_15PhiloxCudaStateE,comdat
.Lfunc_end60:
	.size	_ZN2at6native12_GLOBAL__N_120fused_dropout_kernelIddjLi1ELi1EhEEvNS_4cuda6detail10TensorInfoIKT_T1_EENS5_IS6_S8_EENS5_IT4_S8_EES8_T0_NS_15PhiloxCudaStateE, .Lfunc_end60-_ZN2at6native12_GLOBAL__N_120fused_dropout_kernelIddjLi1ELi1EhEEvNS_4cuda6detail10TensorInfoIKT_T1_EENS5_IS6_S8_EENS5_IT4_S8_EES8_T0_NS_15PhiloxCudaStateE
                                        ; -- End function
	.section	.AMDGPU.csdata,"",@progbits
; Kernel info:
; codeLenInByte = 2948
; NumSgprs: 27
; NumVgprs: 59
; ScratchSize: 0
; MemoryBound: 0
; FloatMode: 240
; IeeeMode: 1
; LDSByteSize: 0 bytes/workgroup (compile time only)
; SGPRBlocks: 3
; VGPRBlocks: 7
; NumSGPRsForWavesPerEU: 27
; NumVGPRsForWavesPerEU: 59
; Occupancy: 16
; WaveLimiterHint : 1
; COMPUTE_PGM_RSRC2:SCRATCH_EN: 0
; COMPUTE_PGM_RSRC2:USER_SGPR: 15
; COMPUTE_PGM_RSRC2:TRAP_HANDLER: 0
; COMPUTE_PGM_RSRC2:TGID_X_EN: 1
; COMPUTE_PGM_RSRC2:TGID_Y_EN: 0
; COMPUTE_PGM_RSRC2:TGID_Z_EN: 0
; COMPUTE_PGM_RSRC2:TIDIG_COMP_CNT: 0
	.section	.text._ZN2at6native12_GLOBAL__N_120fused_dropout_kernelIddjLin1ELi1EhEEvNS_4cuda6detail10TensorInfoIKT_T1_EENS5_IS6_S8_EENS5_IT4_S8_EES8_T0_NS_15PhiloxCudaStateE,"axG",@progbits,_ZN2at6native12_GLOBAL__N_120fused_dropout_kernelIddjLin1ELi1EhEEvNS_4cuda6detail10TensorInfoIKT_T1_EENS5_IS6_S8_EENS5_IT4_S8_EES8_T0_NS_15PhiloxCudaStateE,comdat
	.globl	_ZN2at6native12_GLOBAL__N_120fused_dropout_kernelIddjLin1ELi1EhEEvNS_4cuda6detail10TensorInfoIKT_T1_EENS5_IS6_S8_EENS5_IT4_S8_EES8_T0_NS_15PhiloxCudaStateE ; -- Begin function _ZN2at6native12_GLOBAL__N_120fused_dropout_kernelIddjLin1ELi1EhEEvNS_4cuda6detail10TensorInfoIKT_T1_EENS5_IS6_S8_EENS5_IT4_S8_EES8_T0_NS_15PhiloxCudaStateE
	.p2align	8
	.type	_ZN2at6native12_GLOBAL__N_120fused_dropout_kernelIddjLin1ELi1EhEEvNS_4cuda6detail10TensorInfoIKT_T1_EENS5_IS6_S8_EENS5_IT4_S8_EES8_T0_NS_15PhiloxCudaStateE,@function
_ZN2at6native12_GLOBAL__N_120fused_dropout_kernelIddjLin1ELi1EhEEvNS_4cuda6detail10TensorInfoIKT_T1_EENS5_IS6_S8_EENS5_IT4_S8_EES8_T0_NS_15PhiloxCudaStateE: ; @_ZN2at6native12_GLOBAL__N_120fused_dropout_kernelIddjLin1ELi1EhEEvNS_4cuda6detail10TensorInfoIKT_T1_EENS5_IS6_S8_EENS5_IT4_S8_EES8_T0_NS_15PhiloxCudaStateE
; %bb.0:
	s_clause 0x2
	s_load_b64 s[2:3], s[0:1], 0x2a0
	s_load_b128 s[4:7], s[0:1], 0x290
	s_load_b32 s8, s[0:1], 0x2b0
	s_waitcnt lgkmcnt(0)
	v_dual_mov_b32 v1, s2 :: v_dual_mov_b32 v2, s3
	v_dual_mov_b32 v20, s7 :: v_dual_mov_b32 v19, s6
	s_bitcmp0_b32 s8, 0
	s_cbranch_scc1 .LBB61_2
; %bb.1:
	v_dual_mov_b32 v1, s2 :: v_dual_mov_b32 v2, s3
	v_dual_mov_b32 v3, s6 :: v_dual_mov_b32 v4, s7
	s_load_b64 s[2:3], s[0:1], 0x2a8
	flat_load_b64 v[1:2], v[1:2]
	flat_load_b64 v[19:20], v[3:4]
	s_waitcnt vmcnt(1) lgkmcnt(0)
	v_add_co_u32 v1, vcc_lo, v1, s2
	v_add_co_ci_u32_e32 v2, vcc_lo, s3, v2, vcc_lo
.LBB61_2:
	s_clause 0x2
	s_load_b32 s2, s[0:1], 0x2c4
	s_load_b32 s18, s[0:1], 0x2b8
	;; [unrolled: 1-line block ×3, first 2 shown]
	s_waitcnt lgkmcnt(0)
	s_and_b32 s2, s2, 0xffff
	s_add_i32 s7, s19, -1
	s_mul_i32 s18, s18, s2
	v_mad_u64_u32 v[21:22], null, s15, s2, v[0:1]
	s_lshl_b32 s20, s18, 2
	s_delay_alu instid0(SALU_CYCLE_1) | instskip(SKIP_1) | instid1(VALU_DEP_1)
	v_cvt_f32_u32_e32 v3, s20
	s_sub_i32 s6, 0, s20
	v_rcp_iflag_f32_e32 v3, v3
	s_waitcnt_depctr 0xfff
	v_mul_f32_e32 v3, 0x4f7ffffe, v3
	s_delay_alu instid0(VALU_DEP_1) | instskip(NEXT) | instid1(VALU_DEP_1)
	v_cvt_u32_f32_e32 v3, v3
	v_readfirstlane_b32 s3, v3
	s_delay_alu instid0(VALU_DEP_1) | instskip(NEXT) | instid1(SALU_CYCLE_1)
	s_mul_i32 s6, s6, s3
	s_mul_hi_u32 s6, s3, s6
	s_delay_alu instid0(SALU_CYCLE_1) | instskip(NEXT) | instid1(SALU_CYCLE_1)
	s_add_i32 s3, s3, s6
	s_mul_hi_u32 s3, s7, s3
	s_delay_alu instid0(SALU_CYCLE_1) | instskip(NEXT) | instid1(SALU_CYCLE_1)
	s_mul_i32 s6, s3, s20
	s_sub_i32 s6, s7, s6
	s_add_i32 s7, s3, 1
	s_sub_i32 s8, s6, s20
	s_cmp_ge_u32 s6, s20
	s_cselect_b32 s2, s7, s3
	s_cselect_b32 s3, s8, s6
	s_add_i32 s6, s2, 1
	s_cmp_ge_u32 s3, s20
	s_cselect_b32 s2, s6, s2
	s_delay_alu instid0(SALU_CYCLE_1) | instskip(NEXT) | instid1(SALU_CYCLE_1)
	s_add_i32 s2, s2, 1
	s_mul_i32 s20, s20, s2
	s_mov_b32 s2, exec_lo
	v_cmpx_gt_u32_e64 s20, v21
	s_cbranch_execz .LBB61_43
; %bb.3:
	v_div_scale_f64 v[3:4], null, s[4:5], s[4:5], 1.0
	v_div_scale_f64 v[9:10], vcc_lo, 1.0, s[4:5], 1.0
	v_alignbit_b32 v28, v2, v1, 2
	v_lshrrev_b32_e32 v29, 2, v2
	v_mad_u64_u32 v[11:12], null, 0xcd9e8d57, v21, 0
	s_waitcnt vmcnt(0)
	v_add_co_u32 v31, null, 0x9e3779b9, v19
	v_mad_u64_u32 v[13:14], null, 0xd2511f53, v28, 0
	v_dual_mov_b32 v24, v20 :: v_dual_add_nc_u32 v47, 0x96a522ad, v20
	s_delay_alu instid0(VALU_DEP_4) | instskip(SKIP_1) | instid1(VALU_DEP_3)
	v_xor3_b32 v0, v19, v12, v29
	v_add_co_u32 v32, null, 0x3c6ef372, v19
	v_add_co_u32 v30, null, 0xbb67ae85, v24
	v_xor_b32_e32 v2, v14, v20
	s_delay_alu instid0(VALU_DEP_4) | instskip(SKIP_1) | instid1(VALU_DEP_3)
	v_mad_u64_u32 v[14:15], null, 0xd2511f53, v0, 0
	v_add_co_u32 v33, null, 0x76cf5d0a, v24
	v_mad_u64_u32 v[16:17], null, 0xcd9e8d57, v2, 0
	v_add_co_u32 v34, null, 0x32370b8f, v24
	s_delay_alu instid0(VALU_DEP_4) | instskip(SKIP_3) | instid1(VALU_DEP_4)
	v_xor3_b32 v0, v30, v15, v13
	v_add_co_u32 v35, null, 0xdaa66d2b, v19
	v_add_co_u32 v36, null, 0xed9eba14, v24
	v_xor3_b32 v2, v17, v31, v11
	v_mad_u64_u32 v[11:12], null, 0xcd9e8d57, v0, 0
	v_add_co_u32 v37, null, 0x78dde6e4, v19
	v_rcp_f64_e32 v[5:6], v[3:4]
	s_delay_alu instid0(VALU_DEP_3) | instskip(SKIP_1) | instid1(VALU_DEP_4)
	v_mad_u64_u32 v[17:18], null, 0xd2511f53, v2, 0
	v_add_co_u32 v38, null, 0x1715609d, v19
	v_xor3_b32 v0, v32, v12, v16
	v_add_co_u32 v39, null, 0xa9066899, v24
	v_add_co_u32 v40, null, 0x646e171e, v24
	;; [unrolled: 1-line block ×5, first 2 shown]
	s_clause 0x1
	s_load_b32 s14, s[0:1], 0xd0
	s_load_b64 s[6:7], s[0:1], 0xd8
	v_add_co_u32 v44, null, 0xdb3d7428, v24
	v_add_co_u32 v45, null, 0xf1bbcdc8, v19
	s_clause 0x3
	s_load_b64 s[8:9], s[0:1], 0x1b0
	s_load_b32 s21, s[0:1], 0x144
	s_load_b32 s22, s[0:1], 0x6c
	s_load_b64 s[10:11], s[0:1], 0x0
	s_mov_b32 s13, 0
	v_dual_mov_b32 v24, 0 :: v_dual_mov_b32 v49, v21
	v_and_b32_e32 v48, 3, v1
	v_mov_b32_e32 v50, 0
	s_waitcnt lgkmcnt(0)
	s_cmp_gt_i32 s14, 1
	s_cselect_b32 s23, -1, 0
	s_add_i32 s12, s14, -1
	s_delay_alu instid0(TRANS32_DEP_1)
	v_fma_f64 v[7:8], -v[3:4], v[5:6], 1.0
	s_lshl_b64 s[2:3], s[12:13], 2
	s_add_i32 s12, s14, 1
	s_add_u32 s0, s2, s0
	s_addc_u32 s1, s3, s1
	s_add_u32 s14, s0, 8
	s_addc_u32 s15, s1, 0
	s_delay_alu instid0(VALU_DEP_1) | instskip(NEXT) | instid1(VALU_DEP_1)
	v_fma_f64 v[5:6], v[5:6], v[7:8], v[5:6]
	v_fma_f64 v[7:8], -v[3:4], v[5:6], 1.0
	s_delay_alu instid0(VALU_DEP_1) | instskip(NEXT) | instid1(VALU_DEP_1)
	v_fma_f64 v[5:6], v[5:6], v[7:8], v[5:6]
	v_mul_f64 v[7:8], v[9:10], v[5:6]
	s_delay_alu instid0(VALU_DEP_1) | instskip(SKIP_2) | instid1(VALU_DEP_2)
	v_fma_f64 v[2:3], -v[3:4], v[7:8], v[9:10]
	v_xor3_b32 v4, v18, v33, v14
	v_mad_u64_u32 v[9:10], null, 0xd2511f53, v0, 0
	v_mad_u64_u32 v[12:13], null, 0xcd9e8d57, v4, 0
	s_delay_alu instid0(VALU_DEP_2) | instskip(NEXT) | instid1(VALU_DEP_2)
	v_xor3_b32 v0, v34, v10, v17
	v_xor3_b32 v4, v13, v35, v11
	s_delay_alu instid0(VALU_DEP_2) | instskip(NEXT) | instid1(VALU_DEP_2)
	v_mad_u64_u32 v[10:11], null, 0xcd9e8d57, v0, 0
	v_mad_u64_u32 v[13:14], null, 0xd2511f53, v4, 0
	s_delay_alu instid0(VALU_DEP_2) | instskip(NEXT) | instid1(VALU_DEP_2)
	v_xor3_b32 v4, v37, v11, v12
	v_xor3_b32 v0, v14, v36, v9
	s_delay_alu instid0(VALU_DEP_2) | instskip(NEXT) | instid1(VALU_DEP_2)
	v_mad_u64_u32 v[14:15], null, 0xd2511f53, v4, 0
	v_mad_u64_u32 v[11:12], null, 0xcd9e8d57, v0, 0
	v_div_fmas_f64 v[2:3], v[2:3], v[5:6], v[7:8]
	s_delay_alu instid0(VALU_DEP_3) | instskip(NEXT) | instid1(VALU_DEP_3)
	v_xor3_b32 v8, v39, v15, v13
	v_xor3_b32 v0, v12, v38, v10
	s_delay_alu instid0(VALU_DEP_2) | instskip(NEXT) | instid1(VALU_DEP_2)
	v_mad_u64_u32 v[6:7], null, 0xcd9e8d57, v8, 0
	v_mad_u64_u32 v[4:5], null, 0xd2511f53, v0, 0
	s_delay_alu instid0(VALU_DEP_1) | instskip(NEXT) | instid1(VALU_DEP_3)
	v_xor3_b32 v0, v5, v40, v14
	v_xor3_b32 v5, v41, v7, v11
	s_delay_alu instid0(VALU_DEP_2) | instskip(NEXT) | instid1(VALU_DEP_2)
	v_mad_u64_u32 v[7:8], null, 0xcd9e8d57, v0, 0
	v_mad_u64_u32 v[9:10], null, 0xd2511f53, v5, 0
	s_delay_alu instid0(VALU_DEP_2) | instskip(NEXT) | instid1(VALU_DEP_2)
	v_xor3_b32 v0, v8, v42, v6
	v_xor3_b32 v6, v43, v10, v4
	s_delay_alu instid0(VALU_DEP_2) | instskip(SKIP_1) | instid1(VALU_DEP_3)
	v_mad_u64_u32 v[4:5], null, 0xd2511f53, v0, 0
	v_div_fixup_f64 v[22:23], v[2:3], s[4:5], 1.0
	v_mad_u64_u32 v[2:3], null, 0xcd9e8d57, v6, 0
	s_delay_alu instid0(VALU_DEP_3) | instskip(NEXT) | instid1(VALU_DEP_1)
	v_xor3_b32 v0, v5, v44, v9
	v_mad_u64_u32 v[9:10], null, 0xcd9e8d57, v0, 0
	s_delay_alu instid0(VALU_DEP_3) | instskip(NEXT) | instid1(VALU_DEP_1)
	v_xor3_b32 v3, v45, v3, v7
	v_mad_u64_u32 v[5:6], null, 0xd2511f53, v3, 0
	s_delay_alu instid0(VALU_DEP_1) | instskip(NEXT) | instid1(VALU_DEP_1)
	v_dual_mov_b32 v11, v5 :: v_dual_add_nc_u32 v46, 0x8ff34781, v19
	v_xor3_b32 v8, v2, v10, v46
	s_delay_alu instid0(VALU_DEP_3)
	v_xor3_b32 v10, v6, v4, v47
                                        ; implicit-def: $vgpr0_vgpr1_vgpr2_vgpr3_vgpr4_vgpr5_vgpr6_vgpr7
	s_branch .LBB61_5
.LBB61_4:                               ;   in Loop: Header=BB61_5 Depth=1
	s_or_b32 exec_lo, exec_lo, s1
	v_mov_b32_e32 v15, v26
	v_dual_mov_b32 v8, v12 :: v_dual_add_nc_u32 v21, s18, v17
	v_dual_mov_b32 v9, v13 :: v_dual_mov_b32 v10, v14
	s_delay_alu instid0(VALU_DEP_3) | instskip(NEXT) | instid1(VALU_DEP_3)
	v_mov_b32_e32 v11, v15
	v_cmp_le_u32_e32 vcc_lo, s20, v21
	s_waitcnt vmcnt(0)
	s_waitcnt_vscnt null, 0x0
	s_barrier
	buffer_gl0_inv
	s_or_b32 s13, vcc_lo, s13
	s_delay_alu instid0(SALU_CYCLE_1)
	s_and_not1_b32 exec_lo, exec_lo, s13
	s_cbranch_execz .LBB61_43
.LBB61_5:                               ; =>This Loop Header: Depth=1
                                        ;     Child Loop BB61_18 Depth 2
                                        ;     Child Loop BB61_23 Depth 2
	;; [unrolled: 1-line block ×4, first 2 shown]
	v_add_co_u32 v28, vcc_lo, v28, 1
	s_delay_alu instid0(VALU_DEP_1) | instskip(SKIP_2) | instid1(VALU_DEP_1)
	v_cndmask_b32_e64 v12, 0, 1, vcc_lo
	v_add_co_ci_u32_e32 v29, vcc_lo, 0, v29, vcc_lo
	s_mov_b32 s0, exec_lo
	v_cmp_eq_u32_e32 vcc_lo, 0, v29
	s_delay_alu instid0(VALU_DEP_3) | instskip(NEXT) | instid1(VALU_DEP_1)
	v_cndmask_b32_e32 v12, 0, v12, vcc_lo
	v_add_nc_u32_e32 v49, v12, v49
	s_delay_alu instid0(VALU_DEP_1) | instskip(SKIP_2) | instid1(VALU_DEP_2)
	v_cmp_eq_u32_e32 vcc_lo, 0, v49
	v_cndmask_b32_e32 v12, 0, v12, vcc_lo
	v_mad_u64_u32 v[14:15], null, 0xcd9e8d57, v49, 0
	v_add_nc_u32_e32 v50, v12, v50
	v_mad_u64_u32 v[12:13], null, 0xd2511f53, v28, 0
	s_delay_alu instid0(VALU_DEP_3) | instskip(NEXT) | instid1(VALU_DEP_2)
	v_xor3_b32 v17, v15, v19, v29
	v_xor_b32_e32 v13, v13, v20
	s_delay_alu instid0(VALU_DEP_2) | instskip(NEXT) | instid1(VALU_DEP_2)
	v_mad_u64_u32 v[15:16], null, 0xd2511f53, v17, 0
	v_xor_b32_e32 v13, v50, v13
	s_delay_alu instid0(VALU_DEP_2) | instskip(NEXT) | instid1(VALU_DEP_2)
	v_xor3_b32 v16, v30, v16, v12
	v_mad_u64_u32 v[17:18], null, 0xcd9e8d57, v13, 0
	s_delay_alu instid0(VALU_DEP_2) | instskip(NEXT) | instid1(VALU_DEP_2)
	v_mad_u64_u32 v[12:13], null, 0xcd9e8d57, v16, 0
	v_xor3_b32 v14, v31, v18, v14
	s_delay_alu instid0(VALU_DEP_2) | instskip(NEXT) | instid1(VALU_DEP_2)
	v_xor3_b32 v16, v32, v13, v17
	v_mad_u64_u32 v[25:26], null, 0xd2511f53, v14, 0
	s_delay_alu instid0(VALU_DEP_2) | instskip(NEXT) | instid1(VALU_DEP_2)
	v_mad_u64_u32 v[13:14], null, 0xd2511f53, v16, 0
	v_xor3_b32 v17, v33, v26, v15
	s_delay_alu instid0(VALU_DEP_2) | instskip(NEXT) | instid1(VALU_DEP_2)
	v_xor3_b32 v14, v34, v14, v25
	v_mad_u64_u32 v[15:16], null, 0xcd9e8d57, v17, 0
	s_delay_alu instid0(VALU_DEP_1) | instskip(NEXT) | instid1(VALU_DEP_3)
	v_xor3_b32 v12, v35, v16, v12
	v_mad_u64_u32 v[16:17], null, 0xcd9e8d57, v14, 0
	s_delay_alu instid0(VALU_DEP_2) | instskip(NEXT) | instid1(VALU_DEP_2)
	v_mad_u64_u32 v[25:26], null, 0xd2511f53, v12, 0
	v_xor3_b32 v14, v37, v17, v15
	s_delay_alu instid0(VALU_DEP_2) | instskip(NEXT) | instid1(VALU_DEP_2)
	v_xor3_b32 v17, v36, v26, v13
	v_mad_u64_u32 v[12:13], null, 0xd2511f53, v14, 0
	s_delay_alu instid0(VALU_DEP_2) | instskip(NEXT) | instid1(VALU_DEP_2)
	v_mad_u64_u32 v[14:15], null, 0xcd9e8d57, v17, 0
	v_xor3_b32 v13, v39, v13, v25
	s_delay_alu instid0(VALU_DEP_2) | instskip(NEXT) | instid1(VALU_DEP_2)
	;; [unrolled: 6-line block ×6, first 2 shown]
	v_xor3_b32 v12, v14, v15, v46
	v_mov_b32_e32 v14, v18
	v_cmpx_lt_i32_e32 1, v48
	s_xor_b32 s0, exec_lo, s0
	s_cbranch_execnz .LBB61_8
; %bb.6:                                ;   in Loop: Header=BB61_5 Depth=1
	s_and_not1_saveexec_b32 s0, s0
	s_cbranch_execnz .LBB61_13
.LBB61_7:                               ;   in Loop: Header=BB61_5 Depth=1
	s_or_b32 exec_lo, exec_lo, s0
	v_cmp_gt_u32_e64 s0, s19, v21
	s_delay_alu instid0(VALU_DEP_1)
	s_and_saveexec_b32 s1, s0
	s_cbranch_execnz .LBB61_16
	s_branch .LBB61_20
.LBB61_8:                               ;   in Loop: Header=BB61_5 Depth=1
	s_mov_b32 s1, exec_lo
	v_cmpx_lt_i32_e32 2, v48
	s_xor_b32 s1, exec_lo, s1
; %bb.9:                                ;   in Loop: Header=BB61_5 Depth=1
	v_dual_mov_b32 v15, v11 :: v_dual_mov_b32 v16, v12
	v_mov_b32_e32 v17, v13
	s_delay_alu instid0(VALU_DEP_2) | instskip(NEXT) | instid1(VALU_DEP_2)
	v_dual_mov_b32 v8, v15 :: v_dual_mov_b32 v9, v16
	v_dual_mov_b32 v10, v17 :: v_dual_mov_b32 v11, v18
; %bb.10:                               ;   in Loop: Header=BB61_5 Depth=1
	s_and_not1_saveexec_b32 s1, s1
; %bb.11:                               ;   in Loop: Header=BB61_5 Depth=1
	s_delay_alu instid0(VALU_DEP_1)
	v_dual_mov_b32 v8, v10 :: v_dual_mov_b32 v9, v11
	v_dual_mov_b32 v10, v12 :: v_dual_mov_b32 v11, v13
; %bb.12:                               ;   in Loop: Header=BB61_5 Depth=1
	s_or_b32 exec_lo, exec_lo, s1
	s_and_not1_saveexec_b32 s0, s0
	s_cbranch_execz .LBB61_7
.LBB61_13:                              ;   in Loop: Header=BB61_5 Depth=1
	s_mov_b32 s1, exec_lo
	v_cmpx_eq_u32_e32 1, v48
; %bb.14:                               ;   in Loop: Header=BB61_5 Depth=1
	v_dual_mov_b32 v8, v9 :: v_dual_mov_b32 v9, v10
	v_dual_mov_b32 v10, v11 :: v_dual_mov_b32 v11, v12
; %bb.15:                               ;   in Loop: Header=BB61_5 Depth=1
	s_or_b32 exec_lo, exec_lo, s1
	s_delay_alu instid0(SALU_CYCLE_1) | instskip(SKIP_1) | instid1(VALU_DEP_1)
	s_or_b32 exec_lo, exec_lo, s0
	v_cmp_gt_u32_e64 s0, s19, v21
	s_and_saveexec_b32 s1, s0
	s_cbranch_execz .LBB61_20
.LBB61_16:                              ;   in Loop: Header=BB61_5 Depth=1
	v_dual_mov_b32 v0, 0 :: v_dual_mov_b32 v1, v21
	s_and_not1_b32 vcc_lo, exec_lo, s23
	s_cbranch_vccnz .LBB61_19
; %bb.17:                               ;   in Loop: Header=BB61_5 Depth=1
	v_dual_mov_b32 v0, 0 :: v_dual_mov_b32 v1, v21
	s_mov_b64 s[2:3], s[14:15]
	s_mov_b32 s16, s12
	s_set_inst_prefetch_distance 0x1
	.p2align	6
.LBB61_18:                              ;   Parent Loop BB61_5 Depth=1
                                        ; =>  This Inner Loop Header: Depth=2
	s_clause 0x1
	s_load_b32 s17, s[2:3], 0x0
	s_load_b32 s24, s[2:3], 0x64
	v_mov_b32_e32 v17, v1
	s_add_i32 s16, s16, -1
	s_waitcnt lgkmcnt(0)
	v_cvt_f32_u32_e32 v15, s17
	s_sub_i32 s25, 0, s17
	s_add_u32 s2, s2, -4
	s_addc_u32 s3, s3, -1
	s_cmp_gt_u32 s16, 2
	v_rcp_iflag_f32_e32 v15, v15
	s_waitcnt_depctr 0xfff
	v_mul_f32_e32 v15, 0x4f7ffffe, v15
	s_delay_alu instid0(VALU_DEP_1) | instskip(NEXT) | instid1(VALU_DEP_1)
	v_cvt_u32_f32_e32 v15, v15
	v_mul_lo_u32 v16, s25, v15
	s_delay_alu instid0(VALU_DEP_1) | instskip(NEXT) | instid1(VALU_DEP_1)
	v_mul_hi_u32 v16, v15, v16
	v_add_nc_u32_e32 v1, v15, v16
	s_delay_alu instid0(VALU_DEP_1) | instskip(NEXT) | instid1(VALU_DEP_1)
	v_mul_hi_u32 v1, v17, v1
	v_add_nc_u32_e32 v16, 1, v1
	v_mul_lo_u32 v15, v1, s17
	s_delay_alu instid0(VALU_DEP_1) | instskip(NEXT) | instid1(VALU_DEP_1)
	v_sub_nc_u32_e32 v15, v17, v15
	v_subrev_nc_u32_e32 v18, s17, v15
	v_cmp_le_u32_e32 vcc_lo, s17, v15
	v_cndmask_b32_e32 v1, v1, v16, vcc_lo
	s_delay_alu instid0(VALU_DEP_1) | instskip(NEXT) | instid1(VALU_DEP_1)
	v_dual_cndmask_b32 v15, v15, v18 :: v_dual_add_nc_u32 v16, 1, v1
	v_cmp_le_u32_e32 vcc_lo, s17, v15
	s_delay_alu instid0(VALU_DEP_2) | instskip(NEXT) | instid1(VALU_DEP_1)
	v_cndmask_b32_e32 v1, v1, v16, vcc_lo
	v_mul_lo_u32 v15, v1, s17
	s_delay_alu instid0(VALU_DEP_1) | instskip(NEXT) | instid1(VALU_DEP_1)
	v_sub_nc_u32_e32 v17, v17, v15
	v_mad_u64_u32 v[15:16], null, s24, v17, v[0:1]
	s_delay_alu instid0(VALU_DEP_1)
	v_mov_b32_e32 v0, v15
	s_cbranch_scc1 .LBB61_18
.LBB61_19:                              ;   in Loop: Header=BB61_5 Depth=1
	s_set_inst_prefetch_distance 0x2
	s_delay_alu instid0(VALU_DEP_1) | instskip(SKIP_1) | instid1(VALU_DEP_1)
	v_mad_u64_u32 v[15:16], null, s22, v1, v[0:1]
	v_mov_b32_e32 v16, v24
	v_lshlrev_b64 v[0:1], 3, v[15:16]
	s_delay_alu instid0(VALU_DEP_1) | instskip(NEXT) | instid1(VALU_DEP_2)
	v_add_co_u32 v0, vcc_lo, s10, v0
	v_add_co_ci_u32_e32 v1, vcc_lo, s11, v1, vcc_lo
	global_load_b64 v[0:1], v[0:1], off
.LBB61_20:                              ;   in Loop: Header=BB61_5 Depth=1
	s_or_b32 exec_lo, exec_lo, s1
	v_add_nc_u32_e32 v15, s18, v21
	s_delay_alu instid0(VALU_DEP_1) | instskip(NEXT) | instid1(VALU_DEP_1)
	v_cmp_gt_u32_e64 s1, s19, v15
	s_and_saveexec_b32 s16, s1
	s_cbranch_execz .LBB61_25
; %bb.21:                               ;   in Loop: Header=BB61_5 Depth=1
	v_dual_mov_b32 v2, 0 :: v_dual_mov_b32 v3, v15
	s_and_not1_b32 vcc_lo, exec_lo, s23
	s_cbranch_vccnz .LBB61_24
; %bb.22:                               ;   in Loop: Header=BB61_5 Depth=1
	v_dual_mov_b32 v2, 0 :: v_dual_mov_b32 v3, v15
	s_mov_b64 s[2:3], s[14:15]
	s_mov_b32 s17, s12
	s_set_inst_prefetch_distance 0x1
	.p2align	6
.LBB61_23:                              ;   Parent Loop BB61_5 Depth=1
                                        ; =>  This Inner Loop Header: Depth=2
	s_clause 0x1
	s_load_b32 s24, s[2:3], 0x0
	s_load_b32 s25, s[2:3], 0x64
	s_add_i32 s17, s17, -1
	s_waitcnt lgkmcnt(0)
	v_cvt_f32_u32_e32 v16, s24
	s_sub_i32 s26, 0, s24
	s_add_u32 s2, s2, -4
	s_addc_u32 s3, s3, -1
	s_cmp_gt_u32 s17, 2
	v_rcp_iflag_f32_e32 v16, v16
	s_waitcnt_depctr 0xfff
	v_mul_f32_e32 v16, 0x4f7ffffe, v16
	s_delay_alu instid0(VALU_DEP_1) | instskip(NEXT) | instid1(VALU_DEP_1)
	v_cvt_u32_f32_e32 v16, v16
	v_mul_lo_u32 v17, s26, v16
	s_delay_alu instid0(VALU_DEP_1) | instskip(NEXT) | instid1(VALU_DEP_1)
	v_mul_hi_u32 v17, v16, v17
	v_dual_mov_b32 v18, v3 :: v_dual_add_nc_u32 v3, v16, v17
	s_delay_alu instid0(VALU_DEP_1) | instskip(NEXT) | instid1(VALU_DEP_1)
	v_mul_hi_u32 v3, v18, v3
	v_mul_lo_u32 v16, v3, s24
	v_add_nc_u32_e32 v17, 1, v3
	s_delay_alu instid0(VALU_DEP_2) | instskip(NEXT) | instid1(VALU_DEP_1)
	v_sub_nc_u32_e32 v16, v18, v16
	v_subrev_nc_u32_e32 v25, s24, v16
	v_cmp_le_u32_e32 vcc_lo, s24, v16
	s_delay_alu instid0(VALU_DEP_4) | instskip(NEXT) | instid1(VALU_DEP_1)
	v_cndmask_b32_e32 v3, v3, v17, vcc_lo
	v_dual_cndmask_b32 v16, v16, v25 :: v_dual_add_nc_u32 v17, 1, v3
	s_delay_alu instid0(VALU_DEP_1) | instskip(NEXT) | instid1(VALU_DEP_2)
	v_cmp_le_u32_e32 vcc_lo, s24, v16
	v_cndmask_b32_e32 v3, v3, v17, vcc_lo
	s_delay_alu instid0(VALU_DEP_1) | instskip(NEXT) | instid1(VALU_DEP_1)
	v_mul_lo_u32 v16, v3, s24
	v_sub_nc_u32_e32 v18, v18, v16
	s_delay_alu instid0(VALU_DEP_1) | instskip(NEXT) | instid1(VALU_DEP_1)
	v_mad_u64_u32 v[16:17], null, s25, v18, v[2:3]
	v_mov_b32_e32 v2, v16
	s_cbranch_scc1 .LBB61_23
.LBB61_24:                              ;   in Loop: Header=BB61_5 Depth=1
	s_set_inst_prefetch_distance 0x2
	s_delay_alu instid0(VALU_DEP_1) | instskip(SKIP_1) | instid1(VALU_DEP_1)
	v_mad_u64_u32 v[16:17], null, s22, v3, v[2:3]
	v_mov_b32_e32 v17, v24
	v_lshlrev_b64 v[2:3], 3, v[16:17]
	s_delay_alu instid0(VALU_DEP_1) | instskip(NEXT) | instid1(VALU_DEP_2)
	v_add_co_u32 v2, vcc_lo, s10, v2
	v_add_co_ci_u32_e32 v3, vcc_lo, s11, v3, vcc_lo
	global_load_b64 v[2:3], v[2:3], off
.LBB61_25:                              ;   in Loop: Header=BB61_5 Depth=1
	s_or_b32 exec_lo, exec_lo, s16
	v_add_nc_u32_e32 v16, s18, v15
	s_delay_alu instid0(VALU_DEP_1) | instskip(NEXT) | instid1(VALU_DEP_1)
	v_cmp_gt_u32_e64 s2, s19, v16
	s_and_saveexec_b32 s3, s2
	s_cbranch_execz .LBB61_30
; %bb.26:                               ;   in Loop: Header=BB61_5 Depth=1
	v_dual_mov_b32 v4, 0 :: v_dual_mov_b32 v5, v16
	s_and_not1_b32 vcc_lo, exec_lo, s23
	s_cbranch_vccnz .LBB61_29
; %bb.27:                               ;   in Loop: Header=BB61_5 Depth=1
	v_dual_mov_b32 v4, 0 :: v_dual_mov_b32 v5, v16
	s_mov_b64 s[16:17], s[14:15]
	s_mov_b32 s24, s12
	s_set_inst_prefetch_distance 0x1
	.p2align	6
.LBB61_28:                              ;   Parent Loop BB61_5 Depth=1
                                        ; =>  This Inner Loop Header: Depth=2
	s_clause 0x1
	s_load_b32 s25, s[16:17], 0x0
	s_load_b32 s26, s[16:17], 0x64
	v_mov_b32_e32 v25, v5
	s_add_i32 s24, s24, -1
	s_waitcnt lgkmcnt(0)
	v_cvt_f32_u32_e32 v17, s25
	s_sub_i32 s27, 0, s25
	s_add_u32 s16, s16, -4
	s_addc_u32 s17, s17, -1
	s_cmp_gt_u32 s24, 2
	v_rcp_iflag_f32_e32 v17, v17
	s_waitcnt_depctr 0xfff
	v_mul_f32_e32 v17, 0x4f7ffffe, v17
	s_delay_alu instid0(VALU_DEP_1) | instskip(NEXT) | instid1(VALU_DEP_1)
	v_cvt_u32_f32_e32 v17, v17
	v_mul_lo_u32 v18, s27, v17
	s_delay_alu instid0(VALU_DEP_1) | instskip(NEXT) | instid1(VALU_DEP_1)
	v_mul_hi_u32 v18, v17, v18
	v_add_nc_u32_e32 v5, v17, v18
	s_delay_alu instid0(VALU_DEP_1) | instskip(NEXT) | instid1(VALU_DEP_1)
	v_mul_hi_u32 v5, v25, v5
	v_add_nc_u32_e32 v18, 1, v5
	v_mul_lo_u32 v17, v5, s25
	s_delay_alu instid0(VALU_DEP_1) | instskip(NEXT) | instid1(VALU_DEP_1)
	v_sub_nc_u32_e32 v17, v25, v17
	v_subrev_nc_u32_e32 v27, s25, v17
	v_cmp_le_u32_e32 vcc_lo, s25, v17
	v_cndmask_b32_e32 v5, v5, v18, vcc_lo
	s_delay_alu instid0(VALU_DEP_1) | instskip(NEXT) | instid1(VALU_DEP_1)
	v_dual_cndmask_b32 v17, v17, v27 :: v_dual_add_nc_u32 v18, 1, v5
	v_cmp_le_u32_e32 vcc_lo, s25, v17
	s_delay_alu instid0(VALU_DEP_2) | instskip(NEXT) | instid1(VALU_DEP_1)
	v_cndmask_b32_e32 v5, v5, v18, vcc_lo
	v_mul_lo_u32 v17, v5, s25
	s_delay_alu instid0(VALU_DEP_1) | instskip(NEXT) | instid1(VALU_DEP_1)
	v_sub_nc_u32_e32 v25, v25, v17
	v_mad_u64_u32 v[17:18], null, s26, v25, v[4:5]
	s_delay_alu instid0(VALU_DEP_1)
	v_mov_b32_e32 v4, v17
	s_cbranch_scc1 .LBB61_28
.LBB61_29:                              ;   in Loop: Header=BB61_5 Depth=1
	s_set_inst_prefetch_distance 0x2
	s_delay_alu instid0(VALU_DEP_1) | instskip(SKIP_1) | instid1(VALU_DEP_1)
	v_mad_u64_u32 v[17:18], null, s22, v5, v[4:5]
	v_mov_b32_e32 v18, v24
	v_lshlrev_b64 v[4:5], 3, v[17:18]
	s_delay_alu instid0(VALU_DEP_1) | instskip(NEXT) | instid1(VALU_DEP_2)
	v_add_co_u32 v4, vcc_lo, s10, v4
	v_add_co_ci_u32_e32 v5, vcc_lo, s11, v5, vcc_lo
	global_load_b64 v[4:5], v[4:5], off
.LBB61_30:                              ;   in Loop: Header=BB61_5 Depth=1
	s_or_b32 exec_lo, exec_lo, s3
	v_add_nc_u32_e32 v17, s18, v16
	s_delay_alu instid0(VALU_DEP_1) | instskip(NEXT) | instid1(VALU_DEP_1)
	v_cmp_gt_u32_e64 s3, s19, v17
	s_and_saveexec_b32 s24, s3
	s_cbranch_execnz .LBB61_35
; %bb.31:                               ;   in Loop: Header=BB61_5 Depth=1
	s_or_b32 exec_lo, exec_lo, s24
	s_and_saveexec_b32 s16, s0
	s_cbranch_execnz .LBB61_39
.LBB61_32:                              ;   in Loop: Header=BB61_5 Depth=1
	s_or_b32 exec_lo, exec_lo, s16
	s_and_saveexec_b32 s16, s1
	s_cbranch_execnz .LBB61_40
.LBB61_33:                              ;   in Loop: Header=BB61_5 Depth=1
	s_or_b32 exec_lo, exec_lo, s16
	s_and_saveexec_b32 s1, s2
	s_cbranch_execnz .LBB61_41
.LBB61_34:                              ;   in Loop: Header=BB61_5 Depth=1
	s_or_b32 exec_lo, exec_lo, s1
	s_and_saveexec_b32 s1, s3
	s_cbranch_execz .LBB61_4
	s_branch .LBB61_42
.LBB61_35:                              ;   in Loop: Header=BB61_5 Depth=1
	v_dual_mov_b32 v6, 0 :: v_dual_mov_b32 v7, v17
	s_and_not1_b32 vcc_lo, exec_lo, s23
	s_cbranch_vccnz .LBB61_38
; %bb.36:                               ;   in Loop: Header=BB61_5 Depth=1
	v_dual_mov_b32 v6, 0 :: v_dual_mov_b32 v7, v17
	s_mov_b64 s[16:17], s[14:15]
	s_mov_b32 s25, s12
	s_set_inst_prefetch_distance 0x1
	.p2align	6
.LBB61_37:                              ;   Parent Loop BB61_5 Depth=1
                                        ; =>  This Inner Loop Header: Depth=2
	s_clause 0x1
	s_load_b32 s26, s[16:17], 0x0
	s_load_b32 s27, s[16:17], 0x64
	s_add_i32 s25, s25, -1
	v_mov_b32_e32 v27, v7
	s_waitcnt lgkmcnt(0)
	v_cvt_f32_u32_e32 v18, s26
	s_sub_i32 s28, 0, s26
	s_add_u32 s16, s16, -4
	s_addc_u32 s17, s17, -1
	s_cmp_gt_u32 s25, 2
	v_rcp_iflag_f32_e32 v18, v18
	s_waitcnt_depctr 0xfff
	v_mul_f32_e32 v18, 0x4f7ffffe, v18
	s_delay_alu instid0(VALU_DEP_1) | instskip(NEXT) | instid1(VALU_DEP_1)
	v_cvt_u32_f32_e32 v18, v18
	v_mul_lo_u32 v25, s28, v18
	s_delay_alu instid0(VALU_DEP_1) | instskip(NEXT) | instid1(VALU_DEP_1)
	v_mul_hi_u32 v25, v18, v25
	v_add_nc_u32_e32 v7, v18, v25
	s_delay_alu instid0(VALU_DEP_1) | instskip(NEXT) | instid1(VALU_DEP_1)
	v_mul_hi_u32 v7, v27, v7
	v_mul_lo_u32 v18, v7, s26
	v_add_nc_u32_e32 v25, 1, v7
	s_delay_alu instid0(VALU_DEP_2) | instskip(NEXT) | instid1(VALU_DEP_1)
	v_sub_nc_u32_e32 v18, v27, v18
	v_subrev_nc_u32_e32 v51, s26, v18
	v_cmp_le_u32_e32 vcc_lo, s26, v18
	s_delay_alu instid0(VALU_DEP_2) | instskip(NEXT) | instid1(VALU_DEP_1)
	v_dual_cndmask_b32 v7, v7, v25 :: v_dual_cndmask_b32 v18, v18, v51
	v_add_nc_u32_e32 v25, 1, v7
	s_delay_alu instid0(VALU_DEP_2) | instskip(NEXT) | instid1(VALU_DEP_2)
	v_cmp_le_u32_e32 vcc_lo, s26, v18
	v_cndmask_b32_e32 v7, v7, v25, vcc_lo
	s_delay_alu instid0(VALU_DEP_1) | instskip(NEXT) | instid1(VALU_DEP_1)
	v_mul_lo_u32 v18, v7, s26
	v_sub_nc_u32_e32 v18, v27, v18
	s_delay_alu instid0(VALU_DEP_1) | instskip(NEXT) | instid1(VALU_DEP_1)
	v_mad_u64_u32 v[51:52], null, s27, v18, v[6:7]
	v_mov_b32_e32 v6, v51
	s_cbranch_scc1 .LBB61_37
.LBB61_38:                              ;   in Loop: Header=BB61_5 Depth=1
	s_set_inst_prefetch_distance 0x2
	s_delay_alu instid0(VALU_DEP_1) | instskip(SKIP_1) | instid1(VALU_DEP_1)
	v_mad_u64_u32 v[51:52], null, s22, v7, v[6:7]
	v_mov_b32_e32 v52, v24
	v_lshlrev_b64 v[6:7], 3, v[51:52]
	s_delay_alu instid0(VALU_DEP_1) | instskip(NEXT) | instid1(VALU_DEP_2)
	v_add_co_u32 v6, vcc_lo, s10, v6
	v_add_co_ci_u32_e32 v7, vcc_lo, s11, v7, vcc_lo
	global_load_b64 v[6:7], v[6:7], off
	s_or_b32 exec_lo, exec_lo, s24
	s_and_saveexec_b32 s16, s0
	s_cbranch_execz .LBB61_32
.LBB61_39:                              ;   in Loop: Header=BB61_5 Depth=1
	v_cvt_f32_u32_e32 v8, v8
	v_mul_lo_u32 v53, v21, s21
	v_mov_b32_e32 v54, v24
	s_delay_alu instid0(VALU_DEP_3) | instskip(NEXT) | instid1(VALU_DEP_2)
	v_fmaak_f32 v8, 0x2f800000, v8, 0x2f800000
	v_lshlrev_b64 v[54:55], 3, v[53:54]
	s_delay_alu instid0(VALU_DEP_2) | instskip(NEXT) | instid1(VALU_DEP_2)
	v_cvt_f64_f32_e32 v[51:52], v8
	v_add_co_u32 v54, s0, s6, v54
	s_delay_alu instid0(VALU_DEP_1) | instskip(NEXT) | instid1(VALU_DEP_3)
	v_add_co_ci_u32_e64 v55, s0, s7, v55, s0
	v_cmp_gt_f64_e32 vcc_lo, s[4:5], v[51:52]
	v_cndmask_b32_e64 v25, 0, 0x3ff00000, vcc_lo
	v_cndmask_b32_e64 v8, 0, 1, vcc_lo
	s_waitcnt vmcnt(0)
	s_delay_alu instid0(VALU_DEP_2) | instskip(NEXT) | instid1(VALU_DEP_1)
	v_mul_f64 v[51:52], v[0:1], v[24:25]
	v_mul_f64 v[51:52], v[22:23], v[51:52]
	global_store_b64 v[54:55], v[51:52], off
	global_store_b8 v53, v8, s[8:9]
	s_or_b32 exec_lo, exec_lo, s16
	s_and_saveexec_b32 s16, s1
	s_cbranch_execz .LBB61_33
.LBB61_40:                              ;   in Loop: Header=BB61_5 Depth=1
	v_cvt_f32_u32_e32 v8, v9
	v_mul_lo_u32 v51, v15, s21
	v_mov_b32_e32 v52, v24
	s_delay_alu instid0(VALU_DEP_3) | instskip(NEXT) | instid1(VALU_DEP_2)
	v_fmaak_f32 v8, 0x2f800000, v8, 0x2f800000
	v_lshlrev_b64 v[52:53], 3, v[51:52]
	s_delay_alu instid0(VALU_DEP_2) | instskip(NEXT) | instid1(VALU_DEP_2)
	v_cvt_f64_f32_e32 v[8:9], v8
	v_add_co_u32 v52, s0, s6, v52
	s_delay_alu instid0(VALU_DEP_1) | instskip(NEXT) | instid1(VALU_DEP_3)
	v_add_co_ci_u32_e64 v53, s0, s7, v53, s0
	v_cmp_gt_f64_e32 vcc_lo, s[4:5], v[8:9]
	v_cndmask_b32_e64 v25, 0, 0x3ff00000, vcc_lo
	v_cndmask_b32_e64 v15, 0, 1, vcc_lo
	s_waitcnt vmcnt(0)
	s_delay_alu instid0(VALU_DEP_2) | instskip(NEXT) | instid1(VALU_DEP_1)
	v_mul_f64 v[8:9], v[2:3], v[24:25]
	v_mul_f64 v[8:9], v[22:23], v[8:9]
	global_store_b64 v[52:53], v[8:9], off
	global_store_b8 v51, v15, s[8:9]
	s_or_b32 exec_lo, exec_lo, s16
	s_and_saveexec_b32 s1, s2
	s_cbranch_execz .LBB61_34
.LBB61_41:                              ;   in Loop: Header=BB61_5 Depth=1
	v_cvt_f32_u32_e32 v8, v10
	v_mul_lo_u32 v15, v16, s21
	v_mov_b32_e32 v16, v24
	s_delay_alu instid0(VALU_DEP_3) | instskip(NEXT) | instid1(VALU_DEP_2)
	v_fmaak_f32 v8, 0x2f800000, v8, 0x2f800000
	v_lshlrev_b64 v[51:52], 3, v[15:16]
	s_delay_alu instid0(VALU_DEP_2) | instskip(NEXT) | instid1(VALU_DEP_2)
	v_cvt_f64_f32_e32 v[8:9], v8
	v_add_co_u32 v51, s0, s6, v51
	s_delay_alu instid0(VALU_DEP_1) | instskip(NEXT) | instid1(VALU_DEP_3)
	v_add_co_ci_u32_e64 v52, s0, s7, v52, s0
	v_cmp_gt_f64_e32 vcc_lo, s[4:5], v[8:9]
	v_cndmask_b32_e64 v25, 0, 0x3ff00000, vcc_lo
	v_cndmask_b32_e64 v10, 0, 1, vcc_lo
	s_waitcnt vmcnt(0)
	s_delay_alu instid0(VALU_DEP_2) | instskip(NEXT) | instid1(VALU_DEP_1)
	v_mul_f64 v[8:9], v[4:5], v[24:25]
	v_mul_f64 v[8:9], v[22:23], v[8:9]
	global_store_b64 v[51:52], v[8:9], off
	global_store_b8 v15, v10, s[8:9]
	s_or_b32 exec_lo, exec_lo, s1
	s_and_saveexec_b32 s1, s3
	s_cbranch_execz .LBB61_4
.LBB61_42:                              ;   in Loop: Header=BB61_5 Depth=1
	v_cvt_f32_u32_e32 v8, v11
	v_mul_lo_u32 v10, v17, s21
	s_delay_alu instid0(VALU_DEP_2) | instskip(NEXT) | instid1(VALU_DEP_1)
	v_dual_mov_b32 v11, v24 :: v_dual_fmaak_f32 v8, 0x2f800000, v8, 0x2f800000
	v_lshlrev_b64 v[15:16], 3, v[10:11]
	s_delay_alu instid0(VALU_DEP_2) | instskip(NEXT) | instid1(VALU_DEP_2)
	v_cvt_f64_f32_e32 v[8:9], v8
	v_add_co_u32 v15, s0, s6, v15
	s_delay_alu instid0(VALU_DEP_1) | instskip(NEXT) | instid1(VALU_DEP_3)
	v_add_co_ci_u32_e64 v16, s0, s7, v16, s0
	v_cmp_gt_f64_e32 vcc_lo, s[4:5], v[8:9]
	v_cndmask_b32_e64 v25, 0, 0x3ff00000, vcc_lo
	v_cndmask_b32_e64 v11, 0, 1, vcc_lo
	s_waitcnt vmcnt(0)
	s_delay_alu instid0(VALU_DEP_2) | instskip(NEXT) | instid1(VALU_DEP_1)
	v_mul_f64 v[8:9], v[6:7], v[24:25]
	v_mul_f64 v[8:9], v[22:23], v[8:9]
	global_store_b64 v[15:16], v[8:9], off
	global_store_b8 v10, v11, s[8:9]
	s_branch .LBB61_4
.LBB61_43:
	s_endpgm
	.section	.rodata,"a",@progbits
	.p2align	6, 0x0
	.amdhsa_kernel _ZN2at6native12_GLOBAL__N_120fused_dropout_kernelIddjLin1ELi1EhEEvNS_4cuda6detail10TensorInfoIKT_T1_EENS5_IS6_S8_EENS5_IT4_S8_EES8_T0_NS_15PhiloxCudaStateE
		.amdhsa_group_segment_fixed_size 0
		.amdhsa_private_segment_fixed_size 0
		.amdhsa_kernarg_size 952
		.amdhsa_user_sgpr_count 15
		.amdhsa_user_sgpr_dispatch_ptr 0
		.amdhsa_user_sgpr_queue_ptr 0
		.amdhsa_user_sgpr_kernarg_segment_ptr 1
		.amdhsa_user_sgpr_dispatch_id 0
		.amdhsa_user_sgpr_private_segment_size 0
		.amdhsa_wavefront_size32 1
		.amdhsa_uses_dynamic_stack 0
		.amdhsa_enable_private_segment 0
		.amdhsa_system_sgpr_workgroup_id_x 1
		.amdhsa_system_sgpr_workgroup_id_y 0
		.amdhsa_system_sgpr_workgroup_id_z 0
		.amdhsa_system_sgpr_workgroup_info 0
		.amdhsa_system_vgpr_workitem_id 0
		.amdhsa_next_free_vgpr 56
		.amdhsa_next_free_sgpr 29
		.amdhsa_reserve_vcc 1
		.amdhsa_float_round_mode_32 0
		.amdhsa_float_round_mode_16_64 0
		.amdhsa_float_denorm_mode_32 3
		.amdhsa_float_denorm_mode_16_64 3
		.amdhsa_dx10_clamp 1
		.amdhsa_ieee_mode 1
		.amdhsa_fp16_overflow 0
		.amdhsa_workgroup_processor_mode 1
		.amdhsa_memory_ordered 1
		.amdhsa_forward_progress 0
		.amdhsa_shared_vgpr_count 0
		.amdhsa_exception_fp_ieee_invalid_op 0
		.amdhsa_exception_fp_denorm_src 0
		.amdhsa_exception_fp_ieee_div_zero 0
		.amdhsa_exception_fp_ieee_overflow 0
		.amdhsa_exception_fp_ieee_underflow 0
		.amdhsa_exception_fp_ieee_inexact 0
		.amdhsa_exception_int_div_zero 0
	.end_amdhsa_kernel
	.section	.text._ZN2at6native12_GLOBAL__N_120fused_dropout_kernelIddjLin1ELi1EhEEvNS_4cuda6detail10TensorInfoIKT_T1_EENS5_IS6_S8_EENS5_IT4_S8_EES8_T0_NS_15PhiloxCudaStateE,"axG",@progbits,_ZN2at6native12_GLOBAL__N_120fused_dropout_kernelIddjLin1ELi1EhEEvNS_4cuda6detail10TensorInfoIKT_T1_EENS5_IS6_S8_EENS5_IT4_S8_EES8_T0_NS_15PhiloxCudaStateE,comdat
.Lfunc_end61:
	.size	_ZN2at6native12_GLOBAL__N_120fused_dropout_kernelIddjLin1ELi1EhEEvNS_4cuda6detail10TensorInfoIKT_T1_EENS5_IS6_S8_EENS5_IT4_S8_EES8_T0_NS_15PhiloxCudaStateE, .Lfunc_end61-_ZN2at6native12_GLOBAL__N_120fused_dropout_kernelIddjLin1ELi1EhEEvNS_4cuda6detail10TensorInfoIKT_T1_EENS5_IS6_S8_EENS5_IT4_S8_EES8_T0_NS_15PhiloxCudaStateE
                                        ; -- End function
	.section	.AMDGPU.csdata,"",@progbits
; Kernel info:
; codeLenInByte = 3896
; NumSgprs: 31
; NumVgprs: 56
; ScratchSize: 0
; MemoryBound: 0
; FloatMode: 240
; IeeeMode: 1
; LDSByteSize: 0 bytes/workgroup (compile time only)
; SGPRBlocks: 3
; VGPRBlocks: 6
; NumSGPRsForWavesPerEU: 31
; NumVGPRsForWavesPerEU: 56
; Occupancy: 16
; WaveLimiterHint : 1
; COMPUTE_PGM_RSRC2:SCRATCH_EN: 0
; COMPUTE_PGM_RSRC2:USER_SGPR: 15
; COMPUTE_PGM_RSRC2:TRAP_HANDLER: 0
; COMPUTE_PGM_RSRC2:TGID_X_EN: 1
; COMPUTE_PGM_RSRC2:TGID_Y_EN: 0
; COMPUTE_PGM_RSRC2:TGID_Z_EN: 0
; COMPUTE_PGM_RSRC2:TIDIG_COMP_CNT: 0
	.section	.text._ZN2at6native12_GLOBAL__N_120fused_dropout_kernelIddjLin1ELin1EhEEvNS_4cuda6detail10TensorInfoIKT_T1_EENS5_IS6_S8_EENS5_IT4_S8_EES8_T0_NS_15PhiloxCudaStateE,"axG",@progbits,_ZN2at6native12_GLOBAL__N_120fused_dropout_kernelIddjLin1ELin1EhEEvNS_4cuda6detail10TensorInfoIKT_T1_EENS5_IS6_S8_EENS5_IT4_S8_EES8_T0_NS_15PhiloxCudaStateE,comdat
	.globl	_ZN2at6native12_GLOBAL__N_120fused_dropout_kernelIddjLin1ELin1EhEEvNS_4cuda6detail10TensorInfoIKT_T1_EENS5_IS6_S8_EENS5_IT4_S8_EES8_T0_NS_15PhiloxCudaStateE ; -- Begin function _ZN2at6native12_GLOBAL__N_120fused_dropout_kernelIddjLin1ELin1EhEEvNS_4cuda6detail10TensorInfoIKT_T1_EENS5_IS6_S8_EENS5_IT4_S8_EES8_T0_NS_15PhiloxCudaStateE
	.p2align	8
	.type	_ZN2at6native12_GLOBAL__N_120fused_dropout_kernelIddjLin1ELin1EhEEvNS_4cuda6detail10TensorInfoIKT_T1_EENS5_IS6_S8_EENS5_IT4_S8_EES8_T0_NS_15PhiloxCudaStateE,@function
_ZN2at6native12_GLOBAL__N_120fused_dropout_kernelIddjLin1ELin1EhEEvNS_4cuda6detail10TensorInfoIKT_T1_EENS5_IS6_S8_EENS5_IT4_S8_EES8_T0_NS_15PhiloxCudaStateE: ; @_ZN2at6native12_GLOBAL__N_120fused_dropout_kernelIddjLin1ELin1EhEEvNS_4cuda6detail10TensorInfoIKT_T1_EENS5_IS6_S8_EENS5_IT4_S8_EES8_T0_NS_15PhiloxCudaStateE
; %bb.0:
	s_clause 0x2
	s_load_b64 s[2:3], s[0:1], 0x2a0
	s_load_b128 s[4:7], s[0:1], 0x290
	s_load_b32 s8, s[0:1], 0x2b0
	s_waitcnt lgkmcnt(0)
	v_dual_mov_b32 v1, s2 :: v_dual_mov_b32 v2, s3
	v_dual_mov_b32 v20, s7 :: v_dual_mov_b32 v19, s6
	s_bitcmp0_b32 s8, 0
	s_cbranch_scc1 .LBB62_2
; %bb.1:
	v_dual_mov_b32 v1, s2 :: v_dual_mov_b32 v2, s3
	v_dual_mov_b32 v3, s6 :: v_dual_mov_b32 v4, s7
	s_load_b64 s[2:3], s[0:1], 0x2a8
	flat_load_b64 v[1:2], v[1:2]
	flat_load_b64 v[19:20], v[3:4]
	s_waitcnt vmcnt(1) lgkmcnt(0)
	v_add_co_u32 v1, vcc_lo, v1, s2
	v_add_co_ci_u32_e32 v2, vcc_lo, s3, v2, vcc_lo
.LBB62_2:
	s_clause 0x2
	s_load_b32 s2, s[0:1], 0x2c4
	s_load_b32 s20, s[0:1], 0x2b8
	;; [unrolled: 1-line block ×3, first 2 shown]
	s_waitcnt lgkmcnt(0)
	s_and_b32 s2, s2, 0xffff
	s_add_i32 s7, s22, -1
	s_mul_i32 s20, s20, s2
	v_mad_u64_u32 v[21:22], null, s15, s2, v[0:1]
	s_lshl_b32 s21, s20, 2
	s_delay_alu instid0(SALU_CYCLE_1) | instskip(SKIP_1) | instid1(VALU_DEP_1)
	v_cvt_f32_u32_e32 v3, s21
	s_sub_i32 s6, 0, s21
	v_rcp_iflag_f32_e32 v3, v3
	s_waitcnt_depctr 0xfff
	v_mul_f32_e32 v3, 0x4f7ffffe, v3
	s_delay_alu instid0(VALU_DEP_1) | instskip(NEXT) | instid1(VALU_DEP_1)
	v_cvt_u32_f32_e32 v3, v3
	v_readfirstlane_b32 s3, v3
	s_delay_alu instid0(VALU_DEP_1) | instskip(NEXT) | instid1(SALU_CYCLE_1)
	s_mul_i32 s6, s6, s3
	s_mul_hi_u32 s6, s3, s6
	s_delay_alu instid0(SALU_CYCLE_1) | instskip(NEXT) | instid1(SALU_CYCLE_1)
	s_add_i32 s3, s3, s6
	s_mul_hi_u32 s3, s7, s3
	s_delay_alu instid0(SALU_CYCLE_1) | instskip(NEXT) | instid1(SALU_CYCLE_1)
	s_mul_i32 s6, s3, s21
	s_sub_i32 s6, s7, s6
	s_add_i32 s7, s3, 1
	s_sub_i32 s8, s6, s21
	s_cmp_ge_u32 s6, s21
	s_cselect_b32 s2, s7, s3
	s_cselect_b32 s3, s8, s6
	s_add_i32 s6, s2, 1
	s_cmp_ge_u32 s3, s21
	s_cselect_b32 s2, s6, s2
	s_delay_alu instid0(SALU_CYCLE_1) | instskip(NEXT) | instid1(SALU_CYCLE_1)
	s_add_i32 s2, s2, 1
	s_mul_i32 s23, s21, s2
	s_mov_b32 s2, exec_lo
	v_cmpx_gt_u32_e64 s23, v21
	s_cbranch_execz .LBB62_55
; %bb.3:
	v_div_scale_f64 v[3:4], null, s[4:5], s[4:5], 1.0
	v_div_scale_f64 v[9:10], vcc_lo, 1.0, s[4:5], 1.0
	v_alignbit_b32 v28, v2, v1, 2
	v_lshrrev_b32_e32 v29, 2, v2
	s_waitcnt vmcnt(0)
	v_dual_mov_b32 v23, v20 :: v_dual_mov_b32 v22, 0
	v_add_co_u32 v31, null, 0x9e3779b9, v19
	v_mad_u64_u32 v[11:12], null, 0xd2511f53, v28, 0
	s_delay_alu instid0(VALU_DEP_3) | instskip(SKIP_2) | instid1(VALU_DEP_4)
	v_add_co_u32 v30, null, 0xbb67ae85, v23
	v_add_co_u32 v33, null, 0x76cf5d0a, v23
	;; [unrolled: 1-line block ×3, first 2 shown]
	v_xor_b32_e32 v2, v12, v20
	v_add_co_u32 v34, null, 0x32370b8f, v23
	v_add_co_u32 v35, null, 0xdaa66d2b, v19
	s_delay_alu instid0(VALU_DEP_3)
	v_mad_u64_u32 v[17:18], null, 0xcd9e8d57, v2, 0
	v_add_co_u32 v36, null, 0x78dde6e4, v19
	v_add_co_u32 v37, null, 0xed9eba14, v23
	v_add_co_u32 v38, null, 0xa9066899, v23
	v_add_co_u32 v39, null, 0x1715609d, v19
	v_add_co_u32 v40, null, 0xb54cda56, v19
	v_add_co_u32 v41, null, 0x646e171e, v23
	s_clause 0x1
	s_load_b32 s14, s[0:1], 0xd0
	s_load_b32 s26, s[0:1], 0x144
	v_rcp_f64_e32 v[5:6], v[3:4]
	s_clause 0x1
	s_load_b64 s[8:9], s[0:1], 0x1b0
	s_load_b32 s16, s[0:1], 0x1a8
	v_add_co_u32 v42, null, 0x5384540f, v19
	v_add_co_u32 v43, null, 0x1fd5c5a3, v23
	v_and_b32_e32 v44, 3, v1
	v_add_co_u32 v45, null, 0xdb3d7428, v23
	v_add_co_u32 v46, null, 0xf1bbcdc8, v19
	s_add_u32 s17, s0, 0xd8
	s_addc_u32 s18, s1, 0
	s_clause 0x2
	s_load_b64 s[10:11], s[0:1], 0xd8
	s_load_b32 s24, s[0:1], 0x6c
	s_load_b64 s[12:13], s[0:1], 0x0
	s_mov_b32 s7, 0
	v_dual_mov_b32 v50, 0 :: v_dual_add_nc_u32 v47, 0x8ff34781, v19
	s_waitcnt lgkmcnt(0)
	s_cmp_gt_i32 s14, 1
	v_dual_mov_b32 v49, v21 :: v_dual_add_nc_u32 v48, 0x96a522ad, v20
	s_cselect_b32 s25, -1, 0
	s_cmp_gt_i32 s16, 1
	s_cselect_b32 s27, -1, 0
	s_add_i32 s6, s14, -1
	s_add_i32 s28, s14, 1
	s_lshl_b64 s[2:3], s[6:7], 2
	s_delay_alu instid0(SALU_CYCLE_1) | instskip(SKIP_4) | instid1(SALU_CYCLE_1)
	s_add_u32 s0, s2, s0
	s_addc_u32 s1, s3, s1
	s_add_u32 s14, s0, 8
	s_addc_u32 s15, s1, 0
	s_add_i32 s6, s16, -1
	s_lshl_b64 s[0:1], s[6:7], 2
	s_add_i32 s6, s16, 1
	s_add_u32 s0, s0, s17
	s_addc_u32 s1, s1, s18
	s_add_u32 s16, s0, 8
	s_delay_alu instid0(TRANS32_DEP_1) | instskip(SKIP_1) | instid1(VALU_DEP_1)
	v_fma_f64 v[7:8], -v[3:4], v[5:6], 1.0
	s_addc_u32 s17, s1, 0
	v_fma_f64 v[5:6], v[5:6], v[7:8], v[5:6]
	s_delay_alu instid0(VALU_DEP_1) | instskip(NEXT) | instid1(VALU_DEP_1)
	v_fma_f64 v[7:8], -v[3:4], v[5:6], 1.0
	v_fma_f64 v[5:6], v[5:6], v[7:8], v[5:6]
	v_mad_u64_u32 v[7:8], null, 0xcd9e8d57, v21, 0
	s_delay_alu instid0(VALU_DEP_1) | instskip(NEXT) | instid1(VALU_DEP_2)
	v_xor3_b32 v0, v19, v8, v29
	v_xor3_b32 v2, v18, v31, v7
	s_delay_alu instid0(VALU_DEP_2) | instskip(NEXT) | instid1(VALU_DEP_1)
	v_mad_u64_u32 v[15:16], null, 0xd2511f53, v0, 0
	v_xor3_b32 v0, v30, v16, v11
	s_delay_alu instid0(VALU_DEP_3) | instskip(NEXT) | instid1(VALU_DEP_2)
	v_mad_u64_u32 v[11:12], null, 0xd2511f53, v2, 0
	v_mad_u64_u32 v[7:8], null, 0xcd9e8d57, v0, 0
	s_delay_alu instid0(VALU_DEP_2) | instskip(NEXT) | instid1(VALU_DEP_2)
	v_xor3_b32 v2, v12, v33, v15
	v_xor3_b32 v0, v32, v8, v17
	s_delay_alu instid0(VALU_DEP_2) | instskip(SKIP_1) | instid1(VALU_DEP_3)
	v_mad_u64_u32 v[17:18], null, 0xcd9e8d57, v2, 0
	v_mul_f64 v[13:14], v[9:10], v[5:6]
	v_mad_u64_u32 v[15:16], null, 0xd2511f53, v0, 0
	s_delay_alu instid0(VALU_DEP_1) | instskip(NEXT) | instid1(VALU_DEP_3)
	v_xor3_b32 v0, v34, v16, v11
	v_fma_f64 v[2:3], -v[3:4], v[13:14], v[9:10]
	v_xor3_b32 v4, v18, v35, v7
	s_delay_alu instid0(VALU_DEP_3) | instskip(NEXT) | instid1(VALU_DEP_2)
	v_mad_u64_u32 v[7:8], null, 0xcd9e8d57, v0, 0
	v_mad_u64_u32 v[9:10], null, 0xd2511f53, v4, 0
	s_delay_alu instid0(VALU_DEP_2) | instskip(NEXT) | instid1(VALU_DEP_2)
	v_xor3_b32 v0, v36, v8, v17
	v_xor3_b32 v4, v10, v37, v15
	s_delay_alu instid0(VALU_DEP_2) | instskip(NEXT) | instid1(VALU_DEP_2)
	v_mad_u64_u32 v[10:11], null, 0xd2511f53, v0, 0
	v_mad_u64_u32 v[15:16], null, 0xcd9e8d57, v4, 0
	s_delay_alu instid0(VALU_DEP_2) | instskip(NEXT) | instid1(VALU_DEP_2)
	v_xor3_b32 v0, v38, v11, v9
	v_xor3_b32 v8, v16, v39, v7
	v_div_fmas_f64 v[2:3], v[2:3], v[5:6], v[13:14]
	s_delay_alu instid0(VALU_DEP_3) | instskip(NEXT) | instid1(VALU_DEP_3)
	v_mad_u64_u32 v[4:5], null, 0xcd9e8d57, v0, 0
	v_mad_u64_u32 v[6:7], null, 0xd2511f53, v8, 0
	s_delay_alu instid0(VALU_DEP_2) | instskip(NEXT) | instid1(VALU_DEP_2)
	v_xor3_b32 v0, v40, v5, v15
	v_xor3_b32 v5, v7, v41, v10
	s_delay_alu instid0(VALU_DEP_2) | instskip(NEXT) | instid1(VALU_DEP_2)
	v_mad_u64_u32 v[7:8], null, 0xd2511f53, v0, 0
	v_mad_u64_u32 v[9:10], null, 0xcd9e8d57, v5, 0
	s_delay_alu instid0(VALU_DEP_2) | instskip(NEXT) | instid1(VALU_DEP_2)
	v_xor3_b32 v6, v43, v8, v6
	v_xor3_b32 v4, v10, v42, v4
	s_delay_alu instid0(VALU_DEP_1) | instskip(NEXT) | instid1(VALU_DEP_3)
	v_mad_u64_u32 v[0:1], null, 0xd2511f53, v4, 0
	v_mad_u64_u32 v[4:5], null, 0xcd9e8d57, v6, 0
	s_delay_alu instid0(VALU_DEP_2) | instskip(SKIP_1) | instid1(VALU_DEP_3)
	v_xor3_b32 v1, v1, v45, v7
	v_div_fixup_f64 v[24:25], v[2:3], s[4:5], 1.0
	v_xor3_b32 v3, v46, v5, v9
	s_delay_alu instid0(VALU_DEP_3) | instskip(NEXT) | instid1(VALU_DEP_2)
	v_mad_u64_u32 v[9:10], null, 0xcd9e8d57, v1, 0
	v_mad_u64_u32 v[1:2], null, 0xd2511f53, v3, 0
	s_delay_alu instid0(VALU_DEP_2) | instskip(NEXT) | instid1(VALU_DEP_2)
	v_xor3_b32 v8, v4, v10, v47
	v_xor3_b32 v10, v2, v0, v48
	s_delay_alu instid0(VALU_DEP_3)
	v_mov_b32_e32 v11, v1
                                        ; implicit-def: $vgpr0_vgpr1_vgpr2_vgpr3_vgpr4_vgpr5_vgpr6_vgpr7
	s_branch .LBB62_6
.LBB62_4:                               ;   in Loop: Header=BB62_6 Depth=1
	s_set_inst_prefetch_distance 0x2
	v_cvt_f32_u32_e32 v9, v11
	s_delay_alu instid0(VALU_DEP_1) | instskip(NEXT) | instid1(VALU_DEP_1)
	v_fmaak_f32 v9, 0x2f800000, v9, 0x2f800000
	v_cvt_f64_f32_e32 v[9:10], v9
	s_delay_alu instid0(VALU_DEP_1) | instskip(SKIP_2) | instid1(VALU_DEP_1)
	v_cmp_gt_f64_e32 vcc_lo, s[4:5], v[9:10]
	v_cndmask_b32_e64 v23, 0, 0x3ff00000, vcc_lo
	s_waitcnt vmcnt(0)
	v_mul_f64 v[9:10], v[6:7], v[22:23]
	s_delay_alu instid0(VALU_DEP_1) | instskip(NEXT) | instid1(VALU_DEP_1)
	v_mul_f64 v[9:10], v[24:25], v[9:10]
	v_mad_u64_u32 v[17:18], null, s26, v16, v[8:9]
	v_mov_b32_e32 v18, v22
	v_cndmask_b32_e64 v8, 0, 1, vcc_lo
	s_delay_alu instid0(VALU_DEP_2) | instskip(NEXT) | instid1(VALU_DEP_1)
	v_lshlrev_b64 v[15:16], 3, v[17:18]
	v_add_co_u32 v15, s0, s10, v15
	s_delay_alu instid0(VALU_DEP_1)
	v_add_co_ci_u32_e64 v16, s0, s11, v16, s0
	global_store_b64 v[15:16], v[9:10], off
	global_store_b8 v17, v8, s[8:9]
.LBB62_5:                               ;   in Loop: Header=BB62_6 Depth=1
	s_or_b32 exec_lo, exec_lo, s2
	v_mov_b32_e32 v15, v26
	v_dual_mov_b32 v8, v12 :: v_dual_add_nc_u32 v21, s21, v21
	v_dual_mov_b32 v9, v13 :: v_dual_mov_b32 v10, v14
	s_delay_alu instid0(VALU_DEP_3) | instskip(NEXT) | instid1(VALU_DEP_3)
	v_mov_b32_e32 v11, v15
	v_cmp_le_u32_e32 vcc_lo, s23, v21
	s_waitcnt vmcnt(0)
	s_waitcnt_vscnt null, 0x0
	s_barrier
	buffer_gl0_inv
	s_or_b32 s7, vcc_lo, s7
	s_delay_alu instid0(SALU_CYCLE_1)
	s_and_not1_b32 exec_lo, exec_lo, s7
	s_cbranch_execz .LBB62_55
.LBB62_6:                               ; =>This Loop Header: Depth=1
                                        ;     Child Loop BB62_19 Depth 2
                                        ;     Child Loop BB62_24 Depth 2
	;; [unrolled: 1-line block ×8, first 2 shown]
	v_add_co_u32 v28, vcc_lo, v28, 1
	s_delay_alu instid0(VALU_DEP_1) | instskip(SKIP_2) | instid1(VALU_DEP_1)
	v_cndmask_b32_e64 v12, 0, 1, vcc_lo
	v_add_co_ci_u32_e32 v29, vcc_lo, 0, v29, vcc_lo
	s_mov_b32 s0, exec_lo
	v_cmp_eq_u32_e32 vcc_lo, 0, v29
	s_delay_alu instid0(VALU_DEP_3) | instskip(NEXT) | instid1(VALU_DEP_1)
	v_cndmask_b32_e32 v12, 0, v12, vcc_lo
	v_add_nc_u32_e32 v49, v12, v49
	s_delay_alu instid0(VALU_DEP_1) | instskip(SKIP_2) | instid1(VALU_DEP_2)
	v_cmp_eq_u32_e32 vcc_lo, 0, v49
	v_cndmask_b32_e32 v12, 0, v12, vcc_lo
	v_mad_u64_u32 v[14:15], null, 0xcd9e8d57, v49, 0
	v_add_nc_u32_e32 v50, v12, v50
	v_mad_u64_u32 v[12:13], null, 0xd2511f53, v28, 0
	s_delay_alu instid0(VALU_DEP_3) | instskip(NEXT) | instid1(VALU_DEP_2)
	v_xor3_b32 v17, v15, v19, v29
	v_xor_b32_e32 v13, v13, v20
	s_delay_alu instid0(VALU_DEP_2) | instskip(NEXT) | instid1(VALU_DEP_2)
	v_mad_u64_u32 v[15:16], null, 0xd2511f53, v17, 0
	v_xor_b32_e32 v13, v50, v13
	s_delay_alu instid0(VALU_DEP_2) | instskip(NEXT) | instid1(VALU_DEP_2)
	v_xor3_b32 v16, v30, v16, v12
	v_mad_u64_u32 v[17:18], null, 0xcd9e8d57, v13, 0
	s_delay_alu instid0(VALU_DEP_2) | instskip(NEXT) | instid1(VALU_DEP_2)
	v_mad_u64_u32 v[12:13], null, 0xcd9e8d57, v16, 0
	v_xor3_b32 v14, v31, v18, v14
	s_delay_alu instid0(VALU_DEP_2) | instskip(NEXT) | instid1(VALU_DEP_2)
	v_xor3_b32 v16, v32, v13, v17
	v_mad_u64_u32 v[26:27], null, 0xd2511f53, v14, 0
	s_delay_alu instid0(VALU_DEP_2) | instskip(NEXT) | instid1(VALU_DEP_2)
	v_mad_u64_u32 v[13:14], null, 0xd2511f53, v16, 0
	v_xor3_b32 v17, v33, v27, v15
	s_delay_alu instid0(VALU_DEP_2) | instskip(NEXT) | instid1(VALU_DEP_2)
	v_xor3_b32 v14, v34, v14, v26
	v_mad_u64_u32 v[15:16], null, 0xcd9e8d57, v17, 0
	s_delay_alu instid0(VALU_DEP_1) | instskip(NEXT) | instid1(VALU_DEP_3)
	v_xor3_b32 v12, v35, v16, v12
	v_mad_u64_u32 v[16:17], null, 0xcd9e8d57, v14, 0
	s_delay_alu instid0(VALU_DEP_2) | instskip(NEXT) | instid1(VALU_DEP_2)
	v_mad_u64_u32 v[26:27], null, 0xd2511f53, v12, 0
	v_xor3_b32 v14, v36, v17, v15
	s_delay_alu instid0(VALU_DEP_2) | instskip(NEXT) | instid1(VALU_DEP_2)
	v_xor3_b32 v17, v37, v27, v13
	v_mad_u64_u32 v[12:13], null, 0xd2511f53, v14, 0
	s_delay_alu instid0(VALU_DEP_2) | instskip(NEXT) | instid1(VALU_DEP_2)
	v_mad_u64_u32 v[14:15], null, 0xcd9e8d57, v17, 0
	v_xor3_b32 v13, v38, v13, v26
	s_delay_alu instid0(VALU_DEP_2) | instskip(NEXT) | instid1(VALU_DEP_2)
	;; [unrolled: 6-line block ×6, first 2 shown]
	v_xor3_b32 v12, v14, v15, v47
	v_mov_b32_e32 v14, v18
	v_cmpx_lt_i32_e32 1, v44
	s_xor_b32 s0, exec_lo, s0
	s_cbranch_execnz .LBB62_9
; %bb.7:                                ;   in Loop: Header=BB62_6 Depth=1
	s_and_not1_saveexec_b32 s0, s0
	s_cbranch_execnz .LBB62_14
.LBB62_8:                               ;   in Loop: Header=BB62_6 Depth=1
	s_or_b32 exec_lo, exec_lo, s0
	v_cmp_gt_u32_e64 s3, s22, v21
	s_delay_alu instid0(VALU_DEP_1)
	s_and_saveexec_b32 s2, s3
	s_cbranch_execnz .LBB62_17
	s_branch .LBB62_21
.LBB62_9:                               ;   in Loop: Header=BB62_6 Depth=1
	s_mov_b32 s1, exec_lo
	v_cmpx_lt_i32_e32 2, v44
	s_xor_b32 s1, exec_lo, s1
; %bb.10:                               ;   in Loop: Header=BB62_6 Depth=1
	v_dual_mov_b32 v15, v11 :: v_dual_mov_b32 v16, v12
	v_mov_b32_e32 v17, v13
	s_delay_alu instid0(VALU_DEP_2) | instskip(NEXT) | instid1(VALU_DEP_2)
	v_dual_mov_b32 v8, v15 :: v_dual_mov_b32 v9, v16
	v_dual_mov_b32 v10, v17 :: v_dual_mov_b32 v11, v18
; %bb.11:                               ;   in Loop: Header=BB62_6 Depth=1
	s_and_not1_saveexec_b32 s1, s1
; %bb.12:                               ;   in Loop: Header=BB62_6 Depth=1
	s_delay_alu instid0(VALU_DEP_1)
	v_dual_mov_b32 v8, v10 :: v_dual_mov_b32 v9, v11
	v_dual_mov_b32 v10, v12 :: v_dual_mov_b32 v11, v13
; %bb.13:                               ;   in Loop: Header=BB62_6 Depth=1
	s_or_b32 exec_lo, exec_lo, s1
	s_and_not1_saveexec_b32 s0, s0
	s_cbranch_execz .LBB62_8
.LBB62_14:                              ;   in Loop: Header=BB62_6 Depth=1
	s_mov_b32 s1, exec_lo
	v_cmpx_eq_u32_e32 1, v44
; %bb.15:                               ;   in Loop: Header=BB62_6 Depth=1
	v_dual_mov_b32 v8, v9 :: v_dual_mov_b32 v9, v10
	v_dual_mov_b32 v10, v11 :: v_dual_mov_b32 v11, v12
; %bb.16:                               ;   in Loop: Header=BB62_6 Depth=1
	s_or_b32 exec_lo, exec_lo, s1
	s_delay_alu instid0(SALU_CYCLE_1) | instskip(SKIP_1) | instid1(VALU_DEP_1)
	s_or_b32 exec_lo, exec_lo, s0
	v_cmp_gt_u32_e64 s3, s22, v21
	s_and_saveexec_b32 s2, s3
	s_cbranch_execz .LBB62_21
.LBB62_17:                              ;   in Loop: Header=BB62_6 Depth=1
	v_dual_mov_b32 v0, 0 :: v_dual_mov_b32 v1, v21
	s_and_not1_b32 vcc_lo, exec_lo, s25
	s_cbranch_vccnz .LBB62_20
; %bb.18:                               ;   in Loop: Header=BB62_6 Depth=1
	v_dual_mov_b32 v0, 0 :: v_dual_mov_b32 v1, v21
	s_mov_b64 s[0:1], s[14:15]
	s_mov_b32 s18, s28
	s_set_inst_prefetch_distance 0x1
	.p2align	6
.LBB62_19:                              ;   Parent Loop BB62_6 Depth=1
                                        ; =>  This Inner Loop Header: Depth=2
	s_clause 0x1
	s_load_b32 s19, s[0:1], 0x0
	s_load_b32 s29, s[0:1], 0x64
	v_mov_b32_e32 v17, v1
	s_add_i32 s18, s18, -1
	s_waitcnt lgkmcnt(0)
	v_cvt_f32_u32_e32 v15, s19
	s_sub_i32 s30, 0, s19
	s_add_u32 s0, s0, -4
	s_addc_u32 s1, s1, -1
	s_cmp_gt_u32 s18, 2
	v_rcp_iflag_f32_e32 v15, v15
	s_waitcnt_depctr 0xfff
	v_mul_f32_e32 v15, 0x4f7ffffe, v15
	s_delay_alu instid0(VALU_DEP_1) | instskip(NEXT) | instid1(VALU_DEP_1)
	v_cvt_u32_f32_e32 v15, v15
	v_mul_lo_u32 v16, s30, v15
	s_delay_alu instid0(VALU_DEP_1) | instskip(NEXT) | instid1(VALU_DEP_1)
	v_mul_hi_u32 v16, v15, v16
	v_add_nc_u32_e32 v1, v15, v16
	s_delay_alu instid0(VALU_DEP_1) | instskip(NEXT) | instid1(VALU_DEP_1)
	v_mul_hi_u32 v1, v17, v1
	v_add_nc_u32_e32 v16, 1, v1
	v_mul_lo_u32 v15, v1, s19
	s_delay_alu instid0(VALU_DEP_1) | instskip(NEXT) | instid1(VALU_DEP_1)
	v_sub_nc_u32_e32 v15, v17, v15
	v_subrev_nc_u32_e32 v18, s19, v15
	v_cmp_le_u32_e32 vcc_lo, s19, v15
	v_cndmask_b32_e32 v1, v1, v16, vcc_lo
	s_delay_alu instid0(VALU_DEP_1) | instskip(NEXT) | instid1(VALU_DEP_1)
	v_dual_cndmask_b32 v15, v15, v18 :: v_dual_add_nc_u32 v16, 1, v1
	v_cmp_le_u32_e32 vcc_lo, s19, v15
	s_delay_alu instid0(VALU_DEP_2) | instskip(NEXT) | instid1(VALU_DEP_1)
	v_cndmask_b32_e32 v1, v1, v16, vcc_lo
	v_mul_lo_u32 v15, v1, s19
	s_delay_alu instid0(VALU_DEP_1) | instskip(NEXT) | instid1(VALU_DEP_1)
	v_sub_nc_u32_e32 v17, v17, v15
	v_mad_u64_u32 v[15:16], null, s29, v17, v[0:1]
	s_delay_alu instid0(VALU_DEP_1)
	v_mov_b32_e32 v0, v15
	s_cbranch_scc1 .LBB62_19
.LBB62_20:                              ;   in Loop: Header=BB62_6 Depth=1
	s_set_inst_prefetch_distance 0x2
	s_delay_alu instid0(VALU_DEP_1) | instskip(SKIP_1) | instid1(VALU_DEP_1)
	v_mad_u64_u32 v[15:16], null, s24, v1, v[0:1]
	v_mov_b32_e32 v16, v22
	v_lshlrev_b64 v[0:1], 3, v[15:16]
	s_delay_alu instid0(VALU_DEP_1) | instskip(NEXT) | instid1(VALU_DEP_2)
	v_add_co_u32 v0, vcc_lo, s12, v0
	v_add_co_ci_u32_e32 v1, vcc_lo, s13, v1, vcc_lo
	global_load_b64 v[0:1], v[0:1], off
.LBB62_21:                              ;   in Loop: Header=BB62_6 Depth=1
	s_or_b32 exec_lo, exec_lo, s2
	v_add_nc_u32_e32 v18, s20, v21
	s_delay_alu instid0(VALU_DEP_1) | instskip(NEXT) | instid1(VALU_DEP_1)
	v_cmp_gt_u32_e64 s2, s22, v18
	s_and_saveexec_b32 s18, s2
	s_cbranch_execz .LBB62_26
; %bb.22:                               ;   in Loop: Header=BB62_6 Depth=1
	v_dual_mov_b32 v2, 0 :: v_dual_mov_b32 v3, v18
	s_and_not1_b32 vcc_lo, exec_lo, s25
	s_cbranch_vccnz .LBB62_25
; %bb.23:                               ;   in Loop: Header=BB62_6 Depth=1
	v_dual_mov_b32 v2, 0 :: v_dual_mov_b32 v3, v18
	s_mov_b64 s[0:1], s[14:15]
	s_mov_b32 s19, s28
	s_set_inst_prefetch_distance 0x1
	.p2align	6
.LBB62_24:                              ;   Parent Loop BB62_6 Depth=1
                                        ; =>  This Inner Loop Header: Depth=2
	s_clause 0x1
	s_load_b32 s29, s[0:1], 0x0
	s_load_b32 s30, s[0:1], 0x64
	v_mov_b32_e32 v17, v3
	s_add_i32 s19, s19, -1
	s_waitcnt lgkmcnt(0)
	v_cvt_f32_u32_e32 v15, s29
	s_sub_i32 s31, 0, s29
	s_add_u32 s0, s0, -4
	s_addc_u32 s1, s1, -1
	s_cmp_gt_u32 s19, 2
	v_rcp_iflag_f32_e32 v15, v15
	s_waitcnt_depctr 0xfff
	v_mul_f32_e32 v15, 0x4f7ffffe, v15
	s_delay_alu instid0(VALU_DEP_1) | instskip(NEXT) | instid1(VALU_DEP_1)
	v_cvt_u32_f32_e32 v15, v15
	v_mul_lo_u32 v16, s31, v15
	s_delay_alu instid0(VALU_DEP_1) | instskip(NEXT) | instid1(VALU_DEP_1)
	v_mul_hi_u32 v16, v15, v16
	v_add_nc_u32_e32 v3, v15, v16
	s_delay_alu instid0(VALU_DEP_1) | instskip(NEXT) | instid1(VALU_DEP_1)
	v_mul_hi_u32 v3, v17, v3
	v_add_nc_u32_e32 v16, 1, v3
	v_mul_lo_u32 v15, v3, s29
	s_delay_alu instid0(VALU_DEP_1) | instskip(NEXT) | instid1(VALU_DEP_1)
	v_sub_nc_u32_e32 v15, v17, v15
	v_subrev_nc_u32_e32 v23, s29, v15
	v_cmp_le_u32_e32 vcc_lo, s29, v15
	v_cndmask_b32_e32 v3, v3, v16, vcc_lo
	s_delay_alu instid0(VALU_DEP_3) | instskip(NEXT) | instid1(VALU_DEP_2)
	v_cndmask_b32_e32 v15, v15, v23, vcc_lo
	v_add_nc_u32_e32 v16, 1, v3
	s_delay_alu instid0(VALU_DEP_2) | instskip(NEXT) | instid1(VALU_DEP_2)
	v_cmp_le_u32_e32 vcc_lo, s29, v15
	v_cndmask_b32_e32 v3, v3, v16, vcc_lo
	s_delay_alu instid0(VALU_DEP_1) | instskip(NEXT) | instid1(VALU_DEP_1)
	v_mul_lo_u32 v15, v3, s29
	v_sub_nc_u32_e32 v17, v17, v15
	s_delay_alu instid0(VALU_DEP_1) | instskip(NEXT) | instid1(VALU_DEP_1)
	v_mad_u64_u32 v[15:16], null, s30, v17, v[2:3]
	v_mov_b32_e32 v2, v15
	s_cbranch_scc1 .LBB62_24
.LBB62_25:                              ;   in Loop: Header=BB62_6 Depth=1
	s_set_inst_prefetch_distance 0x2
	s_delay_alu instid0(VALU_DEP_1) | instskip(SKIP_1) | instid1(VALU_DEP_1)
	v_mad_u64_u32 v[15:16], null, s24, v3, v[2:3]
	v_mov_b32_e32 v16, v22
	v_lshlrev_b64 v[2:3], 3, v[15:16]
	s_delay_alu instid0(VALU_DEP_1) | instskip(NEXT) | instid1(VALU_DEP_2)
	v_add_co_u32 v2, vcc_lo, s12, v2
	v_add_co_ci_u32_e32 v3, vcc_lo, s13, v3, vcc_lo
	global_load_b64 v[2:3], v[2:3], off
.LBB62_26:                              ;   in Loop: Header=BB62_6 Depth=1
	s_or_b32 exec_lo, exec_lo, s18
	v_add_nc_u32_e32 v17, s20, v18
	s_delay_alu instid0(VALU_DEP_1) | instskip(NEXT) | instid1(VALU_DEP_1)
	v_cmp_gt_u32_e64 s1, s22, v17
	s_and_saveexec_b32 s0, s1
	s_cbranch_execz .LBB62_31
; %bb.27:                               ;   in Loop: Header=BB62_6 Depth=1
	v_dual_mov_b32 v4, 0 :: v_dual_mov_b32 v5, v17
	s_and_not1_b32 vcc_lo, exec_lo, s25
	s_cbranch_vccnz .LBB62_30
; %bb.28:                               ;   in Loop: Header=BB62_6 Depth=1
	v_dual_mov_b32 v4, 0 :: v_dual_mov_b32 v5, v17
	s_mov_b64 s[18:19], s[14:15]
	s_mov_b32 s29, s28
	s_set_inst_prefetch_distance 0x1
	.p2align	6
.LBB62_29:                              ;   Parent Loop BB62_6 Depth=1
                                        ; =>  This Inner Loop Header: Depth=2
	s_clause 0x1
	s_load_b32 s30, s[18:19], 0x0
	s_load_b32 s31, s[18:19], 0x64
	v_mov_b32_e32 v23, v5
	s_add_i32 s29, s29, -1
	s_waitcnt lgkmcnt(0)
	v_cvt_f32_u32_e32 v15, s30
	s_sub_i32 s33, 0, s30
	s_add_u32 s18, s18, -4
	s_addc_u32 s19, s19, -1
	s_cmp_gt_u32 s29, 2
	v_rcp_iflag_f32_e32 v15, v15
	s_waitcnt_depctr 0xfff
	v_mul_f32_e32 v15, 0x4f7ffffe, v15
	s_delay_alu instid0(VALU_DEP_1) | instskip(NEXT) | instid1(VALU_DEP_1)
	v_cvt_u32_f32_e32 v15, v15
	v_mul_lo_u32 v16, s33, v15
	s_delay_alu instid0(VALU_DEP_1) | instskip(NEXT) | instid1(VALU_DEP_1)
	v_mul_hi_u32 v16, v15, v16
	v_add_nc_u32_e32 v5, v15, v16
	s_delay_alu instid0(VALU_DEP_1) | instskip(NEXT) | instid1(VALU_DEP_1)
	v_mul_hi_u32 v5, v23, v5
	v_add_nc_u32_e32 v16, 1, v5
	v_mul_lo_u32 v15, v5, s30
	s_delay_alu instid0(VALU_DEP_1) | instskip(NEXT) | instid1(VALU_DEP_1)
	v_sub_nc_u32_e32 v15, v23, v15
	v_subrev_nc_u32_e32 v27, s30, v15
	v_cmp_le_u32_e32 vcc_lo, s30, v15
	v_cndmask_b32_e32 v5, v5, v16, vcc_lo
	s_delay_alu instid0(VALU_DEP_1) | instskip(NEXT) | instid1(VALU_DEP_1)
	v_dual_cndmask_b32 v15, v15, v27 :: v_dual_add_nc_u32 v16, 1, v5
	v_cmp_le_u32_e32 vcc_lo, s30, v15
	s_delay_alu instid0(VALU_DEP_2) | instskip(NEXT) | instid1(VALU_DEP_1)
	v_cndmask_b32_e32 v5, v5, v16, vcc_lo
	v_mul_lo_u32 v15, v5, s30
	s_delay_alu instid0(VALU_DEP_1) | instskip(NEXT) | instid1(VALU_DEP_1)
	v_sub_nc_u32_e32 v23, v23, v15
	v_mad_u64_u32 v[15:16], null, s31, v23, v[4:5]
	s_delay_alu instid0(VALU_DEP_1)
	v_mov_b32_e32 v4, v15
	s_cbranch_scc1 .LBB62_29
.LBB62_30:                              ;   in Loop: Header=BB62_6 Depth=1
	s_set_inst_prefetch_distance 0x2
	s_delay_alu instid0(VALU_DEP_1) | instskip(SKIP_1) | instid1(VALU_DEP_1)
	v_mad_u64_u32 v[15:16], null, s24, v5, v[4:5]
	v_mov_b32_e32 v16, v22
	v_lshlrev_b64 v[4:5], 3, v[15:16]
	s_delay_alu instid0(VALU_DEP_1) | instskip(NEXT) | instid1(VALU_DEP_2)
	v_add_co_u32 v4, vcc_lo, s12, v4
	v_add_co_ci_u32_e32 v5, vcc_lo, s13, v5, vcc_lo
	global_load_b64 v[4:5], v[4:5], off
.LBB62_31:                              ;   in Loop: Header=BB62_6 Depth=1
	s_or_b32 exec_lo, exec_lo, s0
	v_add_nc_u32_e32 v16, s20, v17
	s_delay_alu instid0(VALU_DEP_1) | instskip(NEXT) | instid1(VALU_DEP_1)
	v_cmp_gt_u32_e64 s0, s22, v16
	s_and_saveexec_b32 s29, s0
	s_cbranch_execnz .LBB62_36
; %bb.32:                               ;   in Loop: Header=BB62_6 Depth=1
	s_or_b32 exec_lo, exec_lo, s29
	s_and_saveexec_b32 s29, s3
	s_cbranch_execnz .LBB62_40
.LBB62_33:                              ;   in Loop: Header=BB62_6 Depth=1
	s_or_b32 exec_lo, exec_lo, s29
	s_and_saveexec_b32 s18, s2
	s_cbranch_execnz .LBB62_44
.LBB62_34:                              ;   in Loop: Header=BB62_6 Depth=1
	s_or_b32 exec_lo, exec_lo, s18
	s_and_saveexec_b32 s18, s1
	s_cbranch_execnz .LBB62_48
.LBB62_35:                              ;   in Loop: Header=BB62_6 Depth=1
	s_or_b32 exec_lo, exec_lo, s18
	s_and_saveexec_b32 s2, s0
	s_cbranch_execz .LBB62_5
	s_branch .LBB62_52
.LBB62_36:                              ;   in Loop: Header=BB62_6 Depth=1
	v_dual_mov_b32 v6, 0 :: v_dual_mov_b32 v7, v16
	s_and_not1_b32 vcc_lo, exec_lo, s25
	s_cbranch_vccnz .LBB62_39
; %bb.37:                               ;   in Loop: Header=BB62_6 Depth=1
	v_dual_mov_b32 v6, 0 :: v_dual_mov_b32 v7, v16
	s_mov_b64 s[18:19], s[14:15]
	s_mov_b32 s30, s28
	s_set_inst_prefetch_distance 0x1
	.p2align	6
.LBB62_38:                              ;   Parent Loop BB62_6 Depth=1
                                        ; =>  This Inner Loop Header: Depth=2
	s_clause 0x1
	s_load_b32 s31, s[18:19], 0x0
	s_load_b32 s33, s[18:19], 0x64
	v_mov_b32_e32 v27, v7
	s_add_i32 s30, s30, -1
	s_waitcnt lgkmcnt(0)
	v_cvt_f32_u32_e32 v15, s31
	s_sub_i32 s34, 0, s31
	s_add_u32 s18, s18, -4
	s_addc_u32 s19, s19, -1
	s_cmp_gt_u32 s30, 2
	v_rcp_iflag_f32_e32 v15, v15
	s_waitcnt_depctr 0xfff
	v_mul_f32_e32 v15, 0x4f7ffffe, v15
	s_delay_alu instid0(VALU_DEP_1) | instskip(NEXT) | instid1(VALU_DEP_1)
	v_cvt_u32_f32_e32 v15, v15
	v_mul_lo_u32 v23, s34, v15
	s_delay_alu instid0(VALU_DEP_1) | instskip(NEXT) | instid1(VALU_DEP_1)
	v_mul_hi_u32 v23, v15, v23
	v_add_nc_u32_e32 v7, v15, v23
	s_delay_alu instid0(VALU_DEP_1) | instskip(NEXT) | instid1(VALU_DEP_1)
	v_mul_hi_u32 v7, v27, v7
	v_mul_lo_u32 v15, v7, s31
	v_add_nc_u32_e32 v23, 1, v7
	s_delay_alu instid0(VALU_DEP_2) | instskip(NEXT) | instid1(VALU_DEP_1)
	v_sub_nc_u32_e32 v15, v27, v15
	v_subrev_nc_u32_e32 v51, s31, v15
	v_cmp_le_u32_e32 vcc_lo, s31, v15
	s_delay_alu instid0(VALU_DEP_4) | instskip(NEXT) | instid1(VALU_DEP_3)
	v_cndmask_b32_e32 v7, v7, v23, vcc_lo
	v_cndmask_b32_e32 v15, v15, v51, vcc_lo
	s_delay_alu instid0(VALU_DEP_2) | instskip(NEXT) | instid1(VALU_DEP_2)
	v_add_nc_u32_e32 v23, 1, v7
	v_cmp_le_u32_e32 vcc_lo, s31, v15
	s_delay_alu instid0(VALU_DEP_2) | instskip(NEXT) | instid1(VALU_DEP_1)
	v_cndmask_b32_e32 v7, v7, v23, vcc_lo
	v_mul_lo_u32 v15, v7, s31
	s_delay_alu instid0(VALU_DEP_1) | instskip(NEXT) | instid1(VALU_DEP_1)
	v_sub_nc_u32_e32 v15, v27, v15
	v_mad_u64_u32 v[51:52], null, s33, v15, v[6:7]
	s_delay_alu instid0(VALU_DEP_1)
	v_mov_b32_e32 v6, v51
	s_cbranch_scc1 .LBB62_38
.LBB62_39:                              ;   in Loop: Header=BB62_6 Depth=1
	s_set_inst_prefetch_distance 0x2
	s_delay_alu instid0(VALU_DEP_1) | instskip(SKIP_1) | instid1(VALU_DEP_1)
	v_mad_u64_u32 v[51:52], null, s24, v7, v[6:7]
	v_mov_b32_e32 v52, v22
	v_lshlrev_b64 v[6:7], 3, v[51:52]
	s_delay_alu instid0(VALU_DEP_1) | instskip(NEXT) | instid1(VALU_DEP_2)
	v_add_co_u32 v6, vcc_lo, s12, v6
	v_add_co_ci_u32_e32 v7, vcc_lo, s13, v7, vcc_lo
	global_load_b64 v[6:7], v[6:7], off
	s_or_b32 exec_lo, exec_lo, s29
	s_and_saveexec_b32 s29, s3
	s_cbranch_execz .LBB62_33
.LBB62_40:                              ;   in Loop: Header=BB62_6 Depth=1
	v_mov_b32_e32 v15, 0
	v_mov_b32_e32 v27, v21
	s_and_not1_b32 vcc_lo, exec_lo, s27
	s_cbranch_vccnz .LBB62_43
; %bb.41:                               ;   in Loop: Header=BB62_6 Depth=1
	v_mov_b32_e32 v15, 0
	v_mov_b32_e32 v27, v21
	s_mov_b64 s[18:19], s[16:17]
	s_mov_b32 s3, s6
	s_set_inst_prefetch_distance 0x1
	.p2align	6
.LBB62_42:                              ;   Parent Loop BB62_6 Depth=1
                                        ; =>  This Inner Loop Header: Depth=2
	s_clause 0x1
	s_load_b32 s30, s[18:19], 0x0
	s_load_b32 s31, s[18:19], 0x64
	s_add_i32 s3, s3, -1
	v_mov_b32_e32 v52, v27
	s_waitcnt lgkmcnt(0)
	v_cvt_f32_u32_e32 v23, s30
	s_sub_i32 s33, 0, s30
	s_add_u32 s18, s18, -4
	s_addc_u32 s19, s19, -1
	s_cmp_gt_u32 s3, 2
	v_rcp_iflag_f32_e32 v23, v23
	s_waitcnt_depctr 0xfff
	v_mul_f32_e32 v23, 0x4f7ffffe, v23
	s_delay_alu instid0(VALU_DEP_1) | instskip(NEXT) | instid1(VALU_DEP_1)
	v_cvt_u32_f32_e32 v23, v23
	v_mul_lo_u32 v51, s33, v23
	s_delay_alu instid0(VALU_DEP_1) | instskip(NEXT) | instid1(VALU_DEP_1)
	v_mul_hi_u32 v51, v23, v51
	v_add_nc_u32_e32 v23, v23, v51
	s_delay_alu instid0(VALU_DEP_1) | instskip(NEXT) | instid1(VALU_DEP_1)
	v_mul_hi_u32 v23, v52, v23
	v_mul_lo_u32 v27, v23, s30
	v_add_nc_u32_e32 v51, 1, v23
	s_delay_alu instid0(VALU_DEP_2) | instskip(NEXT) | instid1(VALU_DEP_1)
	v_sub_nc_u32_e32 v27, v52, v27
	v_subrev_nc_u32_e32 v53, s30, v27
	v_cmp_le_u32_e32 vcc_lo, s30, v27
	s_delay_alu instid0(VALU_DEP_4) | instskip(NEXT) | instid1(VALU_DEP_3)
	v_cndmask_b32_e32 v23, v23, v51, vcc_lo
	v_cndmask_b32_e32 v27, v27, v53, vcc_lo
	s_delay_alu instid0(VALU_DEP_2) | instskip(NEXT) | instid1(VALU_DEP_2)
	v_add_nc_u32_e32 v51, 1, v23
	v_cmp_le_u32_e32 vcc_lo, s30, v27
	s_delay_alu instid0(VALU_DEP_2) | instskip(NEXT) | instid1(VALU_DEP_1)
	v_cndmask_b32_e32 v27, v23, v51, vcc_lo
	v_mul_lo_u32 v23, v27, s30
	s_delay_alu instid0(VALU_DEP_1) | instskip(NEXT) | instid1(VALU_DEP_1)
	v_sub_nc_u32_e32 v23, v52, v23
	v_mad_u64_u32 v[51:52], null, s31, v23, v[15:16]
	s_delay_alu instid0(VALU_DEP_1)
	v_mov_b32_e32 v15, v51
	s_cbranch_scc1 .LBB62_42
.LBB62_43:                              ;   in Loop: Header=BB62_6 Depth=1
	s_set_inst_prefetch_distance 0x2
	v_cvt_f32_u32_e32 v8, v8
	s_delay_alu instid0(VALU_DEP_2) | instskip(SKIP_1) | instid1(VALU_DEP_3)
	v_mad_u64_u32 v[53:54], null, s26, v27, v[15:16]
	v_mov_b32_e32 v54, v22
	v_fmaak_f32 v8, 0x2f800000, v8, 0x2f800000
	s_delay_alu instid0(VALU_DEP_2) | instskip(NEXT) | instid1(VALU_DEP_2)
	v_lshlrev_b64 v[54:55], 3, v[53:54]
	v_cvt_f64_f32_e32 v[51:52], v8
	s_delay_alu instid0(VALU_DEP_2) | instskip(NEXT) | instid1(VALU_DEP_1)
	v_add_co_u32 v54, s3, s10, v54
	v_add_co_ci_u32_e64 v55, s3, s11, v55, s3
	s_delay_alu instid0(VALU_DEP_3) | instskip(SKIP_3) | instid1(VALU_DEP_2)
	v_cmp_gt_f64_e32 vcc_lo, s[4:5], v[51:52]
	v_cndmask_b32_e64 v23, 0, 0x3ff00000, vcc_lo
	v_cndmask_b32_e64 v8, 0, 1, vcc_lo
	s_waitcnt vmcnt(0)
	v_mul_f64 v[51:52], v[0:1], v[22:23]
	s_delay_alu instid0(VALU_DEP_1)
	v_mul_f64 v[51:52], v[24:25], v[51:52]
	global_store_b64 v[54:55], v[51:52], off
	global_store_b8 v53, v8, s[8:9]
	s_or_b32 exec_lo, exec_lo, s29
	s_and_saveexec_b32 s18, s2
	s_cbranch_execz .LBB62_34
.LBB62_44:                              ;   in Loop: Header=BB62_6 Depth=1
	v_mov_b32_e32 v8, 0
	s_and_not1_b32 vcc_lo, exec_lo, s27
	s_cbranch_vccnz .LBB62_47
; %bb.45:                               ;   in Loop: Header=BB62_6 Depth=1
	v_mov_b32_e32 v8, 0
	s_mov_b64 s[2:3], s[16:17]
	s_mov_b32 s19, s6
	s_set_inst_prefetch_distance 0x1
	.p2align	6
.LBB62_46:                              ;   Parent Loop BB62_6 Depth=1
                                        ; =>  This Inner Loop Header: Depth=2
	s_clause 0x1
	s_load_b32 s29, s[2:3], 0x0
	s_load_b32 s30, s[2:3], 0x64
	v_mov_b32_e32 v27, v18
	s_add_i32 s19, s19, -1
	s_waitcnt lgkmcnt(0)
	v_cvt_f32_u32_e32 v15, s29
	s_sub_i32 s31, 0, s29
	s_add_u32 s2, s2, -4
	s_addc_u32 s3, s3, -1
	s_cmp_gt_u32 s19, 2
	v_rcp_iflag_f32_e32 v15, v15
	s_waitcnt_depctr 0xfff
	v_mul_f32_e32 v15, 0x4f7ffffe, v15
	s_delay_alu instid0(VALU_DEP_1) | instskip(NEXT) | instid1(VALU_DEP_1)
	v_cvt_u32_f32_e32 v15, v15
	v_mul_lo_u32 v23, s31, v15
	s_delay_alu instid0(VALU_DEP_1) | instskip(NEXT) | instid1(VALU_DEP_1)
	v_mul_hi_u32 v23, v15, v23
	v_add_nc_u32_e32 v15, v15, v23
	s_delay_alu instid0(VALU_DEP_1) | instskip(NEXT) | instid1(VALU_DEP_1)
	v_mul_hi_u32 v15, v27, v15
	v_mul_lo_u32 v18, v15, s29
	v_add_nc_u32_e32 v23, 1, v15
	s_delay_alu instid0(VALU_DEP_2) | instskip(NEXT) | instid1(VALU_DEP_1)
	v_sub_nc_u32_e32 v18, v27, v18
	v_subrev_nc_u32_e32 v51, s29, v18
	v_cmp_le_u32_e32 vcc_lo, s29, v18
	s_delay_alu instid0(VALU_DEP_4) | instskip(NEXT) | instid1(VALU_DEP_3)
	v_cndmask_b32_e32 v15, v15, v23, vcc_lo
	v_cndmask_b32_e32 v18, v18, v51, vcc_lo
	s_delay_alu instid0(VALU_DEP_2) | instskip(NEXT) | instid1(VALU_DEP_2)
	v_add_nc_u32_e32 v23, 1, v15
	v_cmp_le_u32_e32 vcc_lo, s29, v18
	s_delay_alu instid0(VALU_DEP_2) | instskip(NEXT) | instid1(VALU_DEP_1)
	v_cndmask_b32_e32 v18, v15, v23, vcc_lo
	v_mul_lo_u32 v15, v18, s29
	s_delay_alu instid0(VALU_DEP_1) | instskip(NEXT) | instid1(VALU_DEP_1)
	v_sub_nc_u32_e32 v15, v27, v15
	v_mad_u64_u32 v[51:52], null, s30, v15, v[8:9]
	s_delay_alu instid0(VALU_DEP_1)
	v_mov_b32_e32 v8, v51
	s_cbranch_scc1 .LBB62_46
.LBB62_47:                              ;   in Loop: Header=BB62_6 Depth=1
	s_set_inst_prefetch_distance 0x2
	v_cvt_f32_u32_e32 v9, v9
	s_delay_alu instid0(VALU_DEP_1) | instskip(NEXT) | instid1(VALU_DEP_1)
	v_fmaak_f32 v9, 0x2f800000, v9, 0x2f800000
	v_mad_u64_u32 v[53:54], null, s26, v18, v[8:9]
	v_mov_b32_e32 v54, v22
	v_cvt_f64_f32_e32 v[51:52], v9
	s_delay_alu instid0(VALU_DEP_2) | instskip(NEXT) | instid1(VALU_DEP_1)
	v_lshlrev_b64 v[8:9], 3, v[53:54]
	v_add_co_u32 v8, s2, s10, v8
	s_delay_alu instid0(VALU_DEP_1) | instskip(NEXT) | instid1(VALU_DEP_4)
	v_add_co_ci_u32_e64 v9, s2, s11, v9, s2
	v_cmp_gt_f64_e32 vcc_lo, s[4:5], v[51:52]
	v_cndmask_b32_e64 v23, 0, 0x3ff00000, vcc_lo
	v_cndmask_b32_e64 v15, 0, 1, vcc_lo
	s_waitcnt vmcnt(0)
	s_delay_alu instid0(VALU_DEP_2) | instskip(NEXT) | instid1(VALU_DEP_1)
	v_mul_f64 v[51:52], v[2:3], v[22:23]
	v_mul_f64 v[51:52], v[24:25], v[51:52]
	global_store_b64 v[8:9], v[51:52], off
	global_store_b8 v53, v15, s[8:9]
	s_or_b32 exec_lo, exec_lo, s18
	s_and_saveexec_b32 s18, s1
	s_cbranch_execz .LBB62_35
.LBB62_48:                              ;   in Loop: Header=BB62_6 Depth=1
	v_mov_b32_e32 v8, 0
	s_and_not1_b32 vcc_lo, exec_lo, s27
	s_cbranch_vccnz .LBB62_51
; %bb.49:                               ;   in Loop: Header=BB62_6 Depth=1
	v_mov_b32_e32 v8, 0
	s_mov_b64 s[2:3], s[16:17]
	s_mov_b32 s1, s6
	s_set_inst_prefetch_distance 0x1
	.p2align	6
.LBB62_50:                              ;   Parent Loop BB62_6 Depth=1
                                        ; =>  This Inner Loop Header: Depth=2
	s_clause 0x1
	s_load_b32 s19, s[2:3], 0x0
	s_load_b32 s29, s[2:3], 0x64
	s_add_i32 s1, s1, -1
	v_mov_b32_e32 v18, v17
	s_waitcnt lgkmcnt(0)
	v_cvt_f32_u32_e32 v9, s19
	s_sub_i32 s30, 0, s19
	s_add_u32 s2, s2, -4
	s_addc_u32 s3, s3, -1
	s_cmp_gt_u32 s1, 2
	v_rcp_iflag_f32_e32 v9, v9
	s_waitcnt_depctr 0xfff
	v_mul_f32_e32 v9, 0x4f7ffffe, v9
	s_delay_alu instid0(VALU_DEP_1) | instskip(NEXT) | instid1(VALU_DEP_1)
	v_cvt_u32_f32_e32 v9, v9
	v_mul_lo_u32 v15, s30, v9
	s_delay_alu instid0(VALU_DEP_1) | instskip(NEXT) | instid1(VALU_DEP_1)
	v_mul_hi_u32 v15, v9, v15
	v_add_nc_u32_e32 v9, v9, v15
	s_delay_alu instid0(VALU_DEP_1) | instskip(NEXT) | instid1(VALU_DEP_1)
	v_mul_hi_u32 v9, v18, v9
	v_mul_lo_u32 v15, v9, s19
	v_add_nc_u32_e32 v17, 1, v9
	s_delay_alu instid0(VALU_DEP_2) | instskip(NEXT) | instid1(VALU_DEP_1)
	v_sub_nc_u32_e32 v15, v18, v15
	v_subrev_nc_u32_e32 v23, s19, v15
	v_cmp_le_u32_e32 vcc_lo, s19, v15
	s_delay_alu instid0(VALU_DEP_4) | instskip(NEXT) | instid1(VALU_DEP_3)
	v_cndmask_b32_e32 v9, v9, v17, vcc_lo
	v_cndmask_b32_e32 v15, v15, v23, vcc_lo
	s_delay_alu instid0(VALU_DEP_2) | instskip(NEXT) | instid1(VALU_DEP_2)
	v_add_nc_u32_e32 v17, 1, v9
	v_cmp_le_u32_e32 vcc_lo, s19, v15
	s_delay_alu instid0(VALU_DEP_2) | instskip(NEXT) | instid1(VALU_DEP_1)
	v_cndmask_b32_e32 v17, v9, v17, vcc_lo
	v_mul_lo_u32 v9, v17, s19
	s_delay_alu instid0(VALU_DEP_1) | instskip(NEXT) | instid1(VALU_DEP_1)
	v_sub_nc_u32_e32 v9, v18, v9
	v_mad_u64_u32 v[51:52], null, s29, v9, v[8:9]
	s_delay_alu instid0(VALU_DEP_1)
	v_mov_b32_e32 v8, v51
	s_cbranch_scc1 .LBB62_50
.LBB62_51:                              ;   in Loop: Header=BB62_6 Depth=1
	s_set_inst_prefetch_distance 0x2
	v_cvt_f32_u32_e32 v9, v10
	s_delay_alu instid0(VALU_DEP_1) | instskip(NEXT) | instid1(VALU_DEP_1)
	v_fmaak_f32 v9, 0x2f800000, v9, 0x2f800000
	v_cvt_f64_f32_e32 v[9:10], v9
	s_delay_alu instid0(VALU_DEP_1) | instskip(SKIP_2) | instid1(VALU_DEP_1)
	v_cmp_gt_f64_e32 vcc_lo, s[4:5], v[9:10]
	v_cndmask_b32_e64 v23, 0, 0x3ff00000, vcc_lo
	s_waitcnt vmcnt(0)
	v_mul_f64 v[9:10], v[4:5], v[22:23]
	s_delay_alu instid0(VALU_DEP_1) | instskip(NEXT) | instid1(VALU_DEP_1)
	v_mul_f64 v[9:10], v[24:25], v[9:10]
	v_mad_u64_u32 v[51:52], null, s26, v17, v[8:9]
	v_mov_b32_e32 v52, v22
	v_cndmask_b32_e64 v8, 0, 1, vcc_lo
	s_delay_alu instid0(VALU_DEP_2) | instskip(NEXT) | instid1(VALU_DEP_1)
	v_lshlrev_b64 v[17:18], 3, v[51:52]
	v_add_co_u32 v17, s1, s10, v17
	s_delay_alu instid0(VALU_DEP_1)
	v_add_co_ci_u32_e64 v18, s1, s11, v18, s1
	global_store_b64 v[17:18], v[9:10], off
	global_store_b8 v51, v8, s[8:9]
	s_or_b32 exec_lo, exec_lo, s18
	s_and_saveexec_b32 s2, s0
	s_cbranch_execz .LBB62_5
.LBB62_52:                              ;   in Loop: Header=BB62_6 Depth=1
	v_mov_b32_e32 v8, 0
	s_and_not1_b32 vcc_lo, exec_lo, s27
	s_cbranch_vccnz .LBB62_4
; %bb.53:                               ;   in Loop: Header=BB62_6 Depth=1
	v_mov_b32_e32 v8, 0
	s_mov_b64 s[0:1], s[16:17]
	s_mov_b32 s3, s6
	s_set_inst_prefetch_distance 0x1
	.p2align	6
.LBB62_54:                              ;   Parent Loop BB62_6 Depth=1
                                        ; =>  This Inner Loop Header: Depth=2
	s_clause 0x1
	s_load_b32 s18, s[0:1], 0x0
	s_load_b32 s19, s[0:1], 0x64
	v_mov_b32_e32 v15, v16
	s_add_i32 s3, s3, -1
	s_waitcnt lgkmcnt(0)
	v_cvt_f32_u32_e32 v9, s18
	s_sub_i32 s29, 0, s18
	s_add_u32 s0, s0, -4
	s_addc_u32 s1, s1, -1
	s_cmp_gt_u32 s3, 2
	v_rcp_iflag_f32_e32 v9, v9
	s_waitcnt_depctr 0xfff
	v_mul_f32_e32 v9, 0x4f7ffffe, v9
	s_delay_alu instid0(VALU_DEP_1) | instskip(NEXT) | instid1(VALU_DEP_1)
	v_cvt_u32_f32_e32 v9, v9
	v_mul_lo_u32 v10, s29, v9
	s_delay_alu instid0(VALU_DEP_1) | instskip(NEXT) | instid1(VALU_DEP_1)
	v_mul_hi_u32 v10, v9, v10
	v_add_nc_u32_e32 v9, v9, v10
	s_delay_alu instid0(VALU_DEP_1) | instskip(NEXT) | instid1(VALU_DEP_1)
	v_mul_hi_u32 v9, v15, v9
	v_mul_lo_u32 v10, v9, s18
	v_add_nc_u32_e32 v16, 1, v9
	s_delay_alu instid0(VALU_DEP_2) | instskip(NEXT) | instid1(VALU_DEP_1)
	v_sub_nc_u32_e32 v10, v15, v10
	v_subrev_nc_u32_e32 v17, s18, v10
	v_cmp_le_u32_e32 vcc_lo, s18, v10
	s_delay_alu instid0(VALU_DEP_2) | instskip(NEXT) | instid1(VALU_DEP_1)
	v_dual_cndmask_b32 v10, v10, v17 :: v_dual_cndmask_b32 v9, v9, v16
	v_cmp_le_u32_e32 vcc_lo, s18, v10
	s_delay_alu instid0(VALU_DEP_2) | instskip(NEXT) | instid1(VALU_DEP_1)
	v_add_nc_u32_e32 v16, 1, v9
	v_cndmask_b32_e32 v16, v9, v16, vcc_lo
	s_delay_alu instid0(VALU_DEP_1) | instskip(NEXT) | instid1(VALU_DEP_1)
	v_mul_lo_u32 v9, v16, s18
	v_sub_nc_u32_e32 v15, v15, v9
	s_delay_alu instid0(VALU_DEP_1) | instskip(NEXT) | instid1(VALU_DEP_1)
	v_mad_u64_u32 v[9:10], null, s19, v15, v[8:9]
	v_mov_b32_e32 v8, v9
	s_cbranch_scc1 .LBB62_54
	s_branch .LBB62_4
.LBB62_55:
	s_endpgm
	.section	.rodata,"a",@progbits
	.p2align	6, 0x0
	.amdhsa_kernel _ZN2at6native12_GLOBAL__N_120fused_dropout_kernelIddjLin1ELin1EhEEvNS_4cuda6detail10TensorInfoIKT_T1_EENS5_IS6_S8_EENS5_IT4_S8_EES8_T0_NS_15PhiloxCudaStateE
		.amdhsa_group_segment_fixed_size 0
		.amdhsa_private_segment_fixed_size 0
		.amdhsa_kernarg_size 952
		.amdhsa_user_sgpr_count 15
		.amdhsa_user_sgpr_dispatch_ptr 0
		.amdhsa_user_sgpr_queue_ptr 0
		.amdhsa_user_sgpr_kernarg_segment_ptr 1
		.amdhsa_user_sgpr_dispatch_id 0
		.amdhsa_user_sgpr_private_segment_size 0
		.amdhsa_wavefront_size32 1
		.amdhsa_uses_dynamic_stack 0
		.amdhsa_enable_private_segment 0
		.amdhsa_system_sgpr_workgroup_id_x 1
		.amdhsa_system_sgpr_workgroup_id_y 0
		.amdhsa_system_sgpr_workgroup_id_z 0
		.amdhsa_system_sgpr_workgroup_info 0
		.amdhsa_system_vgpr_workitem_id 0
		.amdhsa_next_free_vgpr 56
		.amdhsa_next_free_sgpr 35
		.amdhsa_reserve_vcc 1
		.amdhsa_float_round_mode_32 0
		.amdhsa_float_round_mode_16_64 0
		.amdhsa_float_denorm_mode_32 3
		.amdhsa_float_denorm_mode_16_64 3
		.amdhsa_dx10_clamp 1
		.amdhsa_ieee_mode 1
		.amdhsa_fp16_overflow 0
		.amdhsa_workgroup_processor_mode 1
		.amdhsa_memory_ordered 1
		.amdhsa_forward_progress 0
		.amdhsa_shared_vgpr_count 0
		.amdhsa_exception_fp_ieee_invalid_op 0
		.amdhsa_exception_fp_denorm_src 0
		.amdhsa_exception_fp_ieee_div_zero 0
		.amdhsa_exception_fp_ieee_overflow 0
		.amdhsa_exception_fp_ieee_underflow 0
		.amdhsa_exception_fp_ieee_inexact 0
		.amdhsa_exception_int_div_zero 0
	.end_amdhsa_kernel
	.section	.text._ZN2at6native12_GLOBAL__N_120fused_dropout_kernelIddjLin1ELin1EhEEvNS_4cuda6detail10TensorInfoIKT_T1_EENS5_IS6_S8_EENS5_IT4_S8_EES8_T0_NS_15PhiloxCudaStateE,"axG",@progbits,_ZN2at6native12_GLOBAL__N_120fused_dropout_kernelIddjLin1ELin1EhEEvNS_4cuda6detail10TensorInfoIKT_T1_EENS5_IS6_S8_EENS5_IT4_S8_EES8_T0_NS_15PhiloxCudaStateE,comdat
.Lfunc_end62:
	.size	_ZN2at6native12_GLOBAL__N_120fused_dropout_kernelIddjLin1ELin1EhEEvNS_4cuda6detail10TensorInfoIKT_T1_EENS5_IS6_S8_EENS5_IT4_S8_EES8_T0_NS_15PhiloxCudaStateE, .Lfunc_end62-_ZN2at6native12_GLOBAL__N_120fused_dropout_kernelIddjLin1ELin1EhEEvNS_4cuda6detail10TensorInfoIKT_T1_EENS5_IS6_S8_EENS5_IT4_S8_EES8_T0_NS_15PhiloxCudaStateE
                                        ; -- End function
	.section	.AMDGPU.csdata,"",@progbits
; Kernel info:
; codeLenInByte = 4944
; NumSgprs: 37
; NumVgprs: 56
; ScratchSize: 0
; MemoryBound: 0
; FloatMode: 240
; IeeeMode: 1
; LDSByteSize: 0 bytes/workgroup (compile time only)
; SGPRBlocks: 4
; VGPRBlocks: 6
; NumSGPRsForWavesPerEU: 37
; NumVGPRsForWavesPerEU: 56
; Occupancy: 16
; WaveLimiterHint : 1
; COMPUTE_PGM_RSRC2:SCRATCH_EN: 0
; COMPUTE_PGM_RSRC2:USER_SGPR: 15
; COMPUTE_PGM_RSRC2:TRAP_HANDLER: 0
; COMPUTE_PGM_RSRC2:TGID_X_EN: 1
; COMPUTE_PGM_RSRC2:TGID_Y_EN: 0
; COMPUTE_PGM_RSRC2:TGID_Z_EN: 0
; COMPUTE_PGM_RSRC2:TIDIG_COMP_CNT: 0
	.section	.text._ZN2at6native12_GLOBAL__N_124fused_dropout_kernel_vecIffjLi1ELi16EhEEvNS_4cuda6detail10TensorInfoIKT_T1_EENS5_IS6_S8_EENS5_IT4_S8_EES8_T0_NS_15PhiloxCudaStateE,"axG",@progbits,_ZN2at6native12_GLOBAL__N_124fused_dropout_kernel_vecIffjLi1ELi16EhEEvNS_4cuda6detail10TensorInfoIKT_T1_EENS5_IS6_S8_EENS5_IT4_S8_EES8_T0_NS_15PhiloxCudaStateE,comdat
	.globl	_ZN2at6native12_GLOBAL__N_124fused_dropout_kernel_vecIffjLi1ELi16EhEEvNS_4cuda6detail10TensorInfoIKT_T1_EENS5_IS6_S8_EENS5_IT4_S8_EES8_T0_NS_15PhiloxCudaStateE ; -- Begin function _ZN2at6native12_GLOBAL__N_124fused_dropout_kernel_vecIffjLi1ELi16EhEEvNS_4cuda6detail10TensorInfoIKT_T1_EENS5_IS6_S8_EENS5_IT4_S8_EES8_T0_NS_15PhiloxCudaStateE
	.p2align	8
	.type	_ZN2at6native12_GLOBAL__N_124fused_dropout_kernel_vecIffjLi1ELi16EhEEvNS_4cuda6detail10TensorInfoIKT_T1_EENS5_IS6_S8_EENS5_IT4_S8_EES8_T0_NS_15PhiloxCudaStateE,@function
_ZN2at6native12_GLOBAL__N_124fused_dropout_kernel_vecIffjLi1ELi16EhEEvNS_4cuda6detail10TensorInfoIKT_T1_EENS5_IS6_S8_EENS5_IT4_S8_EES8_T0_NS_15PhiloxCudaStateE: ; @_ZN2at6native12_GLOBAL__N_124fused_dropout_kernel_vecIffjLi1ELi16EhEEvNS_4cuda6detail10TensorInfoIKT_T1_EENS5_IS6_S8_EENS5_IT4_S8_EES8_T0_NS_15PhiloxCudaStateE
; %bb.0:
	s_clause 0x1
	s_load_b128 s[4:7], s[0:1], 0x290
	s_load_b32 s2, s[0:1], 0x2a8
	s_waitcnt lgkmcnt(0)
	v_dual_mov_b32 v1, s6 :: v_dual_mov_b32 v2, s7
	v_dual_mov_b32 v11, s5 :: v_dual_mov_b32 v10, s4
	s_bitcmp0_b32 s2, 0
	s_cbranch_scc1 .LBB63_2
; %bb.1:
	v_dual_mov_b32 v1, s6 :: v_dual_mov_b32 v2, s7
	v_dual_mov_b32 v3, s4 :: v_dual_mov_b32 v4, s5
	s_load_b64 s[2:3], s[0:1], 0x2a0
	flat_load_b64 v[1:2], v[1:2]
	flat_load_b64 v[10:11], v[3:4]
	s_waitcnt vmcnt(1) lgkmcnt(0)
	v_add_co_u32 v1, vcc_lo, v1, s2
	v_add_co_ci_u32_e32 v2, vcc_lo, s3, v2, vcc_lo
.LBB63_2:
	s_clause 0x1
	s_load_b32 s4, s[0:1], 0x2bc
	s_load_b64 s[16:17], s[0:1], 0x288
	s_add_u32 s2, s0, 0x2b0
	s_addc_u32 s3, s1, 0
	s_mov_b32 s5, exec_lo
	s_waitcnt lgkmcnt(0)
	s_and_b32 s4, s4, 0xffff
	s_delay_alu instid0(SALU_CYCLE_1) | instskip(NEXT) | instid1(VALU_DEP_1)
	v_mad_u64_u32 v[8:9], null, s15, s4, v[0:1]
	v_lshlrev_b32_e32 v12, 4, v8
	s_delay_alu instid0(VALU_DEP_1)
	v_cmpx_gt_u32_e64 s16, v12
	s_cbranch_execz .LBB63_45
; %bb.3:
	v_mad_u64_u32 v[3:4], null, 0xcd9e8d57, v8, 0
	v_alignbit_b32 v20, v2, v1, 2
	v_lshrrev_b32_e32 v9, 2, v2
	s_waitcnt vmcnt(0)
	v_mov_b32_e32 v16, v11
	v_add_co_u32 v22, null, 0x9e3779b9, v10
	v_mad_u64_u32 v[5:6], null, 0xd2511f53, v20, 0
	v_xor3_b32 v0, v10, v4, v9
	s_delay_alu instid0(VALU_DEP_4) | instskip(SKIP_1) | instid1(VALU_DEP_3)
	v_add_co_u32 v21, null, 0xbb67ae85, v16
	v_add_co_u32 v23, null, 0x3c6ef372, v10
	v_mad_u64_u32 v[13:14], null, 0xd2511f53, v0, 0
	v_xor_b32_e32 v0, v6, v11
	v_add_co_u32 v24, null, 0x76cf5d0a, v16
	v_add_co_u32 v25, null, 0x32370b8f, v16
	s_delay_alu instid0(VALU_DEP_3) | instskip(SKIP_3) | instid1(VALU_DEP_3)
	v_mad_u64_u32 v[6:7], null, 0xcd9e8d57, v0, 0
	v_xor3_b32 v0, v21, v14, v5
	v_add_co_u32 v26, null, 0xdaa66d2b, v10
	v_add_co_u32 v27, null, 0x78dde6e4, v10
	v_mad_u64_u32 v[4:5], null, 0xcd9e8d57, v0, 0
	v_xor3_b32 v0, v7, v22, v3
	v_add_co_u32 v28, null, 0xed9eba14, v16
	v_add_co_u32 v29, null, 0xa9066899, v16
	s_delay_alu instid0(VALU_DEP_3) | instskip(SKIP_3) | instid1(VALU_DEP_3)
	v_mad_u64_u32 v[2:3], null, 0xd2511f53, v0, 0
	v_xor3_b32 v0, v23, v5, v6
	v_div_scale_f32 v17, null, s17, s17, 1.0
	v_add_co_u32 v30, null, 0x1715609d, v10
	v_mad_u64_u32 v[5:6], null, 0xd2511f53, v0, 0
	v_xor3_b32 v0, v3, v24, v13
	s_delay_alu instid0(VALU_DEP_4) | instskip(SKIP_2) | instid1(VALU_DEP_3)
	v_rcp_f32_e32 v18, v17
	v_add_co_u32 v31, null, 0xb54cda56, v10
	v_add_co_u32 v32, null, 0x646e171e, v16
	v_mad_u64_u32 v[13:14], null, 0xcd9e8d57, v0, 0
	v_xor3_b32 v0, v25, v6, v2
	v_add_co_u32 v34, null, 0x5384540f, v10
	v_add_co_u32 v35, null, 0xf1bbcdc8, v10
	s_delay_alu instid0(VALU_DEP_3)
	v_mad_u64_u32 v[2:3], null, 0xcd9e8d57, v0, 0
	v_xor3_b32 v0, v14, v26, v4
	s_load_b32 s2, s[2:3], 0x0
	s_clause 0x2
	s_load_b64 s[18:19], s[0:1], 0x0
	s_load_b64 s[20:21], s[0:1], 0xd8
	;; [unrolled: 1-line block ×3, first 2 shown]
	v_add_nc_u32_e32 v37, 0x8ff34781, v10
	v_and_b32_e32 v39, 3, v1
	v_mad_u64_u32 v[6:7], null, 0xd2511f53, v0, 0
	v_xor3_b32 v0, v27, v3, v13
	s_mov_b32 s15, 0
	v_add_nc_u32_e32 v38, 0x96a522ad, v11
	s_delay_alu instid0(VALU_DEP_2) | instskip(NEXT) | instid1(VALU_DEP_4)
	v_mad_u64_u32 v[3:4], null, 0xd2511f53, v0, 0
	v_xor3_b32 v0, v7, v28, v5
	s_delay_alu instid0(VALU_DEP_1) | instskip(NEXT) | instid1(VALU_DEP_3)
	v_mad_u64_u32 v[13:14], null, 0xcd9e8d57, v0, 0
	v_xor3_b32 v0, v29, v4, v6
	s_waitcnt lgkmcnt(0)
	s_mul_i32 s2, s2, s4
	s_delay_alu instid0(SALU_CYCLE_1) | instskip(NEXT) | instid1(VALU_DEP_1)
	s_lshl_b32 s24, s2, 4
	v_mad_u64_u32 v[4:5], null, 0xcd9e8d57, v0, 0
	s_delay_alu instid0(VALU_DEP_3) | instskip(SKIP_1) | instid1(VALU_DEP_2)
	v_xor3_b32 v0, v14, v30, v2
	v_fma_f32 v2, -v17, v18, 1.0
	v_mad_u64_u32 v[6:7], null, 0xd2511f53, v0, 0
	s_delay_alu instid0(VALU_DEP_4) | instskip(SKIP_1) | instid1(VALU_DEP_4)
	v_xor3_b32 v0, v31, v5, v13
	v_div_scale_f32 v5, vcc_lo, 1.0, s17, 1.0
	v_fmac_f32_e32 v18, v2, v18
	s_delay_alu instid0(VALU_DEP_3) | instskip(SKIP_1) | instid1(VALU_DEP_3)
	v_mad_u64_u32 v[13:14], null, 0xd2511f53, v0, 0
	v_xor3_b32 v0, v7, v32, v3
	v_mul_f32_e32 v7, v5, v18
	v_add_co_u32 v33, null, 0x1fd5c5a3, v16
	v_add_co_u32 v36, null, 0xdb3d7428, v16
	s_delay_alu instid0(VALU_DEP_4) | instskip(NEXT) | instid1(VALU_DEP_3)
	v_mad_u64_u32 v[2:3], null, 0xcd9e8d57, v0, 0
	v_xor3_b32 v0, v33, v14, v6
	v_fma_f32 v6, -v17, v7, v5
	s_delay_alu instid0(VALU_DEP_2) | instskip(NEXT) | instid1(VALU_DEP_4)
	v_mad_u64_u32 v[14:15], null, 0xcd9e8d57, v0, 0
	v_xor3_b32 v0, v3, v34, v4
	s_delay_alu instid0(VALU_DEP_1) | instskip(NEXT) | instid1(VALU_DEP_3)
	v_mad_u64_u32 v[3:4], null, 0xd2511f53, v0, 0
	v_xor3_b32 v0, v35, v15, v2
	s_delay_alu instid0(VALU_DEP_1) | instskip(NEXT) | instid1(VALU_DEP_3)
	v_mad_u64_u32 v[15:16], null, 0xd2511f53, v0, 0
	v_xor3_b32 v2, v4, v36, v13
	v_mov_b32_e32 v13, 0
	v_fmac_f32_e32 v7, v6, v18
	s_delay_alu instid0(VALU_DEP_2) | instskip(NEXT) | instid1(VALU_DEP_2)
	v_mov_b32_e32 v19, v13
	v_fma_f32 v4, -v17, v7, v5
	v_mad_u64_u32 v[5:6], null, 0xcd9e8d57, v2, 0
	s_delay_alu instid0(VALU_DEP_2) | instskip(SKIP_1) | instid1(VALU_DEP_3)
	v_div_fmas_f32 v0, v4, v18, v7
	v_mov_b32_e32 v7, v15
	v_xor3_b32 v4, v14, v6, v37
	s_delay_alu instid0(VALU_DEP_3)
	v_div_fixup_f32 v40, v0, s17, 1.0
	v_xor3_b32 v6, v16, v3, v38
	s_branch .LBB63_6
.LBB63_4:                               ;   in Loop: Header=BB63_6 Depth=1
	s_or_b32 exec_lo, exec_lo, s1
	s_delay_alu instid0(VALU_DEP_1)
	v_mov_b32_e32 v7, v48
.LBB63_5:                               ;   in Loop: Header=BB63_6 Depth=1
	s_or_b32 exec_lo, exec_lo, s0
	v_lshlrev_b64 v[47:48], 2, v[12:13]
	v_cvt_f32_u32_e32 v2, v2
	v_cvt_f32_u32_e32 v0, v0
	;; [unrolled: 1-line block ×5, first 2 shown]
	v_add_co_u32 v63, vcc_lo, s18, v47
	v_add_co_ci_u32_e32 v64, vcc_lo, s19, v48, vcc_lo
	v_dual_fmaak_f32 v2, 0x2f800000, v2, 0x2f800000 :: v_dual_fmaak_f32 v3, 0x2f800000, v3, 0x2f800000
	v_cvt_f32_u32_e32 v18, v46
	s_clause 0x3
	global_load_b128 v[51:54], v[63:64], off
	global_load_b128 v[55:58], v[63:64], off offset:16
	global_load_b128 v[59:62], v[63:64], off offset:32
	;; [unrolled: 1-line block ×3, first 2 shown]
	v_cvt_f32_u32_e32 v43, v43
	v_cvt_f32_u32_e32 v15, v15
	;; [unrolled: 1-line block ×8, first 2 shown]
	v_dual_fmaak_f32 v0, 0x2f800000, v0, 0x2f800000 :: v_dual_fmaak_f32 v1, 0x2f800000, v1, 0x2f800000
	v_cmp_gt_f32_e64 s1, s17, v2
	v_dual_fmaak_f32 v44, 0x2f800000, v44, 0x2f800000 :: v_dual_fmaak_f32 v67, 0x2f800000, v14, 0x2f800000
	v_add_co_u32 v14, vcc_lo, s20, v47
	v_dual_fmaak_f32 v18, 0x2f800000, v18, 0x2f800000 :: v_dual_fmaak_f32 v43, 0x2f800000, v43, 0x2f800000
	v_cvt_f32_u32_e32 v45, v45
	v_fmaak_f32 v50, 0x2f800000, v15, 0x2f800000
	v_dual_fmaak_f32 v7, 0x2f800000, v7, 0x2f800000 :: v_dual_fmaak_f32 v46, 0x2f800000, v46, 0x2f800000
	v_add_co_ci_u32_e32 v15, vcc_lo, s21, v48, vcc_lo
	v_cvt_f32_u32_e32 v49, v49
	v_dual_fmaak_f32 v42, 0x2f800000, v42, 0x2f800000 :: v_dual_fmaak_f32 v41, 0x2f800000, v41, 0x2f800000
	v_cmp_gt_f32_e32 vcc_lo, s17, v0
	v_cndmask_b32_e64 v48, 0, 1.0, s1
	v_fmaak_f32 v17, 0x2f800000, v17, 0x2f800000
	v_cmp_gt_f32_e64 s4, s17, v43
	v_cmp_gt_f32_e64 s8, s17, v18
	v_fmaak_f32 v45, 0x2f800000, v45, 0x2f800000
	v_cmp_gt_f32_e64 s0, s17, v1
	v_cmp_gt_f32_e64 s10, s17, v44
	;; [unrolled: 1-line block ×3, first 2 shown]
	v_cndmask_b32_e64 v0, 0, 1.0, vcc_lo
	v_fmaak_f32 v49, 0x2f800000, v49, 0x2f800000
	v_cmp_gt_f32_e64 s6, s17, v41
	v_cmp_gt_f32_e64 s2, s17, v3
	;; [unrolled: 1-line block ×4, first 2 shown]
	v_cndmask_b32_e64 v71, 0, 1, s4
	v_cndmask_b32_e64 v75, 0, 1, s8
	v_cmp_gt_f32_e64 s9, s17, v45
	v_cmp_gt_f32_e64 s11, s17, v7
	v_cndmask_b32_e64 v2, 0, 1, s0
	v_cndmask_b32_e64 v77, 0, 1, s12
	;; [unrolled: 1-line block ×3, first 2 shown]
	v_cmp_gt_f32_e64 s5, s17, v42
	v_cndmask_b32_e64 v73, 0, 1, s6
	v_cndmask_b32_e64 v69, 0, 1, s2
	;; [unrolled: 1-line block ×4, first 2 shown]
	v_lshlrev_b16 v75, 8, v75
	v_lshlrev_b16 v71, 8, v71
	v_cndmask_b32_e64 v1, 0, 1, vcc_lo
	v_cndmask_b32_e64 v76, 0, 1, s9
	v_cndmask_b32_e64 v80, 0, 1, s11
	v_lshlrev_b16 v77, 8, v77
	v_lshlrev_b16 v79, 8, v79
	;; [unrolled: 1-line block ×3, first 2 shown]
	v_cndmask_b32_e64 v72, 0, 1, s5
	v_lshlrev_b16 v73, 8, v73
	v_cndmask_b32_e64 v3, 0, 1, s1
	v_lshlrev_b16 v69, 8, v69
	v_cndmask_b32_e64 v47, 0, 1.0, s0
	v_cndmask_b32_e64 v68, 0, 1.0, s2
	v_or_b32_e32 v74, v74, v75
	v_or_b32_e32 v70, v70, v71
	v_cndmask_b32_e64 v67, 0, 1.0, s3
	v_cndmask_b32_e64 v43, 0, 1.0, s4
	;; [unrolled: 1-line block ×4, first 2 shown]
	v_or_b32_e32 v77, v80, v77
	v_or_b32_e32 v75, v76, v79
	;; [unrolled: 1-line block ×3, first 2 shown]
	v_cndmask_b32_e64 v50, 0, 1.0, s7
	v_cndmask_b32_e64 v18, 0, 1.0, s8
	;; [unrolled: 1-line block ×4, first 2 shown]
	v_or_b32_e32 v71, v72, v73
	v_cndmask_b32_e64 v7, 0, 1.0, s11
	v_cndmask_b32_e64 v46, 0, 1.0, s12
	v_or_b32_e32 v2, v3, v69
	v_and_b32_e32 v72, 0xffff, v74
	v_and_b32_e32 v70, 0xffff, v70
	;; [unrolled: 1-line block ×3, first 2 shown]
	v_lshlrev_b32_e32 v73, 16, v75
	v_and_b32_e32 v74, 0xffff, v1
	s_waitcnt vmcnt(3)
	v_dual_mul_f32 v48, v53, v48 :: v_dual_lshlrev_b32 v71, 16, v71
	v_cmp_gt_f32_e64 s14, s17, v17
	s_waitcnt vmcnt(1)
	v_mul_f32_e32 v50, v59, v50
	v_mul_f32_e32 v0, v51, v0
	v_cmp_gt_f32_e64 s13, s17, v49
	v_mul_f32_e32 v47, v52, v47
	v_cndmask_b32_e64 v78, 0, 1, s14
	v_cndmask_b32_e64 v17, 0, 1.0, s14
	v_mul_f32_e32 v51, v54, v68
	v_cndmask_b32_e64 v81, 0, 1, s13
	v_cndmask_b32_e64 v49, 0, 1.0, s13
	v_lshlrev_b16 v78, 8, v78
	v_mul_f32_e32 v52, v55, v67
	v_dual_mul_f32 v53, v56, v43 :: v_dual_mul_f32 v54, v57, v42
	v_dual_mul_f32 v55, v58, v41 :: v_dual_mul_f32 v18, v60, v18
	s_delay_alu instid0(VALU_DEP_4) | instskip(SKIP_3) | instid1(VALU_DEP_3)
	v_or_b32_e32 v78, v81, v78
	s_waitcnt vmcnt(0)
	v_dual_mul_f32 v57, v62, v44 :: v_dual_mul_f32 v58, v64, v46
	v_dual_mul_f32 v56, v61, v45 :: v_dual_mul_f32 v7, v63, v7
	v_dual_mul_f32 v46, v40, v53 :: v_dual_lshlrev_b32 v69, 16, v78
	v_dual_mul_f32 v59, v65, v49 :: v_dual_mul_f32 v44, v40, v51
	v_mul_f32_e32 v17, v66, v17
	v_dual_mul_f32 v42, v40, v47 :: v_dual_lshlrev_b32 v75, 16, v2
	v_mul_f32_e32 v41, v40, v0
	v_mul_f32_e32 v43, v40, v48
	;; [unrolled: 1-line block ×13, first 2 shown]
	v_or_b32_e32 v3, v3, v69
	v_or_b32_e32 v2, v72, v73
	;; [unrolled: 1-line block ×4, first 2 shown]
	s_clause 0x3
	global_store_b128 v[14:15], v[41:44], off
	global_store_b128 v[14:15], v[45:48], off offset:16
	global_store_b128 v[14:15], v[49:52], off offset:32
	;; [unrolled: 1-line block ×3, first 2 shown]
	global_store_b128 v12, v[0:3], s[22:23]
	v_dual_mov_b32 v7, v16 :: v_dual_add_nc_u32 v12, s24, v12
	s_waitcnt_vscnt null, 0x0
	s_barrier
	buffer_gl0_inv
	v_cmp_le_u32_e32 vcc_lo, s16, v12
	s_or_b32 s15, vcc_lo, s15
	s_delay_alu instid0(SALU_CYCLE_1)
	s_and_not1_b32 exec_lo, exec_lo, s15
	s_cbranch_execz .LBB63_45
.LBB63_6:                               ; =>This Inner Loop Header: Depth=1
	v_add_co_u32 v2, vcc_lo, v20, 1
	s_delay_alu instid0(VALU_DEP_1) | instskip(SKIP_2) | instid1(VALU_DEP_1)
	v_cndmask_b32_e64 v0, 0, 1, vcc_lo
	v_add_co_ci_u32_e32 v16, vcc_lo, 0, v9, vcc_lo
	s_mov_b32 s0, exec_lo
	v_cmp_eq_u32_e32 vcc_lo, 0, v16
	s_delay_alu instid0(VALU_DEP_3) | instskip(SKIP_1) | instid1(VALU_DEP_2)
	v_cndmask_b32_e32 v3, 0, v0, vcc_lo
	v_mad_u64_u32 v[0:1], null, 0xd2511f53, v2, 0
	v_add_nc_u32_e32 v18, v3, v8
	s_delay_alu instid0(VALU_DEP_2) | instskip(NEXT) | instid1(VALU_DEP_2)
	v_xor_b32_e32 v8, v1, v11
	v_cmp_eq_u32_e32 vcc_lo, 0, v18
	v_cndmask_b32_e32 v3, 0, v3, vcc_lo
	v_mad_u64_u32 v[1:2], null, 0xcd9e8d57, v18, 0
	s_delay_alu instid0(VALU_DEP_2) | instskip(NEXT) | instid1(VALU_DEP_2)
	v_add_nc_u32_e32 v19, v3, v19
	v_xor3_b32 v14, v2, v10, v16
	s_delay_alu instid0(VALU_DEP_2) | instskip(NEXT) | instid1(VALU_DEP_1)
	v_xor_b32_e32 v8, v19, v8
	v_mad_u64_u32 v[2:3], null, 0xcd9e8d57, v8, 0
	s_delay_alu instid0(VALU_DEP_3) | instskip(NEXT) | instid1(VALU_DEP_2)
	v_mad_u64_u32 v[8:9], null, 0xd2511f53, v14, 0
	v_xor3_b32 v3, v22, v3, v1
	s_delay_alu instid0(VALU_DEP_2) | instskip(NEXT) | instid1(VALU_DEP_2)
	v_xor3_b32 v9, v21, v9, v0
	v_mad_u64_u32 v[0:1], null, 0xd2511f53, v3, 0
	s_delay_alu instid0(VALU_DEP_2) | instskip(NEXT) | instid1(VALU_DEP_2)
	v_mad_u64_u32 v[14:15], null, 0xcd9e8d57, v9, 0
	v_xor3_b32 v3, v24, v1, v8
	s_delay_alu instid0(VALU_DEP_2) | instskip(NEXT) | instid1(VALU_DEP_2)
	v_xor3_b32 v15, v23, v15, v2
	v_mad_u64_u32 v[1:2], null, 0xcd9e8d57, v3, 0
	s_delay_alu instid0(VALU_DEP_2) | instskip(NEXT) | instid1(VALU_DEP_2)
	;; [unrolled: 6-line block ×8, first 2 shown]
	v_mad_u64_u32 v[14:15], null, 0xd2511f53, v2, 0
	v_xor3_b32 v17, v9, v41, v37
	s_delay_alu instid0(VALU_DEP_2)
	v_xor3_b32 v9, v15, v0, v38
                                        ; implicit-def: $vgpr0_vgpr1_vgpr2_vgpr3
	v_cmpx_lt_i32_e32 1, v39
	s_xor_b32 s0, exec_lo, s0
	s_cbranch_execz .LBB63_12
; %bb.7:                                ;   in Loop: Header=BB63_6 Depth=1
	s_mov_b32 s1, exec_lo
                                        ; implicit-def: $vgpr0_vgpr1_vgpr2_vgpr3
	v_cmpx_lt_i32_e32 2, v39
	s_xor_b32 s1, exec_lo, s1
; %bb.8:                                ;   in Loop: Header=BB63_6 Depth=1
	v_dual_mov_b32 v6, v7 :: v_dual_mov_b32 v7, v17
	s_delay_alu instid0(VALU_DEP_1)
	v_dual_mov_b32 v0, v6 :: v_dual_mov_b32 v1, v7
	v_dual_mov_b32 v2, v8 :: v_dual_mov_b32 v3, v9
                                        ; implicit-def: $vgpr4_vgpr5_vgpr6_vgpr7
; %bb.9:                                ;   in Loop: Header=BB63_6 Depth=1
	s_and_not1_saveexec_b32 s1, s1
; %bb.10:                               ;   in Loop: Header=BB63_6 Depth=1
	v_dual_mov_b32 v0, v6 :: v_dual_mov_b32 v1, v7
	v_dual_mov_b32 v2, v17 :: v_dual_mov_b32 v3, v8
; %bb.11:                               ;   in Loop: Header=BB63_6 Depth=1
	s_or_b32 exec_lo, exec_lo, s1
                                        ; implicit-def: $vgpr4_vgpr5_vgpr6_vgpr7
.LBB63_12:                              ;   in Loop: Header=BB63_6 Depth=1
	s_and_not1_saveexec_b32 s0, s0
	s_cbranch_execz .LBB63_16
; %bb.13:                               ;   in Loop: Header=BB63_6 Depth=1
	s_mov_b32 s1, exec_lo
	v_cmpx_eq_u32_e32 1, v39
; %bb.14:                               ;   in Loop: Header=BB63_6 Depth=1
	v_dual_mov_b32 v4, v5 :: v_dual_mov_b32 v5, v6
	v_dual_mov_b32 v6, v7 :: v_dual_mov_b32 v7, v17
; %bb.15:                               ;   in Loop: Header=BB63_6 Depth=1
	s_or_b32 exec_lo, exec_lo, s1
	s_delay_alu instid0(VALU_DEP_2) | instskip(NEXT) | instid1(VALU_DEP_2)
	v_dual_mov_b32 v0, v4 :: v_dual_mov_b32 v1, v5
	v_dual_mov_b32 v2, v6 :: v_dual_mov_b32 v3, v7
.LBB63_16:                              ;   in Loop: Header=BB63_6 Depth=1
	s_or_b32 exec_lo, exec_lo, s0
	v_add_nc_u32_e32 v6, 2, v20
	s_mov_b32 s0, exec_lo
	s_delay_alu instid0(VALU_DEP_1) | instskip(SKIP_2) | instid1(VALU_DEP_1)
	v_cmp_eq_u32_e32 vcc_lo, 0, v6
	v_cndmask_b32_e64 v4, 0, 1, vcc_lo
	v_add_co_ci_u32_e32 v7, vcc_lo, 0, v16, vcc_lo
	v_cmp_eq_u32_e32 vcc_lo, 0, v7
	s_delay_alu instid0(VALU_DEP_3) | instskip(SKIP_1) | instid1(VALU_DEP_2)
	v_cndmask_b32_e32 v15, 0, v4, vcc_lo
	v_mad_u64_u32 v[4:5], null, 0xd2511f53, v6, 0
	v_add_nc_u32_e32 v18, v15, v18
	s_delay_alu instid0(VALU_DEP_2) | instskip(NEXT) | instid1(VALU_DEP_2)
	v_xor_b32_e32 v5, v5, v11
	v_cmp_eq_u32_e32 vcc_lo, 0, v18
	v_cndmask_b32_e32 v6, 0, v15, vcc_lo
	v_mad_u64_u32 v[15:16], null, 0xcd9e8d57, v18, 0
	s_delay_alu instid0(VALU_DEP_2) | instskip(NEXT) | instid1(VALU_DEP_2)
	v_add_nc_u32_e32 v19, v6, v19
	v_xor3_b32 v16, v16, v10, v7
	s_delay_alu instid0(VALU_DEP_2) | instskip(NEXT) | instid1(VALU_DEP_2)
	v_xor_b32_e32 v43, v19, v5
	v_mad_u64_u32 v[5:6], null, 0xd2511f53, v16, 0
	s_delay_alu instid0(VALU_DEP_2) | instskip(NEXT) | instid1(VALU_DEP_2)
	v_mad_u64_u32 v[41:42], null, 0xcd9e8d57, v43, 0
	v_xor3_b32 v4, v21, v6, v4
	s_delay_alu instid0(VALU_DEP_2) | instskip(NEXT) | instid1(VALU_DEP_2)
	v_xor3_b32 v6, v22, v42, v15
	v_mad_u64_u32 v[15:16], null, 0xcd9e8d57, v4, 0
	s_delay_alu instid0(VALU_DEP_2) | instskip(NEXT) | instid1(VALU_DEP_2)
	v_mad_u64_u32 v[42:43], null, 0xd2511f53, v6, 0
	v_xor3_b32 v6, v23, v16, v41
	s_delay_alu instid0(VALU_DEP_2) | instskip(NEXT) | instid1(VALU_DEP_2)
	v_xor3_b32 v16, v24, v43, v5
	;; [unrolled: 6-line block ×7, first 2 shown]
	v_mad_u64_u32 v[42:43], null, 0xcd9e8d57, v6, 0
	s_delay_alu instid0(VALU_DEP_2) | instskip(NEXT) | instid1(VALU_DEP_2)
	v_mad_u64_u32 v[44:45], null, 0xd2511f53, v4, 0
	v_xor3_b32 v4, v35, v43, v41
                                        ; implicit-def: $vgpr41
                                        ; implicit-def: $vgpr43
	s_delay_alu instid0(VALU_DEP_2) | instskip(NEXT) | instid1(VALU_DEP_2)
	v_xor3_b32 v6, v36, v45, v5
	v_mad_u64_u32 v[15:16], null, 0xd2511f53, v4, 0
	s_delay_alu instid0(VALU_DEP_2) | instskip(NEXT) | instid1(VALU_DEP_2)
	v_mad_u64_u32 v[4:5], null, 0xcd9e8d57, v6, 0
	v_xor3_b32 v6, v16, v44, v38
	s_delay_alu instid0(VALU_DEP_2)
	v_xor3_b32 v5, v5, v42, v37
                                        ; implicit-def: $vgpr42
	v_cmpx_lt_i32_e32 1, v39
	s_xor_b32 s0, exec_lo, s0
	s_cbranch_execz .LBB63_22
; %bb.17:                               ;   in Loop: Header=BB63_6 Depth=1
	s_mov_b32 s1, exec_lo
	v_cmpx_lt_i32_e32 2, v39
	s_xor_b32 s1, exec_lo, s1
; %bb.18:                               ;   in Loop: Header=BB63_6 Depth=1
                                        ; implicit-def: $vgpr9
; %bb.19:                               ;   in Loop: Header=BB63_6 Depth=1
	s_delay_alu instid0(SALU_CYCLE_1)
	s_or_saveexec_b32 s1, s1
	v_dual_mov_b32 v41, v6 :: v_dual_mov_b32 v42, v4
	v_mov_b32_e32 v43, v5
	s_xor_b32 exec_lo, exec_lo, s1
; %bb.20:                               ;   in Loop: Header=BB63_6 Depth=1
	v_dual_mov_b32 v41, v4 :: v_dual_mov_b32 v42, v5
	v_dual_mov_b32 v43, v14 :: v_dual_mov_b32 v14, v9
; %bb.21:                               ;   in Loop: Header=BB63_6 Depth=1
	s_or_b32 exec_lo, exec_lo, s1
                                        ; implicit-def: $vgpr9
                                        ; implicit-def: $vgpr17
.LBB63_22:                              ;   in Loop: Header=BB63_6 Depth=1
	s_and_not1_saveexec_b32 s0, s0
	s_cbranch_execz .LBB63_26
; %bb.23:                               ;   in Loop: Header=BB63_6 Depth=1
	s_delay_alu instid0(VALU_DEP_1)
	v_dual_mov_b32 v41, v14 :: v_dual_mov_b32 v42, v9
	v_mov_b32_e32 v43, v8
	s_mov_b32 s1, exec_lo
	v_cmpx_eq_u32_e32 1, v39
; %bb.24:                               ;   in Loop: Header=BB63_6 Depth=1
	v_dual_mov_b32 v41, v5 :: v_dual_mov_b32 v42, v14
	v_mov_b32_e32 v43, v9
	v_mov_b32_e32 v17, v8
; %bb.25:                               ;   in Loop: Header=BB63_6 Depth=1
	s_or_b32 exec_lo, exec_lo, s1
	s_delay_alu instid0(VALU_DEP_1)
	v_mov_b32_e32 v14, v17
.LBB63_26:                              ;   in Loop: Header=BB63_6 Depth=1
	s_or_b32 exec_lo, exec_lo, s0
	v_add_nc_u32_e32 v17, 3, v20
	s_mov_b32 s0, exec_lo
	s_delay_alu instid0(VALU_DEP_1) | instskip(SKIP_2) | instid1(VALU_DEP_1)
	v_cmp_eq_u32_e32 vcc_lo, 0, v17
	v_cndmask_b32_e64 v8, 0, 1, vcc_lo
	v_add_co_ci_u32_e32 v9, vcc_lo, 0, v7, vcc_lo
	v_cmp_eq_u32_e32 vcc_lo, 0, v9
	s_delay_alu instid0(VALU_DEP_3) | instskip(SKIP_1) | instid1(VALU_DEP_2)
	v_cndmask_b32_e32 v44, 0, v8, vcc_lo
	v_mad_u64_u32 v[7:8], null, 0xd2511f53, v17, 0
	v_add_nc_u32_e32 v16, v44, v18
	s_delay_alu instid0(VALU_DEP_2) | instskip(NEXT) | instid1(VALU_DEP_2)
	v_xor_b32_e32 v8, v8, v11
	v_cmp_eq_u32_e32 vcc_lo, 0, v16
	v_cndmask_b32_e32 v17, 0, v44, vcc_lo
	v_mad_u64_u32 v[44:45], null, 0xcd9e8d57, v16, 0
	s_delay_alu instid0(VALU_DEP_2) | instskip(NEXT) | instid1(VALU_DEP_2)
	v_add_nc_u32_e32 v17, v17, v19
	v_xor3_b32 v45, v45, v10, v9
	s_delay_alu instid0(VALU_DEP_2) | instskip(NEXT) | instid1(VALU_DEP_2)
	v_xor_b32_e32 v8, v17, v8
	v_mad_u64_u32 v[18:19], null, 0xd2511f53, v45, 0
	s_delay_alu instid0(VALU_DEP_2) | instskip(NEXT) | instid1(VALU_DEP_2)
	v_mad_u64_u32 v[45:46], null, 0xcd9e8d57, v8, 0
	v_xor3_b32 v19, v21, v19, v7
	s_delay_alu instid0(VALU_DEP_2) | instskip(NEXT) | instid1(VALU_DEP_2)
	v_xor3_b32 v44, v22, v46, v44
	v_mad_u64_u32 v[7:8], null, 0xcd9e8d57, v19, 0
	s_delay_alu instid0(VALU_DEP_2) | instskip(NEXT) | instid1(VALU_DEP_2)
	v_mad_u64_u32 v[46:47], null, 0xd2511f53, v44, 0
	v_xor3_b32 v8, v23, v8, v45
	s_delay_alu instid0(VALU_DEP_2) | instskip(NEXT) | instid1(VALU_DEP_2)
	v_xor3_b32 v47, v24, v47, v18
	;; [unrolled: 6-line block ×7, first 2 shown]
	v_mad_u64_u32 v[46:47], null, 0xcd9e8d57, v8, 0
	s_delay_alu instid0(VALU_DEP_2) | instskip(NEXT) | instid1(VALU_DEP_2)
	v_mad_u64_u32 v[48:49], null, 0xd2511f53, v7, 0
	v_xor3_b32 v19, v35, v47, v45
                                        ; implicit-def: $vgpr45
	s_delay_alu instid0(VALU_DEP_2) | instskip(NEXT) | instid1(VALU_DEP_2)
	v_xor3_b32 v44, v36, v49, v18
	v_mad_u64_u32 v[7:8], null, 0xd2511f53, v19, 0
	s_delay_alu instid0(VALU_DEP_2) | instskip(NEXT) | instid1(VALU_DEP_2)
	v_mad_u64_u32 v[18:19], null, 0xcd9e8d57, v44, 0
                                        ; implicit-def: $vgpr44
	v_xor3_b32 v47, v8, v48, v38
	s_delay_alu instid0(VALU_DEP_2)
	v_xor3_b32 v48, v19, v46, v37
                                        ; implicit-def: $vgpr46
	v_cmpx_lt_i32_e32 1, v39
	s_xor_b32 s0, exec_lo, s0
	s_cbranch_execz .LBB63_32
; %bb.27:                               ;   in Loop: Header=BB63_6 Depth=1
	s_mov_b32 s1, exec_lo
	v_cmpx_lt_i32_e32 2, v39
	s_xor_b32 s1, exec_lo, s1
; %bb.28:                               ;   in Loop: Header=BB63_6 Depth=1
                                        ; implicit-def: $vgpr6
; %bb.29:                               ;   in Loop: Header=BB63_6 Depth=1
	s_delay_alu instid0(SALU_CYCLE_1)
	s_or_saveexec_b32 s1, s1
	v_dual_mov_b32 v44, v47 :: v_dual_mov_b32 v45, v18
	v_mov_b32_e32 v46, v48
	s_xor_b32 exec_lo, exec_lo, s1
; %bb.30:                               ;   in Loop: Header=BB63_6 Depth=1
	v_dual_mov_b32 v44, v18 :: v_dual_mov_b32 v45, v48
	v_dual_mov_b32 v46, v15 :: v_dual_mov_b32 v15, v6
; %bb.31:                               ;   in Loop: Header=BB63_6 Depth=1
	s_or_b32 exec_lo, exec_lo, s1
                                        ; implicit-def: $vgpr6
                                        ; implicit-def: $vgpr4
                                        ; implicit-def: $vgpr5
.LBB63_32:                              ;   in Loop: Header=BB63_6 Depth=1
	s_and_not1_saveexec_b32 s0, s0
	s_cbranch_execz .LBB63_36
; %bb.33:                               ;   in Loop: Header=BB63_6 Depth=1
	s_delay_alu instid0(VALU_DEP_1)
	v_dual_mov_b32 v44, v15 :: v_dual_mov_b32 v45, v6
	v_mov_b32_e32 v46, v4
	s_mov_b32 s1, exec_lo
	v_cmpx_eq_u32_e32 1, v39
; %bb.34:                               ;   in Loop: Header=BB63_6 Depth=1
	v_dual_mov_b32 v44, v48 :: v_dual_mov_b32 v45, v15
	v_dual_mov_b32 v46, v6 :: v_dual_mov_b32 v5, v4
; %bb.35:                               ;   in Loop: Header=BB63_6 Depth=1
	s_or_b32 exec_lo, exec_lo, s1
	s_delay_alu instid0(VALU_DEP_1)
	v_mov_b32_e32 v15, v5
.LBB63_36:                              ;   in Loop: Header=BB63_6 Depth=1
	s_or_b32 exec_lo, exec_lo, s0
	v_add_nc_u32_e32 v20, 4, v20
	s_mov_b32 s0, exec_lo
	s_delay_alu instid0(VALU_DEP_1) | instskip(SKIP_2) | instid1(VALU_DEP_1)
	v_cmp_eq_u32_e32 vcc_lo, 0, v20
	v_cndmask_b32_e64 v4, 0, 1, vcc_lo
	v_add_co_ci_u32_e32 v9, vcc_lo, 0, v9, vcc_lo
	v_cmp_eq_u32_e32 vcc_lo, 0, v9
	s_delay_alu instid0(VALU_DEP_3) | instskip(NEXT) | instid1(VALU_DEP_1)
	v_cndmask_b32_e32 v4, 0, v4, vcc_lo
	v_add_nc_u32_e32 v8, v4, v16
	s_delay_alu instid0(VALU_DEP_1) | instskip(SKIP_1) | instid1(VALU_DEP_1)
	v_cmp_eq_u32_e32 vcc_lo, 0, v8
	v_cndmask_b32_e32 v4, 0, v4, vcc_lo
	v_add_nc_u32_e32 v19, v4, v17
	v_mad_u64_u32 v[4:5], null, 0xd2511f53, v20, 0
	v_mad_u64_u32 v[16:17], null, 0xcd9e8d57, v8, 0
	s_delay_alu instid0(VALU_DEP_2) | instskip(NEXT) | instid1(VALU_DEP_2)
	v_xor_b32_e32 v5, v5, v11
	v_xor3_b32 v17, v17, v10, v9
	s_delay_alu instid0(VALU_DEP_2) | instskip(NEXT) | instid1(VALU_DEP_1)
	v_xor_b32_e32 v49, v19, v5
	v_mad_u64_u32 v[5:6], null, 0xcd9e8d57, v49, 0
	s_delay_alu instid0(VALU_DEP_3) | instskip(NEXT) | instid1(VALU_DEP_2)
	v_mad_u64_u32 v[49:50], null, 0xd2511f53, v17, 0
	v_xor3_b32 v6, v22, v6, v16
	s_delay_alu instid0(VALU_DEP_2) | instskip(NEXT) | instid1(VALU_DEP_2)
	v_xor3_b32 v4, v21, v50, v4
	v_mad_u64_u32 v[16:17], null, 0xd2511f53, v6, 0
	s_delay_alu instid0(VALU_DEP_2) | instskip(NEXT) | instid1(VALU_DEP_2)
	v_mad_u64_u32 v[50:51], null, 0xcd9e8d57, v4, 0
	v_xor3_b32 v6, v24, v17, v49
	s_delay_alu instid0(VALU_DEP_2) | instskip(NEXT) | instid1(VALU_DEP_2)
	v_xor3_b32 v17, v23, v51, v5
	v_mad_u64_u32 v[4:5], null, 0xcd9e8d57, v6, 0
	s_delay_alu instid0(VALU_DEP_2) | instskip(NEXT) | instid1(VALU_DEP_2)
	;; [unrolled: 6-line block ×8, first 2 shown]
	v_mad_u64_u32 v[16:17], null, 0xd2511f53, v49, 0
                                        ; implicit-def: $vgpr49
	v_xor3_b32 v4, v6, v52, v37
	s_delay_alu instid0(VALU_DEP_2)
	v_xor3_b32 v6, v17, v50, v38
                                        ; implicit-def: $vgpr17
                                        ; implicit-def: $vgpr50
	v_cmpx_lt_i32_e32 1, v39
	s_xor_b32 s0, exec_lo, s0
	s_cbranch_execz .LBB63_42
; %bb.37:                               ;   in Loop: Header=BB63_6 Depth=1
	s_mov_b32 s1, exec_lo
	v_cmpx_lt_i32_e32 2, v39
	s_xor_b32 s1, exec_lo, s1
; %bb.38:                               ;   in Loop: Header=BB63_6 Depth=1
                                        ; implicit-def: $vgpr47
; %bb.39:                               ;   in Loop: Header=BB63_6 Depth=1
	s_delay_alu instid0(SALU_CYCLE_1)
	s_or_saveexec_b32 s1, s1
	v_dual_mov_b32 v17, v6 :: v_dual_mov_b32 v50, v4
	v_mov_b32_e32 v49, v5
	s_xor_b32 exec_lo, exec_lo, s1
; %bb.40:                               ;   in Loop: Header=BB63_6 Depth=1
	v_dual_mov_b32 v17, v5 :: v_dual_mov_b32 v50, v7
	v_mov_b32_e32 v49, v4
	v_mov_b32_e32 v7, v47
; %bb.41:                               ;   in Loop: Header=BB63_6 Depth=1
	s_or_b32 exec_lo, exec_lo, s1
                                        ; implicit-def: $vgpr47
                                        ; implicit-def: $vgpr18
                                        ; implicit-def: $vgpr48
.LBB63_42:                              ;   in Loop: Header=BB63_6 Depth=1
	s_and_not1_saveexec_b32 s0, s0
	s_cbranch_execz .LBB63_5
; %bb.43:                               ;   in Loop: Header=BB63_6 Depth=1
	s_delay_alu instid0(VALU_DEP_1)
	v_dual_mov_b32 v17, v7 :: v_dual_mov_b32 v50, v18
	v_mov_b32_e32 v49, v47
	s_mov_b32 s1, exec_lo
	v_cmpx_eq_u32_e32 1, v39
	s_cbranch_execz .LBB63_4
; %bb.44:                               ;   in Loop: Header=BB63_6 Depth=1
	v_dual_mov_b32 v17, v4 :: v_dual_mov_b32 v50, v47
	v_dual_mov_b32 v49, v7 :: v_dual_mov_b32 v48, v18
	s_branch .LBB63_4
.LBB63_45:
	s_endpgm
	.section	.rodata,"a",@progbits
	.p2align	6, 0x0
	.amdhsa_kernel _ZN2at6native12_GLOBAL__N_124fused_dropout_kernel_vecIffjLi1ELi16EhEEvNS_4cuda6detail10TensorInfoIKT_T1_EENS5_IS6_S8_EENS5_IT4_S8_EES8_T0_NS_15PhiloxCudaStateE
		.amdhsa_group_segment_fixed_size 0
		.amdhsa_private_segment_fixed_size 0
		.amdhsa_kernarg_size 944
		.amdhsa_user_sgpr_count 15
		.amdhsa_user_sgpr_dispatch_ptr 0
		.amdhsa_user_sgpr_queue_ptr 0
		.amdhsa_user_sgpr_kernarg_segment_ptr 1
		.amdhsa_user_sgpr_dispatch_id 0
		.amdhsa_user_sgpr_private_segment_size 0
		.amdhsa_wavefront_size32 1
		.amdhsa_uses_dynamic_stack 0
		.amdhsa_enable_private_segment 0
		.amdhsa_system_sgpr_workgroup_id_x 1
		.amdhsa_system_sgpr_workgroup_id_y 0
		.amdhsa_system_sgpr_workgroup_id_z 0
		.amdhsa_system_sgpr_workgroup_info 0
		.amdhsa_system_vgpr_workitem_id 0
		.amdhsa_next_free_vgpr 82
		.amdhsa_next_free_sgpr 25
		.amdhsa_reserve_vcc 1
		.amdhsa_float_round_mode_32 0
		.amdhsa_float_round_mode_16_64 0
		.amdhsa_float_denorm_mode_32 3
		.amdhsa_float_denorm_mode_16_64 3
		.amdhsa_dx10_clamp 1
		.amdhsa_ieee_mode 1
		.amdhsa_fp16_overflow 0
		.amdhsa_workgroup_processor_mode 1
		.amdhsa_memory_ordered 1
		.amdhsa_forward_progress 0
		.amdhsa_shared_vgpr_count 0
		.amdhsa_exception_fp_ieee_invalid_op 0
		.amdhsa_exception_fp_denorm_src 0
		.amdhsa_exception_fp_ieee_div_zero 0
		.amdhsa_exception_fp_ieee_overflow 0
		.amdhsa_exception_fp_ieee_underflow 0
		.amdhsa_exception_fp_ieee_inexact 0
		.amdhsa_exception_int_div_zero 0
	.end_amdhsa_kernel
	.section	.text._ZN2at6native12_GLOBAL__N_124fused_dropout_kernel_vecIffjLi1ELi16EhEEvNS_4cuda6detail10TensorInfoIKT_T1_EENS5_IS6_S8_EENS5_IT4_S8_EES8_T0_NS_15PhiloxCudaStateE,"axG",@progbits,_ZN2at6native12_GLOBAL__N_124fused_dropout_kernel_vecIffjLi1ELi16EhEEvNS_4cuda6detail10TensorInfoIKT_T1_EENS5_IS6_S8_EENS5_IT4_S8_EES8_T0_NS_15PhiloxCudaStateE,comdat
.Lfunc_end63:
	.size	_ZN2at6native12_GLOBAL__N_124fused_dropout_kernel_vecIffjLi1ELi16EhEEvNS_4cuda6detail10TensorInfoIKT_T1_EENS5_IS6_S8_EENS5_IT4_S8_EES8_T0_NS_15PhiloxCudaStateE, .Lfunc_end63-_ZN2at6native12_GLOBAL__N_124fused_dropout_kernel_vecIffjLi1ELi16EhEEvNS_4cuda6detail10TensorInfoIKT_T1_EENS5_IS6_S8_EENS5_IT4_S8_EES8_T0_NS_15PhiloxCudaStateE
                                        ; -- End function
	.section	.AMDGPU.csdata,"",@progbits
; Kernel info:
; codeLenInByte = 4736
; NumSgprs: 27
; NumVgprs: 82
; ScratchSize: 0
; MemoryBound: 0
; FloatMode: 240
; IeeeMode: 1
; LDSByteSize: 0 bytes/workgroup (compile time only)
; SGPRBlocks: 3
; VGPRBlocks: 10
; NumSGPRsForWavesPerEU: 27
; NumVGPRsForWavesPerEU: 82
; Occupancy: 16
; WaveLimiterHint : 1
; COMPUTE_PGM_RSRC2:SCRATCH_EN: 0
; COMPUTE_PGM_RSRC2:USER_SGPR: 15
; COMPUTE_PGM_RSRC2:TRAP_HANDLER: 0
; COMPUTE_PGM_RSRC2:TGID_X_EN: 1
; COMPUTE_PGM_RSRC2:TGID_Y_EN: 0
; COMPUTE_PGM_RSRC2:TGID_Z_EN: 0
; COMPUTE_PGM_RSRC2:TIDIG_COMP_CNT: 0
	.section	.text._ZN2at6native12_GLOBAL__N_124fused_dropout_kernel_vecIffjLi1ELi8EhEEvNS_4cuda6detail10TensorInfoIKT_T1_EENS5_IS6_S8_EENS5_IT4_S8_EES8_T0_NS_15PhiloxCudaStateE,"axG",@progbits,_ZN2at6native12_GLOBAL__N_124fused_dropout_kernel_vecIffjLi1ELi8EhEEvNS_4cuda6detail10TensorInfoIKT_T1_EENS5_IS6_S8_EENS5_IT4_S8_EES8_T0_NS_15PhiloxCudaStateE,comdat
	.globl	_ZN2at6native12_GLOBAL__N_124fused_dropout_kernel_vecIffjLi1ELi8EhEEvNS_4cuda6detail10TensorInfoIKT_T1_EENS5_IS6_S8_EENS5_IT4_S8_EES8_T0_NS_15PhiloxCudaStateE ; -- Begin function _ZN2at6native12_GLOBAL__N_124fused_dropout_kernel_vecIffjLi1ELi8EhEEvNS_4cuda6detail10TensorInfoIKT_T1_EENS5_IS6_S8_EENS5_IT4_S8_EES8_T0_NS_15PhiloxCudaStateE
	.p2align	8
	.type	_ZN2at6native12_GLOBAL__N_124fused_dropout_kernel_vecIffjLi1ELi8EhEEvNS_4cuda6detail10TensorInfoIKT_T1_EENS5_IS6_S8_EENS5_IT4_S8_EES8_T0_NS_15PhiloxCudaStateE,@function
_ZN2at6native12_GLOBAL__N_124fused_dropout_kernel_vecIffjLi1ELi8EhEEvNS_4cuda6detail10TensorInfoIKT_T1_EENS5_IS6_S8_EENS5_IT4_S8_EES8_T0_NS_15PhiloxCudaStateE: ; @_ZN2at6native12_GLOBAL__N_124fused_dropout_kernel_vecIffjLi1ELi8EhEEvNS_4cuda6detail10TensorInfoIKT_T1_EENS5_IS6_S8_EENS5_IT4_S8_EES8_T0_NS_15PhiloxCudaStateE
; %bb.0:
	s_clause 0x1
	s_load_b128 s[4:7], s[0:1], 0x290
	s_load_b32 s2, s[0:1], 0x2a8
	s_waitcnt lgkmcnt(0)
	v_dual_mov_b32 v3, s6 :: v_dual_mov_b32 v4, s7
	v_dual_mov_b32 v11, s5 :: v_dual_mov_b32 v10, s4
	s_bitcmp0_b32 s2, 0
	s_cbranch_scc1 .LBB64_2
; %bb.1:
	v_dual_mov_b32 v1, s6 :: v_dual_mov_b32 v2, s7
	v_dual_mov_b32 v3, s4 :: v_dual_mov_b32 v4, s5
	s_load_b64 s[2:3], s[0:1], 0x2a0
	flat_load_b64 v[1:2], v[1:2]
	flat_load_b64 v[10:11], v[3:4]
	s_waitcnt vmcnt(1) lgkmcnt(0)
	v_add_co_u32 v3, vcc_lo, v1, s2
	v_add_co_ci_u32_e32 v4, vcc_lo, s3, v2, vcc_lo
.LBB64_2:
	s_clause 0x1
	s_load_b32 s4, s[0:1], 0x2bc
	s_load_b64 s[8:9], s[0:1], 0x288
	s_add_u32 s2, s0, 0x2b0
	s_addc_u32 s3, s1, 0
	s_mov_b32 s5, exec_lo
	s_waitcnt lgkmcnt(0)
	s_and_b32 s4, s4, 0xffff
	s_delay_alu instid0(SALU_CYCLE_1) | instskip(NEXT) | instid1(VALU_DEP_1)
	v_mad_u64_u32 v[14:15], null, s15, s4, v[0:1]
	v_lshlrev_b32_e32 v12, 3, v14
	s_delay_alu instid0(VALU_DEP_1)
	v_cmpx_gt_u32_e64 s8, v12
	s_cbranch_execz .LBB64_25
; %bb.3:
	v_mad_u64_u32 v[0:1], null, 0xcd9e8d57, v14, 0
	v_alignbit_b32 v18, v4, v3, 2
	v_lshrrev_b32_e32 v39, 2, v4
	s_waitcnt vmcnt(0)
	v_mov_b32_e32 v13, v11
	v_add_co_u32 v20, null, 0x9e3779b9, v10
	v_mad_u64_u32 v[4:5], null, 0xd2511f53, v18, 0
	v_xor3_b32 v6, v10, v1, v39
	s_delay_alu instid0(VALU_DEP_4) | instskip(SKIP_1) | instid1(VALU_DEP_3)
	v_add_co_u32 v19, null, 0xbb67ae85, v13
	v_add_co_u32 v21, null, 0x3c6ef372, v10
	v_mad_u64_u32 v[1:2], null, 0xd2511f53, v6, 0
	v_xor_b32_e32 v7, v5, v11
	v_add_co_u32 v22, null, 0x76cf5d0a, v13
	v_add_co_u32 v23, null, 0x32370b8f, v13
	s_delay_alu instid0(VALU_DEP_3) | instskip(SKIP_3) | instid1(VALU_DEP_3)
	v_mad_u64_u32 v[5:6], null, 0xcd9e8d57, v7, 0
	v_xor3_b32 v2, v19, v2, v4
	v_add_co_u32 v24, null, 0xdaa66d2b, v10
	v_add_co_u32 v25, null, 0x78dde6e4, v10
	v_mad_u64_u32 v[7:8], null, 0xcd9e8d57, v2, 0
	v_xor3_b32 v0, v6, v20, v0
	v_add_co_u32 v26, null, 0xed9eba14, v13
	v_add_co_u32 v27, null, 0xa9066899, v13
	s_delay_alu instid0(VALU_DEP_3) | instskip(SKIP_3) | instid1(VALU_DEP_3)
	v_mad_u64_u32 v[15:16], null, 0xd2511f53, v0, 0
	v_xor3_b32 v0, v21, v8, v5
	v_div_scale_f32 v17, null, s9, s9, 1.0
	v_add_co_u32 v29, null, 0xb54cda56, v10
	v_mad_u64_u32 v[4:5], null, 0xd2511f53, v0, 0
	v_xor3_b32 v2, v16, v22, v1
	s_delay_alu instid0(VALU_DEP_4) | instskip(SKIP_2) | instid1(VALU_DEP_3)
	v_rcp_f32_e32 v35, v17
	v_add_co_u32 v28, null, 0x1715609d, v10
	v_add_co_u32 v32, null, 0x5384540f, v10
	v_mad_u64_u32 v[0:1], null, 0xcd9e8d57, v2, 0
	v_xor3_b32 v2, v23, v5, v15
	s_load_b32 s2, s[2:3], 0x0
	v_add_co_u32 v33, null, 0xf1bbcdc8, v10
	s_clause 0x2
	s_load_b64 s[10:11], s[0:1], 0x0
	s_load_b64 s[12:13], s[0:1], 0xd8
	;; [unrolled: 1-line block ×3, first 2 shown]
	v_mad_u64_u32 v[5:6], null, 0xcd9e8d57, v2, 0
	v_xor3_b32 v7, v1, v24, v7
	v_and_b32_e32 v37, 3, v3
	s_mov_b32 s7, 0
	s_delay_alu instid0(VALU_DEP_2) | instskip(NEXT) | instid1(VALU_DEP_4)
	v_mad_u64_u32 v[1:2], null, 0xd2511f53, v7, 0
	v_xor3_b32 v0, v25, v6, v0
	s_delay_alu instid0(VALU_DEP_1) | instskip(NEXT) | instid1(VALU_DEP_3)
	v_mad_u64_u32 v[6:7], null, 0xd2511f53, v0, 0
	v_xor3_b32 v0, v2, v26, v4
	s_waitcnt lgkmcnt(0)
	s_mul_i32 s2, s2, s4
	s_delay_alu instid0(SALU_CYCLE_1) | instskip(NEXT) | instid1(VALU_DEP_1)
	s_lshl_b32 s16, s2, 3
	v_mad_u64_u32 v[8:9], null, 0xcd9e8d57, v0, 0
	s_delay_alu instid0(VALU_DEP_3) | instskip(NEXT) | instid1(VALU_DEP_1)
	v_xor3_b32 v2, v27, v7, v1
	v_mad_u64_u32 v[0:1], null, 0xcd9e8d57, v2, 0
	s_delay_alu instid0(VALU_DEP_3) | instskip(SKIP_1) | instid1(VALU_DEP_2)
	v_xor3_b32 v2, v9, v28, v5
	v_div_scale_f32 v9, vcc_lo, 1.0, s9, 1.0
	v_mad_u64_u32 v[4:5], null, 0xd2511f53, v2, 0
	s_delay_alu instid0(VALU_DEP_4) | instskip(SKIP_1) | instid1(VALU_DEP_2)
	v_xor3_b32 v7, v29, v1, v8
	v_fma_f32 v8, -v17, v35, 1.0
	v_mad_u64_u32 v[1:2], null, 0xd2511f53, v7, 0
	s_delay_alu instid0(VALU_DEP_2) | instskip(NEXT) | instid1(VALU_DEP_1)
	v_fmac_f32_e32 v35, v8, v35
	v_mul_f32_e32 v36, v9, v35
	v_add_co_u32 v30, null, 0x646e171e, v13
	v_add_co_u32 v31, null, 0x1fd5c5a3, v13
	;; [unrolled: 1-line block ×3, first 2 shown]
	s_delay_alu instid0(VALU_DEP_3) | instskip(NEXT) | instid1(VALU_DEP_3)
	v_xor3_b32 v7, v5, v30, v6
	v_xor3_b32 v2, v31, v2, v4
	v_mov_b32_e32 v13, 0
	s_delay_alu instid0(VALU_DEP_3) | instskip(NEXT) | instid1(VALU_DEP_3)
	v_mad_u64_u32 v[5:6], null, 0xcd9e8d57, v7, 0
	v_mad_u64_u32 v[7:8], null, 0xcd9e8d57, v2, 0
	v_fma_f32 v2, -v17, v36, v9
	s_delay_alu instid0(VALU_DEP_4) | instskip(NEXT) | instid1(VALU_DEP_4)
	v_mov_b32_e32 v40, v13
	v_xor3_b32 v0, v6, v32, v0
	s_delay_alu instid0(VALU_DEP_3) | instskip(NEXT) | instid1(VALU_DEP_2)
	v_fmac_f32_e32 v36, v2, v35
	v_mad_u64_u32 v[15:16], null, 0xd2511f53, v0, 0
	v_xor3_b32 v0, v33, v8, v5
	s_delay_alu instid0(VALU_DEP_3) | instskip(NEXT) | instid1(VALU_DEP_2)
	v_fma_f32 v8, -v17, v36, v9
	v_mad_u64_u32 v[4:5], null, 0xd2511f53, v0, 0
	s_delay_alu instid0(VALU_DEP_4) | instskip(NEXT) | instid1(VALU_DEP_3)
	v_xor3_b32 v6, v16, v34, v1
	v_div_fmas_f32 v0, v8, v35, v36
	v_add_nc_u32_e32 v35, 0x8ff34781, v10
	v_add_nc_u32_e32 v36, 0x96a522ad, v11
	s_delay_alu instid0(VALU_DEP_4) | instskip(NEXT) | instid1(VALU_DEP_4)
	v_mad_u64_u32 v[1:2], null, 0xcd9e8d57, v6, 0
	v_div_fixup_f32 v38, v0, s9, 1.0
	v_mov_b32_e32 v3, v4
	s_delay_alu instid0(VALU_DEP_3)
	v_xor3_b32 v0, v7, v2, v35
	v_xor3_b32 v2, v5, v15, v36
	s_branch .LBB64_6
.LBB64_4:                               ;   in Loop: Header=BB64_6 Depth=1
	s_or_b32 exec_lo, exec_lo, s1
	s_delay_alu instid0(VALU_DEP_1)
	v_mov_b32_e32 v15, v41
.LBB64_5:                               ;   in Loop: Header=BB64_6 Depth=1
	s_or_b32 exec_lo, exec_lo, s0
	v_lshlrev_b64 v[8:9], 2, v[12:13]
	v_cvt_f32_u32_e32 v6, v6
	v_cvt_f32_u32_e32 v7, v7
	v_cvt_f32_u32_e32 v4, v4
	v_cvt_f32_u32_e32 v5, v5
	v_cvt_f32_u32_e32 v41, v42
	v_add_co_u32 v47, vcc_lo, s10, v8
	v_add_co_ci_u32_e32 v48, vcc_lo, s11, v9, vcc_lo
	v_dual_fmaak_f32 v6, 0x2f800000, v6, 0x2f800000 :: v_dual_fmaak_f32 v7, 0x2f800000, v7, 0x2f800000
	v_dual_fmaak_f32 v4, 0x2f800000, v4, 0x2f800000 :: v_dual_fmaak_f32 v5, 0x2f800000, v5, 0x2f800000
	s_clause 0x1
	global_load_b128 v[43:46], v[47:48], off
	global_load_b128 v[47:50], v[47:48], off offset:16
	v_cvt_f32_u32_e32 v3, v3
	v_cmp_gt_f32_e64 s2, s9, v7
	v_cmp_gt_f32_e32 vcc_lo, s9, v4
	v_cmp_gt_f32_e64 s1, s9, v6
	v_cvt_f32_u32_e32 v15, v15
	v_cvt_f32_u32_e32 v17, v17
	v_cndmask_b32_e64 v54, 0, 1, s2
	v_cndmask_b32_e64 v4, 0, 1.0, vcc_lo
	v_fmaak_f32 v41, 0x2f800000, v41, 0x2f800000
	v_cndmask_b32_e64 v42, 0, 1.0, s2
	v_fmaak_f32 v3, 0x2f800000, v3, 0x2f800000
	v_cndmask_b32_e64 v57, 0, 1, s1
	v_lshlrev_b16 v54, 8, v54
	v_cndmask_b32_e64 v6, 0, 1.0, s1
	v_fmaak_f32 v17, 0x2f800000, v17, 0x2f800000
	v_cmp_gt_f32_e64 s0, s9, v5
	v_cndmask_b32_e64 v7, 0, 1, vcc_lo
	v_or_b32_e32 v54, v57, v54
	v_fmaak_f32 v15, 0x2f800000, v15, 0x2f800000
	s_delay_alu instid0(VALU_DEP_4) | instskip(SKIP_1) | instid1(VALU_DEP_4)
	v_cndmask_b32_e64 v51, 0, 1, s0
	v_cndmask_b32_e64 v5, 0, 1.0, s0
	v_lshlrev_b32_e32 v54, 16, v54
	s_delay_alu instid0(VALU_DEP_4) | instskip(NEXT) | instid1(VALU_DEP_4)
	v_cmp_gt_f32_e64 s3, s9, v15
	v_lshlrev_b16 v51, 8, v51
	s_delay_alu instid0(VALU_DEP_2) | instskip(SKIP_1) | instid1(VALU_DEP_3)
	v_cndmask_b32_e64 v55, 0, 1, s3
	v_cndmask_b32_e64 v15, 0, 1.0, s3
	v_or_b32_e32 v51, v7, v51
	v_add_co_u32 v7, vcc_lo, s12, v8
	v_add_co_ci_u32_e32 v8, vcc_lo, s13, v9, vcc_lo
	s_waitcnt vmcnt(1)
	v_mul_f32_e32 v4, v43, v4
	v_cmp_gt_f32_e64 s4, s9, v41
	v_mul_f32_e32 v42, v46, v42
	v_cmp_gt_f32_e64 s6, s9, v3
	;; [unrolled: 2-line block ×3, first 2 shown]
	v_cndmask_b32_e64 v52, 0, 1, s4
	v_cndmask_b32_e64 v41, 0, 1.0, s4
	v_cndmask_b32_e64 v53, 0, 1, s6
	v_cndmask_b32_e64 v3, 0, 1.0, s6
	v_cndmask_b32_e64 v56, 0, 1, s5
	v_lshlrev_b16 v52, 8, v52
	v_cndmask_b32_e64 v17, 0, 1.0, s5
	v_lshlrev_b16 v53, 8, v53
	s_waitcnt vmcnt(0)
	v_mul_f32_e32 v15, v47, v15
	v_mul_f32_e32 v5, v44, v5
	v_or_b32_e32 v52, v55, v52
	v_mul_f32_e32 v44, v50, v3
	v_or_b32_e32 v53, v56, v53
	v_mul_f32_e32 v43, v48, v41
	v_and_b32_e32 v9, 0xffff, v51
	v_and_b32_e32 v52, 0xffff, v52
	v_mul_f32_e32 v3, v38, v4
	v_dual_mul_f32 v44, v38, v44 :: v_dual_lshlrev_b32 v53, 16, v53
	v_mul_f32_e32 v17, v49, v17
	v_mul_f32_e32 v4, v38, v5
	;; [unrolled: 1-line block ×7, first 2 shown]
	v_or_b32_e32 v51, v52, v53
	v_or_b32_e32 v50, v9, v54
	s_clause 0x1
	global_store_b128 v[7:8], v[3:6], off
	global_store_b128 v[7:8], v[41:44], off offset:16
	global_store_b64 v12, v[50:51], s[14:15]
	v_dual_mov_b32 v3, v16 :: v_dual_add_nc_u32 v12, s16, v12
	s_waitcnt_vscnt null, 0x0
	s_barrier
	buffer_gl0_inv
	v_cmp_le_u32_e32 vcc_lo, s8, v12
	s_or_b32 s7, vcc_lo, s7
	s_delay_alu instid0(SALU_CYCLE_1)
	s_and_not1_b32 exec_lo, exec_lo, s7
	s_cbranch_execz .LBB64_25
.LBB64_6:                               ; =>This Inner Loop Header: Depth=1
	v_add_co_u32 v6, vcc_lo, v18, 1
	s_delay_alu instid0(VALU_DEP_1) | instskip(SKIP_2) | instid1(VALU_DEP_1)
	v_cndmask_b32_e64 v4, 0, 1, vcc_lo
	v_add_co_ci_u32_e32 v17, vcc_lo, 0, v39, vcc_lo
	s_mov_b32 s0, exec_lo
	v_cmp_eq_u32_e32 vcc_lo, 0, v17
	s_delay_alu instid0(VALU_DEP_3) | instskip(SKIP_1) | instid1(VALU_DEP_2)
	v_cndmask_b32_e32 v7, 0, v4, vcc_lo
	v_mad_u64_u32 v[4:5], null, 0xd2511f53, v6, 0
	v_add_nc_u32_e32 v14, v7, v14
	s_delay_alu instid0(VALU_DEP_2) | instskip(NEXT) | instid1(VALU_DEP_2)
	v_xor_b32_e32 v8, v5, v11
	v_cmp_eq_u32_e32 vcc_lo, 0, v14
	v_cndmask_b32_e32 v7, 0, v7, vcc_lo
	v_mad_u64_u32 v[5:6], null, 0xcd9e8d57, v14, 0
	s_delay_alu instid0(VALU_DEP_2) | instskip(NEXT) | instid1(VALU_DEP_2)
	v_add_nc_u32_e32 v40, v7, v40
	v_xor3_b32 v15, v6, v10, v17
	s_delay_alu instid0(VALU_DEP_2) | instskip(NEXT) | instid1(VALU_DEP_1)
	v_xor_b32_e32 v8, v40, v8
	v_mad_u64_u32 v[6:7], null, 0xcd9e8d57, v8, 0
	s_delay_alu instid0(VALU_DEP_3) | instskip(NEXT) | instid1(VALU_DEP_2)
	v_mad_u64_u32 v[8:9], null, 0xd2511f53, v15, 0
	v_xor3_b32 v7, v20, v7, v5
	s_delay_alu instid0(VALU_DEP_2) | instskip(NEXT) | instid1(VALU_DEP_2)
	v_xor3_b32 v9, v19, v9, v4
	v_mad_u64_u32 v[4:5], null, 0xd2511f53, v7, 0
	s_delay_alu instid0(VALU_DEP_2) | instskip(NEXT) | instid1(VALU_DEP_2)
	v_mad_u64_u32 v[15:16], null, 0xcd9e8d57, v9, 0
	v_xor3_b32 v7, v22, v5, v8
	s_delay_alu instid0(VALU_DEP_2) | instskip(NEXT) | instid1(VALU_DEP_2)
	v_xor3_b32 v9, v21, v16, v6
	v_mad_u64_u32 v[5:6], null, 0xcd9e8d57, v7, 0
	s_delay_alu instid0(VALU_DEP_2) | instskip(NEXT) | instid1(VALU_DEP_2)
	;; [unrolled: 6-line block ×8, first 2 shown]
	v_mad_u64_u32 v[15:16], null, 0xd2511f53, v4, 0
	v_xor3_b32 v41, v9, v41, v35
	s_delay_alu instid0(VALU_DEP_2)
	v_xor3_b32 v9, v16, v5, v36
                                        ; implicit-def: $vgpr4_vgpr5_vgpr6_vgpr7
	v_cmpx_lt_i32_e32 1, v37
	s_xor_b32 s0, exec_lo, s0
	s_cbranch_execz .LBB64_12
; %bb.7:                                ;   in Loop: Header=BB64_6 Depth=1
	s_mov_b32 s1, exec_lo
                                        ; implicit-def: $vgpr4_vgpr5_vgpr6_vgpr7
	v_cmpx_lt_i32_e32 2, v37
	s_xor_b32 s1, exec_lo, s1
; %bb.8:                                ;   in Loop: Header=BB64_6 Depth=1
	v_dual_mov_b32 v6, v3 :: v_dual_mov_b32 v7, v41
                                        ; implicit-def: $vgpr0_vgpr1_vgpr2_vgpr3
	s_delay_alu instid0(VALU_DEP_1) | instskip(NEXT) | instid1(VALU_DEP_2)
	v_mov_b32_e32 v4, v6
	v_dual_mov_b32 v5, v7 :: v_dual_mov_b32 v6, v8
	v_mov_b32_e32 v7, v9
; %bb.9:                                ;   in Loop: Header=BB64_6 Depth=1
	s_and_not1_saveexec_b32 s1, s1
; %bb.10:                               ;   in Loop: Header=BB64_6 Depth=1
	v_dual_mov_b32 v4, v2 :: v_dual_mov_b32 v5, v3
	v_dual_mov_b32 v6, v41 :: v_dual_mov_b32 v7, v8
; %bb.11:                               ;   in Loop: Header=BB64_6 Depth=1
	s_or_b32 exec_lo, exec_lo, s1
                                        ; implicit-def: $vgpr0_vgpr1_vgpr2_vgpr3
.LBB64_12:                              ;   in Loop: Header=BB64_6 Depth=1
	s_and_not1_saveexec_b32 s0, s0
	s_cbranch_execz .LBB64_16
; %bb.13:                               ;   in Loop: Header=BB64_6 Depth=1
	s_mov_b32 s1, exec_lo
	v_cmpx_eq_u32_e32 1, v37
; %bb.14:                               ;   in Loop: Header=BB64_6 Depth=1
	v_dual_mov_b32 v0, v1 :: v_dual_mov_b32 v1, v2
	v_dual_mov_b32 v2, v3 :: v_dual_mov_b32 v3, v41
; %bb.15:                               ;   in Loop: Header=BB64_6 Depth=1
	s_or_b32 exec_lo, exec_lo, s1
	s_delay_alu instid0(VALU_DEP_1) | instskip(NEXT) | instid1(VALU_DEP_3)
	v_dual_mov_b32 v7, v3 :: v_dual_mov_b32 v6, v2
	v_dual_mov_b32 v5, v1 :: v_dual_mov_b32 v4, v0
.LBB64_16:                              ;   in Loop: Header=BB64_6 Depth=1
	s_or_b32 exec_lo, exec_lo, s0
	v_add_nc_u32_e32 v18, 2, v18
	s_mov_b32 s0, exec_lo
	s_delay_alu instid0(VALU_DEP_1) | instskip(SKIP_2) | instid1(VALU_DEP_1)
	v_cmp_eq_u32_e32 vcc_lo, 0, v18
	v_cndmask_b32_e64 v0, 0, 1, vcc_lo
	v_add_co_ci_u32_e32 v39, vcc_lo, 0, v17, vcc_lo
	v_cmp_eq_u32_e32 vcc_lo, 0, v39
	s_delay_alu instid0(VALU_DEP_3) | instskip(NEXT) | instid1(VALU_DEP_1)
	v_cndmask_b32_e32 v0, 0, v0, vcc_lo
	v_add_nc_u32_e32 v14, v0, v14
	s_delay_alu instid0(VALU_DEP_1) | instskip(SKIP_2) | instid1(VALU_DEP_2)
	v_cmp_eq_u32_e32 vcc_lo, 0, v14
	v_mad_u64_u32 v[2:3], null, 0xcd9e8d57, v14, 0
	v_cndmask_b32_e32 v0, 0, v0, vcc_lo
	v_xor3_b32 v3, v3, v10, v39
	s_delay_alu instid0(VALU_DEP_2) | instskip(SKIP_1) | instid1(VALU_DEP_3)
	v_add_nc_u32_e32 v40, v0, v40
	v_mad_u64_u32 v[0:1], null, 0xd2511f53, v18, 0
	v_mad_u64_u32 v[42:43], null, 0xd2511f53, v3, 0
	s_delay_alu instid0(VALU_DEP_2) | instskip(NEXT) | instid1(VALU_DEP_1)
	v_xor_b32_e32 v1, v1, v11
	v_xor_b32_e32 v1, v40, v1
	s_delay_alu instid0(VALU_DEP_1) | instskip(NEXT) | instid1(VALU_DEP_1)
	v_mad_u64_u32 v[16:17], null, 0xcd9e8d57, v1, 0
	v_xor3_b32 v2, v20, v17, v2
	v_xor3_b32 v17, v19, v43, v0
	s_delay_alu instid0(VALU_DEP_2) | instskip(NEXT) | instid1(VALU_DEP_2)
	v_mad_u64_u32 v[0:1], null, 0xd2511f53, v2, 0
	v_mad_u64_u32 v[2:3], null, 0xcd9e8d57, v17, 0
	s_delay_alu instid0(VALU_DEP_2) | instskip(NEXT) | instid1(VALU_DEP_2)
	v_xor3_b32 v1, v22, v1, v42
	v_xor3_b32 v3, v21, v3, v16
	s_delay_alu instid0(VALU_DEP_2) | instskip(NEXT) | instid1(VALU_DEP_2)
	v_mad_u64_u32 v[16:17], null, 0xcd9e8d57, v1, 0
	v_mad_u64_u32 v[42:43], null, 0xd2511f53, v3, 0
	s_delay_alu instid0(VALU_DEP_2) | instskip(NEXT) | instid1(VALU_DEP_2)
	;; [unrolled: 6-line block ×7, first 2 shown]
	v_xor3_b32 v3, v34, v44, v42
	v_xor3_b32 v42, v33, v1, v16
	s_delay_alu instid0(VALU_DEP_2) | instskip(NEXT) | instid1(VALU_DEP_2)
	v_mad_u64_u32 v[1:2], null, 0xcd9e8d57, v3, 0
	v_mad_u64_u32 v[16:17], null, 0xd2511f53, v42, 0
                                        ; implicit-def: $vgpr3
                                        ; implicit-def: $vgpr42
	s_delay_alu instid0(VALU_DEP_2) | instskip(NEXT) | instid1(VALU_DEP_2)
	v_xor3_b32 v0, v2, v0, v35
	v_xor3_b32 v2, v17, v43, v36
                                        ; implicit-def: $vgpr17
	v_cmpx_lt_i32_e32 1, v37
	s_xor_b32 s0, exec_lo, s0
	s_cbranch_execz .LBB64_22
; %bb.17:                               ;   in Loop: Header=BB64_6 Depth=1
	s_mov_b32 s1, exec_lo
	v_cmpx_lt_i32_e32 2, v37
	s_xor_b32 s1, exec_lo, s1
; %bb.18:                               ;   in Loop: Header=BB64_6 Depth=1
                                        ; implicit-def: $vgpr9
; %bb.19:                               ;   in Loop: Header=BB64_6 Depth=1
	s_delay_alu instid0(SALU_CYCLE_1)
	s_or_saveexec_b32 s1, s1
	v_dual_mov_b32 v3, v2 :: v_dual_mov_b32 v42, v0
	v_mov_b32_e32 v17, v1
	s_xor_b32 exec_lo, exec_lo, s1
; %bb.20:                               ;   in Loop: Header=BB64_6 Depth=1
	v_dual_mov_b32 v3, v1 :: v_dual_mov_b32 v42, v15
	v_mov_b32_e32 v17, v0
	v_mov_b32_e32 v15, v9
; %bb.21:                               ;   in Loop: Header=BB64_6 Depth=1
	s_or_b32 exec_lo, exec_lo, s1
                                        ; implicit-def: $vgpr9
                                        ; implicit-def: $vgpr41
.LBB64_22:                              ;   in Loop: Header=BB64_6 Depth=1
	s_and_not1_saveexec_b32 s0, s0
	s_cbranch_execz .LBB64_5
; %bb.23:                               ;   in Loop: Header=BB64_6 Depth=1
	s_delay_alu instid0(VALU_DEP_1)
	v_dual_mov_b32 v3, v15 :: v_dual_mov_b32 v42, v8
	v_mov_b32_e32 v17, v9
	s_mov_b32 s1, exec_lo
	v_cmpx_eq_u32_e32 1, v37
	s_cbranch_execz .LBB64_4
; %bb.24:                               ;   in Loop: Header=BB64_6 Depth=1
	v_dual_mov_b32 v3, v0 :: v_dual_mov_b32 v42, v9
	v_mov_b32_e32 v17, v15
	v_mov_b32_e32 v41, v8
	s_branch .LBB64_4
.LBB64_25:
	s_endpgm
	.section	.rodata,"a",@progbits
	.p2align	6, 0x0
	.amdhsa_kernel _ZN2at6native12_GLOBAL__N_124fused_dropout_kernel_vecIffjLi1ELi8EhEEvNS_4cuda6detail10TensorInfoIKT_T1_EENS5_IS6_S8_EENS5_IT4_S8_EES8_T0_NS_15PhiloxCudaStateE
		.amdhsa_group_segment_fixed_size 0
		.amdhsa_private_segment_fixed_size 0
		.amdhsa_kernarg_size 944
		.amdhsa_user_sgpr_count 15
		.amdhsa_user_sgpr_dispatch_ptr 0
		.amdhsa_user_sgpr_queue_ptr 0
		.amdhsa_user_sgpr_kernarg_segment_ptr 1
		.amdhsa_user_sgpr_dispatch_id 0
		.amdhsa_user_sgpr_private_segment_size 0
		.amdhsa_wavefront_size32 1
		.amdhsa_uses_dynamic_stack 0
		.amdhsa_enable_private_segment 0
		.amdhsa_system_sgpr_workgroup_id_x 1
		.amdhsa_system_sgpr_workgroup_id_y 0
		.amdhsa_system_sgpr_workgroup_id_z 0
		.amdhsa_system_sgpr_workgroup_info 0
		.amdhsa_system_vgpr_workitem_id 0
		.amdhsa_next_free_vgpr 58
		.amdhsa_next_free_sgpr 17
		.amdhsa_reserve_vcc 1
		.amdhsa_float_round_mode_32 0
		.amdhsa_float_round_mode_16_64 0
		.amdhsa_float_denorm_mode_32 3
		.amdhsa_float_denorm_mode_16_64 3
		.amdhsa_dx10_clamp 1
		.amdhsa_ieee_mode 1
		.amdhsa_fp16_overflow 0
		.amdhsa_workgroup_processor_mode 1
		.amdhsa_memory_ordered 1
		.amdhsa_forward_progress 0
		.amdhsa_shared_vgpr_count 0
		.amdhsa_exception_fp_ieee_invalid_op 0
		.amdhsa_exception_fp_denorm_src 0
		.amdhsa_exception_fp_ieee_div_zero 0
		.amdhsa_exception_fp_ieee_overflow 0
		.amdhsa_exception_fp_ieee_underflow 0
		.amdhsa_exception_fp_ieee_inexact 0
		.amdhsa_exception_int_div_zero 0
	.end_amdhsa_kernel
	.section	.text._ZN2at6native12_GLOBAL__N_124fused_dropout_kernel_vecIffjLi1ELi8EhEEvNS_4cuda6detail10TensorInfoIKT_T1_EENS5_IS6_S8_EENS5_IT4_S8_EES8_T0_NS_15PhiloxCudaStateE,"axG",@progbits,_ZN2at6native12_GLOBAL__N_124fused_dropout_kernel_vecIffjLi1ELi8EhEEvNS_4cuda6detail10TensorInfoIKT_T1_EENS5_IS6_S8_EENS5_IT4_S8_EES8_T0_NS_15PhiloxCudaStateE,comdat
.Lfunc_end64:
	.size	_ZN2at6native12_GLOBAL__N_124fused_dropout_kernel_vecIffjLi1ELi8EhEEvNS_4cuda6detail10TensorInfoIKT_T1_EENS5_IS6_S8_EENS5_IT4_S8_EES8_T0_NS_15PhiloxCudaStateE, .Lfunc_end64-_ZN2at6native12_GLOBAL__N_124fused_dropout_kernel_vecIffjLi1ELi8EhEEvNS_4cuda6detail10TensorInfoIKT_T1_EENS5_IS6_S8_EENS5_IT4_S8_EES8_T0_NS_15PhiloxCudaStateE
                                        ; -- End function
	.section	.AMDGPU.csdata,"",@progbits
; Kernel info:
; codeLenInByte = 2948
; NumSgprs: 19
; NumVgprs: 58
; ScratchSize: 0
; MemoryBound: 0
; FloatMode: 240
; IeeeMode: 1
; LDSByteSize: 0 bytes/workgroup (compile time only)
; SGPRBlocks: 2
; VGPRBlocks: 7
; NumSGPRsForWavesPerEU: 19
; NumVGPRsForWavesPerEU: 58
; Occupancy: 16
; WaveLimiterHint : 1
; COMPUTE_PGM_RSRC2:SCRATCH_EN: 0
; COMPUTE_PGM_RSRC2:USER_SGPR: 15
; COMPUTE_PGM_RSRC2:TRAP_HANDLER: 0
; COMPUTE_PGM_RSRC2:TGID_X_EN: 1
; COMPUTE_PGM_RSRC2:TGID_Y_EN: 0
; COMPUTE_PGM_RSRC2:TGID_Z_EN: 0
; COMPUTE_PGM_RSRC2:TIDIG_COMP_CNT: 0
	.section	.text._ZN2at6native12_GLOBAL__N_124fused_dropout_kernel_vecIffjLi1ELi4EhEEvNS_4cuda6detail10TensorInfoIKT_T1_EENS5_IS6_S8_EENS5_IT4_S8_EES8_T0_NS_15PhiloxCudaStateE,"axG",@progbits,_ZN2at6native12_GLOBAL__N_124fused_dropout_kernel_vecIffjLi1ELi4EhEEvNS_4cuda6detail10TensorInfoIKT_T1_EENS5_IS6_S8_EENS5_IT4_S8_EES8_T0_NS_15PhiloxCudaStateE,comdat
	.globl	_ZN2at6native12_GLOBAL__N_124fused_dropout_kernel_vecIffjLi1ELi4EhEEvNS_4cuda6detail10TensorInfoIKT_T1_EENS5_IS6_S8_EENS5_IT4_S8_EES8_T0_NS_15PhiloxCudaStateE ; -- Begin function _ZN2at6native12_GLOBAL__N_124fused_dropout_kernel_vecIffjLi1ELi4EhEEvNS_4cuda6detail10TensorInfoIKT_T1_EENS5_IS6_S8_EENS5_IT4_S8_EES8_T0_NS_15PhiloxCudaStateE
	.p2align	8
	.type	_ZN2at6native12_GLOBAL__N_124fused_dropout_kernel_vecIffjLi1ELi4EhEEvNS_4cuda6detail10TensorInfoIKT_T1_EENS5_IS6_S8_EENS5_IT4_S8_EES8_T0_NS_15PhiloxCudaStateE,@function
_ZN2at6native12_GLOBAL__N_124fused_dropout_kernel_vecIffjLi1ELi4EhEEvNS_4cuda6detail10TensorInfoIKT_T1_EENS5_IS6_S8_EENS5_IT4_S8_EES8_T0_NS_15PhiloxCudaStateE: ; @_ZN2at6native12_GLOBAL__N_124fused_dropout_kernel_vecIffjLi1ELi4EhEEvNS_4cuda6detail10TensorInfoIKT_T1_EENS5_IS6_S8_EENS5_IT4_S8_EES8_T0_NS_15PhiloxCudaStateE
; %bb.0:
	s_clause 0x1
	s_load_b128 s[4:7], s[0:1], 0x290
	s_load_b32 s2, s[0:1], 0x2a8
	s_waitcnt lgkmcnt(0)
	v_dual_mov_b32 v3, s6 :: v_dual_mov_b32 v4, s7
	v_dual_mov_b32 v12, s5 :: v_dual_mov_b32 v11, s4
	s_bitcmp0_b32 s2, 0
	s_cbranch_scc1 .LBB65_2
; %bb.1:
	v_dual_mov_b32 v1, s6 :: v_dual_mov_b32 v2, s7
	v_dual_mov_b32 v3, s4 :: v_dual_mov_b32 v4, s5
	s_load_b64 s[2:3], s[0:1], 0x2a0
	flat_load_b64 v[1:2], v[1:2]
	flat_load_b64 v[11:12], v[3:4]
	s_waitcnt vmcnt(1) lgkmcnt(0)
	v_add_co_u32 v3, vcc_lo, v1, s2
	v_add_co_ci_u32_e32 v4, vcc_lo, s3, v2, vcc_lo
.LBB65_2:
	s_clause 0x1
	s_load_b32 s6, s[0:1], 0x2bc
	s_load_b64 s[2:3], s[0:1], 0x288
	s_add_u32 s4, s0, 0x2b0
	s_addc_u32 s5, s1, 0
	s_waitcnt lgkmcnt(0)
	s_and_b32 s10, s6, 0xffff
	s_mov_b32 s6, exec_lo
	v_mad_u64_u32 v[13:14], null, s15, s10, v[0:1]
	s_delay_alu instid0(VALU_DEP_1) | instskip(NEXT) | instid1(VALU_DEP_1)
	v_lshlrev_b32_e32 v14, 2, v13
	v_cmpx_gt_u32_e64 s2, v14
	s_cbranch_execz .LBB65_15
; %bb.3:
	v_mad_u64_u32 v[0:1], null, 0xcd9e8d57, v13, 0
	v_alignbit_b32 v18, v4, v3, 2
	v_lshrrev_b32_e32 v19, 2, v4
	s_waitcnt vmcnt(0)
	v_mov_b32_e32 v15, v12
	v_add_co_u32 v21, null, 0x9e3779b9, v11
	v_mad_u64_u32 v[4:5], null, 0xd2511f53, v18, 0
	v_xor3_b32 v6, v11, v1, v19
	s_delay_alu instid0(VALU_DEP_4) | instskip(SKIP_1) | instid1(VALU_DEP_3)
	v_add_co_u32 v20, null, 0xbb67ae85, v15
	v_add_co_u32 v22, null, 0x3c6ef372, v11
	v_mad_u64_u32 v[1:2], null, 0xd2511f53, v6, 0
	v_xor_b32_e32 v7, v5, v12
	v_add_co_u32 v23, null, 0x76cf5d0a, v15
	v_add_co_u32 v24, null, 0x32370b8f, v15
	s_delay_alu instid0(VALU_DEP_3) | instskip(SKIP_3) | instid1(VALU_DEP_3)
	v_mad_u64_u32 v[5:6], null, 0xcd9e8d57, v7, 0
	v_xor3_b32 v2, v20, v2, v4
	v_add_co_u32 v25, null, 0xdaa66d2b, v11
	v_add_co_u32 v26, null, 0x78dde6e4, v11
	v_mad_u64_u32 v[7:8], null, 0xcd9e8d57, v2, 0
	v_xor3_b32 v0, v6, v21, v0
	v_add_co_u32 v27, null, 0xed9eba14, v15
	v_add_co_u32 v28, null, 0xa9066899, v15
	s_delay_alu instid0(VALU_DEP_3) | instskip(SKIP_3) | instid1(VALU_DEP_3)
	v_mad_u64_u32 v[9:10], null, 0xd2511f53, v0, 0
	v_xor3_b32 v0, v22, v8, v5
	v_div_scale_f32 v16, null, s3, s3, 1.0
	v_add_co_u32 v29, null, 0x1715609d, v11
	v_mad_u64_u32 v[4:5], null, 0xd2511f53, v0, 0
	v_xor3_b32 v2, v10, v23, v1
	s_delay_alu instid0(VALU_DEP_4) | instskip(SKIP_2) | instid1(VALU_DEP_3)
	v_rcp_f32_e32 v17, v16
	v_add_co_u32 v30, null, 0xb54cda56, v11
	v_add_co_u32 v31, null, 0x646e171e, v15
	v_mad_u64_u32 v[0:1], null, 0xcd9e8d57, v2, 0
	v_xor3_b32 v2, v24, v5, v9
	v_add_co_u32 v32, null, 0x1fd5c5a3, v15
	v_div_scale_f32 v36, vcc_lo, 1.0, s3, 1.0
	s_delay_alu instid0(VALU_DEP_3) | instskip(SKIP_3) | instid1(VALU_DEP_3)
	v_mad_u64_u32 v[5:6], null, 0xcd9e8d57, v2, 0
	v_xor3_b32 v7, v1, v25, v7
	v_add_co_u32 v33, null, 0x5384540f, v11
	v_add_co_u32 v34, null, 0xf1bbcdc8, v11
	v_mad_u64_u32 v[1:2], null, 0xd2511f53, v7, 0
	v_xor3_b32 v0, v26, v6, v0
	s_load_b32 s11, s[4:5], 0x0
	s_clause 0x2
	s_load_b64 s[4:5], s[0:1], 0x0
	s_load_b64 s[6:7], s[0:1], 0xd8
	;; [unrolled: 1-line block ×3, first 2 shown]
	v_and_b32_e32 v38, 3, v3
	v_mad_u64_u32 v[6:7], null, 0xd2511f53, v0, 0
	v_xor3_b32 v0, v2, v27, v4
	s_delay_alu instid0(VALU_DEP_1) | instskip(NEXT) | instid1(VALU_DEP_3)
	v_mad_u64_u32 v[8:9], null, 0xcd9e8d57, v0, 0
	v_xor3_b32 v2, v28, v7, v1
	s_delay_alu instid0(VALU_DEP_1) | instskip(NEXT) | instid1(VALU_DEP_3)
	v_mad_u64_u32 v[0:1], null, 0xcd9e8d57, v2, 0
	v_xor3_b32 v2, v9, v29, v5
	s_waitcnt lgkmcnt(0)
	s_mul_i32 s11, s11, s10
	s_mov_b32 s10, 0
	s_lshl_b32 s11, s11, 2
	v_mad_u64_u32 v[4:5], null, 0xd2511f53, v2, 0
	s_delay_alu instid0(VALU_DEP_3) | instskip(SKIP_1) | instid1(VALU_DEP_2)
	v_xor3_b32 v7, v30, v1, v8
	v_fma_f32 v8, -v16, v17, 1.0
	v_mad_u64_u32 v[1:2], null, 0xd2511f53, v7, 0
	s_delay_alu instid0(VALU_DEP_4) | instskip(NEXT) | instid1(VALU_DEP_3)
	v_xor3_b32 v7, v5, v31, v6
	v_fmac_f32_e32 v17, v8, v17
	s_delay_alu instid0(VALU_DEP_2) | instskip(NEXT) | instid1(VALU_DEP_4)
	v_mad_u64_u32 v[5:6], null, 0xcd9e8d57, v7, 0
	v_xor3_b32 v2, v32, v2, v4
	s_delay_alu instid0(VALU_DEP_3) | instskip(NEXT) | instid1(VALU_DEP_2)
	v_mul_f32_e32 v37, v36, v17
	v_mad_u64_u32 v[7:8], null, 0xcd9e8d57, v2, 0
	s_delay_alu instid0(VALU_DEP_2) | instskip(SKIP_1) | instid1(VALU_DEP_2)
	v_fma_f32 v2, -v16, v37, v36
	v_xor3_b32 v0, v6, v33, v0
	v_fmac_f32_e32 v37, v2, v17
	s_delay_alu instid0(VALU_DEP_2) | instskip(SKIP_1) | instid1(VALU_DEP_3)
	v_mad_u64_u32 v[9:10], null, 0xd2511f53, v0, 0
	v_xor3_b32 v0, v34, v8, v5
	v_fma_f32 v8, -v16, v37, v36
	v_add_nc_u32_e32 v36, 0x8ff34781, v11
	v_add_co_u32 v35, null, 0xdb3d7428, v15
	s_delay_alu instid0(VALU_DEP_4) | instskip(NEXT) | instid1(VALU_DEP_4)
	v_mad_u64_u32 v[4:5], null, 0xd2511f53, v0, 0
	v_div_fmas_f32 v0, v8, v17, v37
	s_delay_alu instid0(VALU_DEP_3) | instskip(SKIP_2) | instid1(VALU_DEP_4)
	v_xor3_b32 v6, v10, v35, v1
	v_mov_b32_e32 v15, 0
	v_add_nc_u32_e32 v37, 0x96a522ad, v12
	v_div_fixup_f32 v39, v0, s3, 1.0
	s_delay_alu instid0(VALU_DEP_4) | instskip(NEXT) | instid1(VALU_DEP_4)
	v_mad_u64_u32 v[1:2], null, 0xcd9e8d57, v6, 0
	v_dual_mov_b32 v40, v15 :: v_dual_mov_b32 v3, v4
	s_delay_alu instid0(VALU_DEP_2)
	v_xor3_b32 v0, v7, v2, v36
	v_xor3_b32 v2, v5, v9, v37
	s_branch .LBB65_6
.LBB65_4:                               ;   in Loop: Header=BB65_6 Depth=1
	s_or_b32 exec_lo, exec_lo, s1
.LBB65_5:                               ;   in Loop: Header=BB65_6 Depth=1
	s_delay_alu instid0(SALU_CYCLE_1)
	s_or_b32 exec_lo, exec_lo, s0
	v_lshlrev_b64 v[41:42], 2, v[14:15]
	v_cvt_f32_u32_e32 v1, v1
	v_cvt_f32_u32_e32 v2, v2
	;; [unrolled: 1-line block ×4, first 2 shown]
	s_delay_alu instid0(VALU_DEP_4) | instskip(SKIP_1) | instid1(VALU_DEP_3)
	v_fmaak_f32 v1, 0x2f800000, v1, 0x2f800000
	v_add_co_u32 v7, vcc_lo, s4, v41
	v_fmaak_f32 v0, 0x2f800000, v0, 0x2f800000
	v_add_co_ci_u32_e32 v8, vcc_lo, s5, v42, vcc_lo
	v_dual_fmaak_f32 v2, 0x2f800000, v2, 0x2f800000 :: v_dual_fmaak_f32 v3, 0x2f800000, v3, 0x2f800000
	v_cmp_gt_f32_e32 vcc_lo, s3, v1
	global_load_b128 v[7:10], v[7:8], off
	v_cmp_gt_f32_e64 s0, s3, v0
	v_cmp_gt_f32_e64 s1, s3, v3
	v_cndmask_b32_e64 v3, 0, 1, vcc_lo
	v_cndmask_b32_e64 v1, 0, 1.0, vcc_lo
	v_cmp_gt_f32_e32 vcc_lo, s3, v2
	v_cndmask_b32_e64 v43, 0, 1, s0
	v_cndmask_b32_e64 v2, 0, 1, s1
	v_lshlrev_b16 v3, 8, v3
	v_cndmask_b32_e64 v0, 0, 1.0, s0
	v_cndmask_b32_e64 v45, 0, 1, vcc_lo
	v_cndmask_b32_e64 v17, 0, 1.0, s1
	v_lshlrev_b16 v2, 8, v2
	v_cndmask_b32_e64 v44, 0, 1.0, vcc_lo
	v_or_b32_e32 v3, v43, v3
	v_add_co_u32 v41, vcc_lo, s6, v41
	s_delay_alu instid0(VALU_DEP_4) | instskip(SKIP_3) | instid1(VALU_DEP_3)
	v_or_b32_e32 v2, v45, v2
	v_add_co_ci_u32_e32 v42, vcc_lo, s7, v42, vcc_lo
	s_waitcnt vmcnt(0)
	v_dual_mul_f32 v0, v7, v0 :: v_dual_and_b32 v43, 0xffff, v3
	v_dual_mul_f32 v1, v8, v1 :: v_dual_lshlrev_b32 v8, 16, v2
	v_mul_f32_e32 v3, v9, v44
	s_delay_alu instid0(VALU_DEP_3) | instskip(NEXT) | instid1(VALU_DEP_3)
	v_dual_mul_f32 v7, v10, v17 :: v_dual_mul_f32 v0, v39, v0
	v_mul_f32_e32 v1, v39, v1
	s_delay_alu instid0(VALU_DEP_3) | instskip(NEXT) | instid1(VALU_DEP_3)
	v_mul_f32_e32 v2, v39, v3
	v_mul_f32_e32 v3, v39, v7
	v_or_b32_e32 v7, v43, v8
	global_store_b128 v[41:42], v[0:3], off
	global_store_b32 v14, v7, s[8:9]
	v_dual_mov_b32 v7, v16 :: v_dual_add_nc_u32 v14, s11, v14
	v_dual_mov_b32 v0, v4 :: v_dual_mov_b32 v1, v5
	s_delay_alu instid0(VALU_DEP_2) | instskip(NEXT) | instid1(VALU_DEP_3)
	v_dual_mov_b32 v2, v6 :: v_dual_mov_b32 v3, v7
	v_cmp_le_u32_e32 vcc_lo, s2, v14
	s_waitcnt_vscnt null, 0x0
	s_barrier
	buffer_gl0_inv
	s_or_b32 s10, vcc_lo, s10
	s_delay_alu instid0(SALU_CYCLE_1)
	s_and_not1_b32 exec_lo, exec_lo, s10
	s_cbranch_execz .LBB65_15
.LBB65_6:                               ; =>This Inner Loop Header: Depth=1
	v_add_co_u32 v18, vcc_lo, v18, 1
	s_delay_alu instid0(VALU_DEP_1) | instskip(SKIP_2) | instid1(VALU_DEP_1)
	v_cndmask_b32_e64 v4, 0, 1, vcc_lo
	v_add_co_ci_u32_e32 v19, vcc_lo, 0, v19, vcc_lo
	s_mov_b32 s0, exec_lo
	v_cmp_eq_u32_e32 vcc_lo, 0, v19
	s_delay_alu instid0(VALU_DEP_3) | instskip(NEXT) | instid1(VALU_DEP_1)
	v_cndmask_b32_e32 v4, 0, v4, vcc_lo
	v_add_nc_u32_e32 v13, v4, v13
	s_delay_alu instid0(VALU_DEP_1) | instskip(SKIP_2) | instid1(VALU_DEP_2)
	v_cmp_eq_u32_e32 vcc_lo, 0, v13
	v_cndmask_b32_e32 v4, 0, v4, vcc_lo
	v_mad_u64_u32 v[6:7], null, 0xcd9e8d57, v13, 0
	v_add_nc_u32_e32 v40, v4, v40
	v_mad_u64_u32 v[4:5], null, 0xd2511f53, v18, 0
	s_delay_alu instid0(VALU_DEP_3) | instskip(NEXT) | instid1(VALU_DEP_2)
	v_xor3_b32 v9, v7, v11, v19
	v_xor_b32_e32 v5, v5, v12
	s_delay_alu instid0(VALU_DEP_2) | instskip(NEXT) | instid1(VALU_DEP_2)
	v_mad_u64_u32 v[7:8], null, 0xd2511f53, v9, 0
	v_xor_b32_e32 v5, v40, v5
	s_delay_alu instid0(VALU_DEP_2) | instskip(NEXT) | instid1(VALU_DEP_2)
	v_xor3_b32 v8, v20, v8, v4
	v_mad_u64_u32 v[9:10], null, 0xcd9e8d57, v5, 0
	s_delay_alu instid0(VALU_DEP_2) | instskip(NEXT) | instid1(VALU_DEP_2)
	v_mad_u64_u32 v[4:5], null, 0xcd9e8d57, v8, 0
	v_xor3_b32 v6, v21, v10, v6
	s_delay_alu instid0(VALU_DEP_2) | instskip(NEXT) | instid1(VALU_DEP_2)
	v_xor3_b32 v8, v22, v5, v9
	v_mad_u64_u32 v[16:17], null, 0xd2511f53, v6, 0
	s_delay_alu instid0(VALU_DEP_2) | instskip(NEXT) | instid1(VALU_DEP_2)
	v_mad_u64_u32 v[5:6], null, 0xd2511f53, v8, 0
	v_xor3_b32 v9, v23, v17, v7
	s_delay_alu instid0(VALU_DEP_2) | instskip(NEXT) | instid1(VALU_DEP_2)
	v_xor3_b32 v6, v24, v6, v16
	v_mad_u64_u32 v[7:8], null, 0xcd9e8d57, v9, 0
	s_delay_alu instid0(VALU_DEP_1) | instskip(NEXT) | instid1(VALU_DEP_3)
	v_xor3_b32 v4, v25, v8, v4
	v_mad_u64_u32 v[8:9], null, 0xcd9e8d57, v6, 0
	s_delay_alu instid0(VALU_DEP_2) | instskip(NEXT) | instid1(VALU_DEP_2)
	v_mad_u64_u32 v[16:17], null, 0xd2511f53, v4, 0
	v_xor3_b32 v6, v26, v9, v7
	s_delay_alu instid0(VALU_DEP_2) | instskip(NEXT) | instid1(VALU_DEP_2)
	v_xor3_b32 v9, v27, v17, v5
	v_mad_u64_u32 v[4:5], null, 0xd2511f53, v6, 0
	s_delay_alu instid0(VALU_DEP_2) | instskip(NEXT) | instid1(VALU_DEP_2)
	v_mad_u64_u32 v[6:7], null, 0xcd9e8d57, v9, 0
	v_xor3_b32 v5, v28, v5, v16
	s_delay_alu instid0(VALU_DEP_2) | instskip(NEXT) | instid1(VALU_DEP_2)
	;; [unrolled: 6-line block ×6, first 2 shown]
	v_xor3_b32 v4, v6, v7, v36
	v_mov_b32_e32 v6, v10
	v_cmpx_lt_i32_e32 1, v38
	s_xor_b32 s0, exec_lo, s0
	s_cbranch_execz .LBB65_12
; %bb.7:                                ;   in Loop: Header=BB65_6 Depth=1
	s_mov_b32 s1, exec_lo
	v_cmpx_lt_i32_e32 2, v38
	s_xor_b32 s1, exec_lo, s1
; %bb.8:                                ;   in Loop: Header=BB65_6 Depth=1
	v_dual_mov_b32 v7, v3 :: v_dual_mov_b32 v8, v4
	v_mov_b32_e32 v9, v5
	s_delay_alu instid0(VALU_DEP_2) | instskip(NEXT) | instid1(VALU_DEP_2)
	v_dual_mov_b32 v0, v7 :: v_dual_mov_b32 v1, v8
	v_dual_mov_b32 v2, v9 :: v_dual_mov_b32 v3, v10
; %bb.9:                                ;   in Loop: Header=BB65_6 Depth=1
	s_and_not1_saveexec_b32 s1, s1
; %bb.10:                               ;   in Loop: Header=BB65_6 Depth=1
	s_delay_alu instid0(VALU_DEP_1)
	v_dual_mov_b32 v0, v2 :: v_dual_mov_b32 v1, v3
	v_dual_mov_b32 v2, v4 :: v_dual_mov_b32 v3, v5
; %bb.11:                               ;   in Loop: Header=BB65_6 Depth=1
	s_or_b32 exec_lo, exec_lo, s1
.LBB65_12:                              ;   in Loop: Header=BB65_6 Depth=1
	s_and_not1_saveexec_b32 s0, s0
	s_cbranch_execz .LBB65_5
; %bb.13:                               ;   in Loop: Header=BB65_6 Depth=1
	s_mov_b32 s1, exec_lo
	v_cmpx_eq_u32_e32 1, v38
	s_cbranch_execz .LBB65_4
; %bb.14:                               ;   in Loop: Header=BB65_6 Depth=1
	v_dual_mov_b32 v0, v1 :: v_dual_mov_b32 v1, v2
	v_dual_mov_b32 v2, v3 :: v_dual_mov_b32 v3, v4
	s_branch .LBB65_4
.LBB65_15:
	s_endpgm
	.section	.rodata,"a",@progbits
	.p2align	6, 0x0
	.amdhsa_kernel _ZN2at6native12_GLOBAL__N_124fused_dropout_kernel_vecIffjLi1ELi4EhEEvNS_4cuda6detail10TensorInfoIKT_T1_EENS5_IS6_S8_EENS5_IT4_S8_EES8_T0_NS_15PhiloxCudaStateE
		.amdhsa_group_segment_fixed_size 0
		.amdhsa_private_segment_fixed_size 0
		.amdhsa_kernarg_size 944
		.amdhsa_user_sgpr_count 15
		.amdhsa_user_sgpr_dispatch_ptr 0
		.amdhsa_user_sgpr_queue_ptr 0
		.amdhsa_user_sgpr_kernarg_segment_ptr 1
		.amdhsa_user_sgpr_dispatch_id 0
		.amdhsa_user_sgpr_private_segment_size 0
		.amdhsa_wavefront_size32 1
		.amdhsa_uses_dynamic_stack 0
		.amdhsa_enable_private_segment 0
		.amdhsa_system_sgpr_workgroup_id_x 1
		.amdhsa_system_sgpr_workgroup_id_y 0
		.amdhsa_system_sgpr_workgroup_id_z 0
		.amdhsa_system_sgpr_workgroup_info 0
		.amdhsa_system_vgpr_workitem_id 0
		.amdhsa_next_free_vgpr 46
		.amdhsa_next_free_sgpr 16
		.amdhsa_reserve_vcc 1
		.amdhsa_float_round_mode_32 0
		.amdhsa_float_round_mode_16_64 0
		.amdhsa_float_denorm_mode_32 3
		.amdhsa_float_denorm_mode_16_64 3
		.amdhsa_dx10_clamp 1
		.amdhsa_ieee_mode 1
		.amdhsa_fp16_overflow 0
		.amdhsa_workgroup_processor_mode 1
		.amdhsa_memory_ordered 1
		.amdhsa_forward_progress 0
		.amdhsa_shared_vgpr_count 0
		.amdhsa_exception_fp_ieee_invalid_op 0
		.amdhsa_exception_fp_denorm_src 0
		.amdhsa_exception_fp_ieee_div_zero 0
		.amdhsa_exception_fp_ieee_overflow 0
		.amdhsa_exception_fp_ieee_underflow 0
		.amdhsa_exception_fp_ieee_inexact 0
		.amdhsa_exception_int_div_zero 0
	.end_amdhsa_kernel
	.section	.text._ZN2at6native12_GLOBAL__N_124fused_dropout_kernel_vecIffjLi1ELi4EhEEvNS_4cuda6detail10TensorInfoIKT_T1_EENS5_IS6_S8_EENS5_IT4_S8_EES8_T0_NS_15PhiloxCudaStateE,"axG",@progbits,_ZN2at6native12_GLOBAL__N_124fused_dropout_kernel_vecIffjLi1ELi4EhEEvNS_4cuda6detail10TensorInfoIKT_T1_EENS5_IS6_S8_EENS5_IT4_S8_EES8_T0_NS_15PhiloxCudaStateE,comdat
.Lfunc_end65:
	.size	_ZN2at6native12_GLOBAL__N_124fused_dropout_kernel_vecIffjLi1ELi4EhEEvNS_4cuda6detail10TensorInfoIKT_T1_EENS5_IS6_S8_EENS5_IT4_S8_EES8_T0_NS_15PhiloxCudaStateE, .Lfunc_end65-_ZN2at6native12_GLOBAL__N_124fused_dropout_kernel_vecIffjLi1ELi4EhEEvNS_4cuda6detail10TensorInfoIKT_T1_EENS5_IS6_S8_EENS5_IT4_S8_EES8_T0_NS_15PhiloxCudaStateE
                                        ; -- End function
	.section	.AMDGPU.csdata,"",@progbits
; Kernel info:
; codeLenInByte = 2044
; NumSgprs: 18
; NumVgprs: 46
; ScratchSize: 0
; MemoryBound: 0
; FloatMode: 240
; IeeeMode: 1
; LDSByteSize: 0 bytes/workgroup (compile time only)
; SGPRBlocks: 2
; VGPRBlocks: 5
; NumSGPRsForWavesPerEU: 18
; NumVGPRsForWavesPerEU: 46
; Occupancy: 16
; WaveLimiterHint : 1
; COMPUTE_PGM_RSRC2:SCRATCH_EN: 0
; COMPUTE_PGM_RSRC2:USER_SGPR: 15
; COMPUTE_PGM_RSRC2:TRAP_HANDLER: 0
; COMPUTE_PGM_RSRC2:TGID_X_EN: 1
; COMPUTE_PGM_RSRC2:TGID_Y_EN: 0
; COMPUTE_PGM_RSRC2:TGID_Z_EN: 0
; COMPUTE_PGM_RSRC2:TIDIG_COMP_CNT: 0
	.section	.text._ZN2at6native12_GLOBAL__N_124fused_dropout_kernel_vecIffjLi1ELi2EhEEvNS_4cuda6detail10TensorInfoIKT_T1_EENS5_IS6_S8_EENS5_IT4_S8_EES8_T0_NS_15PhiloxCudaStateE,"axG",@progbits,_ZN2at6native12_GLOBAL__N_124fused_dropout_kernel_vecIffjLi1ELi2EhEEvNS_4cuda6detail10TensorInfoIKT_T1_EENS5_IS6_S8_EENS5_IT4_S8_EES8_T0_NS_15PhiloxCudaStateE,comdat
	.globl	_ZN2at6native12_GLOBAL__N_124fused_dropout_kernel_vecIffjLi1ELi2EhEEvNS_4cuda6detail10TensorInfoIKT_T1_EENS5_IS6_S8_EENS5_IT4_S8_EES8_T0_NS_15PhiloxCudaStateE ; -- Begin function _ZN2at6native12_GLOBAL__N_124fused_dropout_kernel_vecIffjLi1ELi2EhEEvNS_4cuda6detail10TensorInfoIKT_T1_EENS5_IS6_S8_EENS5_IT4_S8_EES8_T0_NS_15PhiloxCudaStateE
	.p2align	8
	.type	_ZN2at6native12_GLOBAL__N_124fused_dropout_kernel_vecIffjLi1ELi2EhEEvNS_4cuda6detail10TensorInfoIKT_T1_EENS5_IS6_S8_EENS5_IT4_S8_EES8_T0_NS_15PhiloxCudaStateE,@function
_ZN2at6native12_GLOBAL__N_124fused_dropout_kernel_vecIffjLi1ELi2EhEEvNS_4cuda6detail10TensorInfoIKT_T1_EENS5_IS6_S8_EENS5_IT4_S8_EES8_T0_NS_15PhiloxCudaStateE: ; @_ZN2at6native12_GLOBAL__N_124fused_dropout_kernel_vecIffjLi1ELi2EhEEvNS_4cuda6detail10TensorInfoIKT_T1_EENS5_IS6_S8_EENS5_IT4_S8_EES8_T0_NS_15PhiloxCudaStateE
; %bb.0:
	s_clause 0x1
	s_load_b128 s[4:7], s[0:1], 0x290
	s_load_b32 s2, s[0:1], 0x2a8
	s_waitcnt lgkmcnt(0)
	v_dual_mov_b32 v3, s6 :: v_dual_mov_b32 v4, s7
	v_dual_mov_b32 v9, s5 :: v_dual_mov_b32 v8, s4
	s_bitcmp0_b32 s2, 0
	s_cbranch_scc1 .LBB66_2
; %bb.1:
	v_dual_mov_b32 v1, s6 :: v_dual_mov_b32 v2, s7
	v_dual_mov_b32 v3, s4 :: v_dual_mov_b32 v4, s5
	s_load_b64 s[2:3], s[0:1], 0x2a0
	flat_load_b64 v[1:2], v[1:2]
	flat_load_b64 v[8:9], v[3:4]
	s_waitcnt vmcnt(1) lgkmcnt(0)
	v_add_co_u32 v3, vcc_lo, v1, s2
	v_add_co_ci_u32_e32 v4, vcc_lo, s3, v2, vcc_lo
.LBB66_2:
	s_clause 0x1
	s_load_b32 s6, s[0:1], 0x2bc
	s_load_b64 s[2:3], s[0:1], 0x288
	s_add_u32 s4, s0, 0x2b0
	s_addc_u32 s5, s1, 0
	s_waitcnt lgkmcnt(0)
	s_and_b32 s10, s6, 0xffff
	s_mov_b32 s6, exec_lo
	v_mad_u64_u32 v[10:11], null, s15, s10, v[0:1]
	s_delay_alu instid0(VALU_DEP_1) | instskip(NEXT) | instid1(VALU_DEP_1)
	v_lshlrev_b32_e32 v11, 1, v10
	v_cmpx_gt_u32_e64 s2, v11
	s_cbranch_execz .LBB66_15
; %bb.3:
	v_mad_u64_u32 v[0:1], null, 0xcd9e8d57, v10, 0
	v_alignbit_b32 v15, v4, v3, 2
	v_lshrrev_b32_e32 v16, 2, v4
	s_waitcnt vmcnt(0)
	v_mov_b32_e32 v32, v9
	v_add_co_u32 v18, null, 0x9e3779b9, v8
	v_mad_u64_u32 v[4:5], null, 0xd2511f53, v15, 0
	v_xor3_b32 v6, v8, v1, v16
	s_delay_alu instid0(VALU_DEP_4) | instskip(SKIP_1) | instid1(VALU_DEP_3)
	v_add_co_u32 v17, null, 0xbb67ae85, v32
	v_add_co_u32 v19, null, 0x3c6ef372, v8
	v_mad_u64_u32 v[1:2], null, 0xd2511f53, v6, 0
	v_xor_b32_e32 v7, v5, v9
	v_add_co_u32 v20, null, 0x76cf5d0a, v32
	v_add_co_u32 v21, null, 0x32370b8f, v32
	s_delay_alu instid0(VALU_DEP_3) | instskip(SKIP_3) | instid1(VALU_DEP_3)
	v_mad_u64_u32 v[5:6], null, 0xcd9e8d57, v7, 0
	v_xor3_b32 v2, v17, v2, v4
	v_add_co_u32 v22, null, 0xdaa66d2b, v8
	v_add_co_u32 v23, null, 0x78dde6e4, v8
	v_mad_u64_u32 v[12:13], null, 0xcd9e8d57, v2, 0
	v_xor3_b32 v0, v6, v18, v0
	v_add_co_u32 v24, null, 0xed9eba14, v32
	v_add_co_u32 v25, null, 0xa9066899, v32
	s_delay_alu instid0(VALU_DEP_3) | instskip(SKIP_3) | instid1(VALU_DEP_3)
	v_mad_u64_u32 v[6:7], null, 0xd2511f53, v0, 0
	v_xor3_b32 v0, v19, v13, v5
	v_add_co_u32 v26, null, 0x1715609d, v8
	v_add_co_u32 v27, null, 0xb54cda56, v8
	v_mad_u64_u32 v[4:5], null, 0xd2511f53, v0, 0
	v_xor3_b32 v2, v7, v20, v1
	v_add_co_u32 v28, null, 0x646e171e, v32
	v_div_scale_f32 v33, null, s3, s3, 1.0
	s_delay_alu instid0(VALU_DEP_3) | instskip(SKIP_2) | instid1(VALU_DEP_4)
	v_mad_u64_u32 v[0:1], null, 0xcd9e8d57, v2, 0
	v_xor3_b32 v2, v21, v5, v6
	v_add_co_u32 v29, null, 0x1fd5c5a3, v32
	v_rcp_f32_e32 v34, v33
	v_add_co_u32 v30, null, 0x5384540f, v8
	s_delay_alu instid0(VALU_DEP_3) | instskip(SKIP_3) | instid1(VALU_DEP_3)
	v_mad_u64_u32 v[5:6], null, 0xcd9e8d57, v2, 0
	v_xor3_b32 v7, v1, v22, v12
	v_add_co_u32 v31, null, 0xf1bbcdc8, v8
	v_div_scale_f32 v35, vcc_lo, 1.0, s3, 1.0
	v_mad_u64_u32 v[1:2], null, 0xd2511f53, v7, 0
	v_xor3_b32 v0, v23, v6, v0
	s_load_b32 s11, s[4:5], 0x0
	s_clause 0x2
	s_load_b64 s[4:5], s[0:1], 0x0
	s_load_b64 s[6:7], s[0:1], 0xd8
	;; [unrolled: 1-line block ×3, first 2 shown]
	s_mov_b32 s1, 0
	v_mad_u64_u32 v[6:7], null, 0xd2511f53, v0, 0
	v_xor3_b32 v0, v2, v24, v4
	s_delay_alu instid0(VALU_DEP_1) | instskip(NEXT) | instid1(VALU_DEP_3)
	v_mad_u64_u32 v[12:13], null, 0xcd9e8d57, v0, 0
	v_xor3_b32 v2, v25, v7, v1
	s_delay_alu instid0(VALU_DEP_1) | instskip(NEXT) | instid1(VALU_DEP_3)
	v_mad_u64_u32 v[0:1], null, 0xcd9e8d57, v2, 0
	v_xor3_b32 v2, v13, v26, v5
	s_waitcnt lgkmcnt(0)
	s_mul_i32 s11, s11, s10
	s_delay_alu instid0(SALU_CYCLE_1) | instskip(NEXT) | instid1(VALU_DEP_1)
	s_lshl_b32 s10, s11, 1
	v_mad_u64_u32 v[4:5], null, 0xd2511f53, v2, 0
	s_delay_alu instid0(VALU_DEP_3) | instskip(SKIP_1) | instid1(VALU_DEP_2)
	v_xor3_b32 v7, v27, v1, v12
	v_fma_f32 v12, -v33, v34, 1.0
	v_mad_u64_u32 v[1:2], null, 0xd2511f53, v7, 0
	s_delay_alu instid0(VALU_DEP_4) | instskip(NEXT) | instid1(VALU_DEP_3)
	v_xor3_b32 v7, v5, v28, v6
	v_fmac_f32_e32 v34, v12, v34
	s_delay_alu instid0(VALU_DEP_2) | instskip(NEXT) | instid1(VALU_DEP_4)
	v_mad_u64_u32 v[5:6], null, 0xcd9e8d57, v7, 0
	v_xor3_b32 v2, v29, v2, v4
	s_delay_alu instid0(VALU_DEP_1) | instskip(NEXT) | instid1(VALU_DEP_3)
	v_mad_u64_u32 v[13:14], null, 0xcd9e8d57, v2, 0
	v_xor3_b32 v0, v6, v30, v0
	s_delay_alu instid0(VALU_DEP_1) | instskip(NEXT) | instid1(VALU_DEP_3)
	v_mad_u64_u32 v[6:7], null, 0xd2511f53, v0, 0
	v_xor3_b32 v0, v31, v14, v5
	s_delay_alu instid0(VALU_DEP_1) | instskip(SKIP_1) | instid1(VALU_DEP_1)
	v_mad_u64_u32 v[4:5], null, 0xd2511f53, v0, 0
	v_mul_f32_e32 v12, v35, v34
	v_fma_f32 v2, -v33, v12, v35
	s_delay_alu instid0(VALU_DEP_1) | instskip(NEXT) | instid1(VALU_DEP_1)
	v_fmac_f32_e32 v12, v2, v34
	v_fma_f32 v14, -v33, v12, v35
	v_add_nc_u32_e32 v33, 0x8ff34781, v8
	v_add_co_u32 v32, null, 0xdb3d7428, v32
	v_and_b32_e32 v35, 3, v3
	v_mov_b32_e32 v3, v4
	v_div_fmas_f32 v0, v14, v34, v12
	s_delay_alu instid0(VALU_DEP_4) | instskip(SKIP_2) | instid1(VALU_DEP_4)
	v_xor3_b32 v7, v7, v32, v1
	v_mov_b32_e32 v12, 0
	v_add_nc_u32_e32 v34, 0x96a522ad, v9
	v_div_fixup_f32 v36, v0, s3, 1.0
	s_delay_alu instid0(VALU_DEP_4) | instskip(NEXT) | instid1(VALU_DEP_4)
	v_mad_u64_u32 v[1:2], null, 0xcd9e8d57, v7, 0
	v_mov_b32_e32 v37, v12
	s_delay_alu instid0(VALU_DEP_2)
	v_xor3_b32 v0, v13, v2, v33
	v_xor3_b32 v2, v5, v6, v34
	s_branch .LBB66_6
.LBB66_4:                               ;   in Loop: Header=BB66_6 Depth=1
	s_or_b32 exec_lo, exec_lo, s11
.LBB66_5:                               ;   in Loop: Header=BB66_6 Depth=1
	s_delay_alu instid0(SALU_CYCLE_1) | instskip(SKIP_3) | instid1(VALU_DEP_1)
	s_or_b32 exec_lo, exec_lo, s0
	v_lshlrev_b64 v[2:3], 2, v[11:12]
	v_cvt_f32_u32_e32 v1, v1
	v_cvt_f32_u32_e32 v0, v0
	v_dual_fmaak_f32 v1, 0x2f800000, v1, 0x2f800000 :: v_dual_fmaak_f32 v0, 0x2f800000, v0, 0x2f800000
	s_delay_alu instid0(VALU_DEP_4) | instskip(SKIP_1) | instid1(VALU_DEP_3)
	v_add_co_u32 v38, vcc_lo, s4, v2
	v_add_co_ci_u32_e32 v39, vcc_lo, s5, v3, vcc_lo
	v_cmp_gt_f32_e32 vcc_lo, s3, v1
	s_delay_alu instid0(VALU_DEP_4)
	v_cmp_gt_f32_e64 s0, s3, v0
	global_load_b64 v[38:39], v[38:39], off
	v_cndmask_b32_e64 v1, 0, 1.0, vcc_lo
	v_cndmask_b32_e64 v7, 0, 1.0, s0
	v_cndmask_b32_e64 v0, 0, 1, vcc_lo
	v_cndmask_b32_e64 v14, 0, 1, s0
	s_delay_alu instid0(VALU_DEP_2) | instskip(SKIP_4) | instid1(VALU_DEP_2)
	v_lshlrev_b16 v40, 8, v0
	v_add_co_u32 v0, vcc_lo, s6, v2
	s_waitcnt vmcnt(0)
	v_dual_mul_f32 v7, v38, v7 :: v_dual_mul_f32 v38, v39, v1
	v_add_co_ci_u32_e32 v1, vcc_lo, s7, v3, vcc_lo
	v_mul_f32_e32 v2, v36, v7
	s_delay_alu instid0(VALU_DEP_3)
	v_mul_f32_e32 v3, v36, v38
	v_or_b32_e32 v7, v14, v40
	global_store_b64 v[0:1], v[2:3], off
	global_store_b16 v11, v7, s[8:9]
	v_mov_b32_e32 v7, v13
	v_dual_mov_b32 v0, v4 :: v_dual_add_nc_u32 v11, s10, v11
	v_dual_mov_b32 v1, v5 :: v_dual_mov_b32 v2, v6
	s_delay_alu instid0(VALU_DEP_3) | instskip(NEXT) | instid1(VALU_DEP_3)
	v_mov_b32_e32 v3, v7
	v_cmp_le_u32_e32 vcc_lo, s2, v11
	s_waitcnt_vscnt null, 0x0
	s_barrier
	buffer_gl0_inv
	s_or_b32 s1, vcc_lo, s1
	s_delay_alu instid0(SALU_CYCLE_1)
	s_and_not1_b32 exec_lo, exec_lo, s1
	s_cbranch_execz .LBB66_15
.LBB66_6:                               ; =>This Inner Loop Header: Depth=1
	v_add_co_u32 v15, vcc_lo, v15, 1
	s_delay_alu instid0(VALU_DEP_1) | instskip(SKIP_2) | instid1(VALU_DEP_1)
	v_cndmask_b32_e64 v4, 0, 1, vcc_lo
	v_add_co_ci_u32_e32 v16, vcc_lo, 0, v16, vcc_lo
	s_mov_b32 s0, exec_lo
	v_cmp_eq_u32_e32 vcc_lo, 0, v16
	s_delay_alu instid0(VALU_DEP_3) | instskip(NEXT) | instid1(VALU_DEP_1)
	v_cndmask_b32_e32 v4, 0, v4, vcc_lo
	v_add_nc_u32_e32 v10, v4, v10
	s_delay_alu instid0(VALU_DEP_1) | instskip(SKIP_2) | instid1(VALU_DEP_2)
	v_cmp_eq_u32_e32 vcc_lo, 0, v10
	v_mad_u64_u32 v[6:7], null, 0xcd9e8d57, v10, 0
	v_cndmask_b32_e32 v4, 0, v4, vcc_lo
	v_xor3_b32 v7, v7, v8, v16
	s_delay_alu instid0(VALU_DEP_2) | instskip(SKIP_1) | instid1(VALU_DEP_3)
	v_add_nc_u32_e32 v37, v4, v37
	v_mad_u64_u32 v[4:5], null, 0xd2511f53, v15, 0
	v_mad_u64_u32 v[38:39], null, 0xd2511f53, v7, 0
	s_delay_alu instid0(VALU_DEP_2) | instskip(NEXT) | instid1(VALU_DEP_1)
	v_xor_b32_e32 v5, v5, v9
	v_xor_b32_e32 v5, v37, v5
	s_delay_alu instid0(VALU_DEP_1) | instskip(NEXT) | instid1(VALU_DEP_1)
	v_mad_u64_u32 v[13:14], null, 0xcd9e8d57, v5, 0
	v_xor3_b32 v6, v18, v14, v6
	v_xor3_b32 v14, v17, v39, v4
	s_delay_alu instid0(VALU_DEP_2) | instskip(NEXT) | instid1(VALU_DEP_2)
	v_mad_u64_u32 v[4:5], null, 0xd2511f53, v6, 0
	v_mad_u64_u32 v[6:7], null, 0xcd9e8d57, v14, 0
	s_delay_alu instid0(VALU_DEP_2) | instskip(NEXT) | instid1(VALU_DEP_2)
	v_xor3_b32 v5, v20, v5, v38
	v_xor3_b32 v7, v19, v7, v13
	s_delay_alu instid0(VALU_DEP_2) | instskip(NEXT) | instid1(VALU_DEP_2)
	v_mad_u64_u32 v[13:14], null, 0xcd9e8d57, v5, 0
	v_mad_u64_u32 v[38:39], null, 0xd2511f53, v7, 0
	s_delay_alu instid0(VALU_DEP_2) | instskip(NEXT) | instid1(VALU_DEP_2)
	;; [unrolled: 6-line block ×8, first 2 shown]
	v_xor3_b32 v4, v6, v4, v33
	v_xor3_b32 v6, v14, v39, v34
	v_cmpx_lt_i32_e32 1, v35
	s_xor_b32 s0, exec_lo, s0
	s_cbranch_execz .LBB66_12
; %bb.7:                                ;   in Loop: Header=BB66_6 Depth=1
	s_mov_b32 s11, exec_lo
	v_cmpx_lt_i32_e32 2, v35
	s_xor_b32 s11, exec_lo, s11
; %bb.8:                                ;   in Loop: Header=BB66_6 Depth=1
	v_dual_mov_b32 v0, v3 :: v_dual_mov_b32 v1, v4
; %bb.9:                                ;   in Loop: Header=BB66_6 Depth=1
	s_and_not1_saveexec_b32 s11, s11
; %bb.10:                               ;   in Loop: Header=BB66_6 Depth=1
	v_dual_mov_b32 v0, v2 :: v_dual_mov_b32 v1, v3
; %bb.11:                               ;   in Loop: Header=BB66_6 Depth=1
	s_or_b32 exec_lo, exec_lo, s11
.LBB66_12:                              ;   in Loop: Header=BB66_6 Depth=1
	s_and_not1_saveexec_b32 s0, s0
	s_cbranch_execz .LBB66_5
; %bb.13:                               ;   in Loop: Header=BB66_6 Depth=1
	s_mov_b32 s11, exec_lo
	v_cmpx_eq_u32_e32 1, v35
	s_cbranch_execz .LBB66_4
; %bb.14:                               ;   in Loop: Header=BB66_6 Depth=1
	v_dual_mov_b32 v0, v1 :: v_dual_mov_b32 v1, v2
	s_branch .LBB66_4
.LBB66_15:
	s_endpgm
	.section	.rodata,"a",@progbits
	.p2align	6, 0x0
	.amdhsa_kernel _ZN2at6native12_GLOBAL__N_124fused_dropout_kernel_vecIffjLi1ELi2EhEEvNS_4cuda6detail10TensorInfoIKT_T1_EENS5_IS6_S8_EENS5_IT4_S8_EES8_T0_NS_15PhiloxCudaStateE
		.amdhsa_group_segment_fixed_size 0
		.amdhsa_private_segment_fixed_size 0
		.amdhsa_kernarg_size 944
		.amdhsa_user_sgpr_count 15
		.amdhsa_user_sgpr_dispatch_ptr 0
		.amdhsa_user_sgpr_queue_ptr 0
		.amdhsa_user_sgpr_kernarg_segment_ptr 1
		.amdhsa_user_sgpr_dispatch_id 0
		.amdhsa_user_sgpr_private_segment_size 0
		.amdhsa_wavefront_size32 1
		.amdhsa_uses_dynamic_stack 0
		.amdhsa_enable_private_segment 0
		.amdhsa_system_sgpr_workgroup_id_x 1
		.amdhsa_system_sgpr_workgroup_id_y 0
		.amdhsa_system_sgpr_workgroup_id_z 0
		.amdhsa_system_sgpr_workgroup_info 0
		.amdhsa_system_vgpr_workitem_id 0
		.amdhsa_next_free_vgpr 41
		.amdhsa_next_free_sgpr 16
		.amdhsa_reserve_vcc 1
		.amdhsa_float_round_mode_32 0
		.amdhsa_float_round_mode_16_64 0
		.amdhsa_float_denorm_mode_32 3
		.amdhsa_float_denorm_mode_16_64 3
		.amdhsa_dx10_clamp 1
		.amdhsa_ieee_mode 1
		.amdhsa_fp16_overflow 0
		.amdhsa_workgroup_processor_mode 1
		.amdhsa_memory_ordered 1
		.amdhsa_forward_progress 0
		.amdhsa_shared_vgpr_count 0
		.amdhsa_exception_fp_ieee_invalid_op 0
		.amdhsa_exception_fp_denorm_src 0
		.amdhsa_exception_fp_ieee_div_zero 0
		.amdhsa_exception_fp_ieee_overflow 0
		.amdhsa_exception_fp_ieee_underflow 0
		.amdhsa_exception_fp_ieee_inexact 0
		.amdhsa_exception_int_div_zero 0
	.end_amdhsa_kernel
	.section	.text._ZN2at6native12_GLOBAL__N_124fused_dropout_kernel_vecIffjLi1ELi2EhEEvNS_4cuda6detail10TensorInfoIKT_T1_EENS5_IS6_S8_EENS5_IT4_S8_EES8_T0_NS_15PhiloxCudaStateE,"axG",@progbits,_ZN2at6native12_GLOBAL__N_124fused_dropout_kernel_vecIffjLi1ELi2EhEEvNS_4cuda6detail10TensorInfoIKT_T1_EENS5_IS6_S8_EENS5_IT4_S8_EES8_T0_NS_15PhiloxCudaStateE,comdat
.Lfunc_end66:
	.size	_ZN2at6native12_GLOBAL__N_124fused_dropout_kernel_vecIffjLi1ELi2EhEEvNS_4cuda6detail10TensorInfoIKT_T1_EENS5_IS6_S8_EENS5_IT4_S8_EES8_T0_NS_15PhiloxCudaStateE, .Lfunc_end66-_ZN2at6native12_GLOBAL__N_124fused_dropout_kernel_vecIffjLi1ELi2EhEEvNS_4cuda6detail10TensorInfoIKT_T1_EENS5_IS6_S8_EENS5_IT4_S8_EES8_T0_NS_15PhiloxCudaStateE
                                        ; -- End function
	.section	.AMDGPU.csdata,"",@progbits
; Kernel info:
; codeLenInByte = 1884
; NumSgprs: 18
; NumVgprs: 41
; ScratchSize: 0
; MemoryBound: 0
; FloatMode: 240
; IeeeMode: 1
; LDSByteSize: 0 bytes/workgroup (compile time only)
; SGPRBlocks: 2
; VGPRBlocks: 5
; NumSGPRsForWavesPerEU: 18
; NumVGPRsForWavesPerEU: 41
; Occupancy: 16
; WaveLimiterHint : 1
; COMPUTE_PGM_RSRC2:SCRATCH_EN: 0
; COMPUTE_PGM_RSRC2:USER_SGPR: 15
; COMPUTE_PGM_RSRC2:TRAP_HANDLER: 0
; COMPUTE_PGM_RSRC2:TGID_X_EN: 1
; COMPUTE_PGM_RSRC2:TGID_Y_EN: 0
; COMPUTE_PGM_RSRC2:TGID_Z_EN: 0
; COMPUTE_PGM_RSRC2:TIDIG_COMP_CNT: 0
	.section	.text._ZN2at6native12_GLOBAL__N_120fused_dropout_kernelIffjLi1ELi1EhEEvNS_4cuda6detail10TensorInfoIKT_T1_EENS5_IS6_S8_EENS5_IT4_S8_EES8_T0_NS_15PhiloxCudaStateE,"axG",@progbits,_ZN2at6native12_GLOBAL__N_120fused_dropout_kernelIffjLi1ELi1EhEEvNS_4cuda6detail10TensorInfoIKT_T1_EENS5_IS6_S8_EENS5_IT4_S8_EES8_T0_NS_15PhiloxCudaStateE,comdat
	.globl	_ZN2at6native12_GLOBAL__N_120fused_dropout_kernelIffjLi1ELi1EhEEvNS_4cuda6detail10TensorInfoIKT_T1_EENS5_IS6_S8_EENS5_IT4_S8_EES8_T0_NS_15PhiloxCudaStateE ; -- Begin function _ZN2at6native12_GLOBAL__N_120fused_dropout_kernelIffjLi1ELi1EhEEvNS_4cuda6detail10TensorInfoIKT_T1_EENS5_IS6_S8_EENS5_IT4_S8_EES8_T0_NS_15PhiloxCudaStateE
	.p2align	8
	.type	_ZN2at6native12_GLOBAL__N_120fused_dropout_kernelIffjLi1ELi1EhEEvNS_4cuda6detail10TensorInfoIKT_T1_EENS5_IS6_S8_EENS5_IT4_S8_EES8_T0_NS_15PhiloxCudaStateE,@function
_ZN2at6native12_GLOBAL__N_120fused_dropout_kernelIffjLi1ELi1EhEEvNS_4cuda6detail10TensorInfoIKT_T1_EENS5_IS6_S8_EENS5_IT4_S8_EES8_T0_NS_15PhiloxCudaStateE: ; @_ZN2at6native12_GLOBAL__N_120fused_dropout_kernelIffjLi1ELi1EhEEvNS_4cuda6detail10TensorInfoIKT_T1_EENS5_IS6_S8_EENS5_IT4_S8_EES8_T0_NS_15PhiloxCudaStateE
; %bb.0:
	s_clause 0x1
	s_load_b128 s[4:7], s[0:1], 0x290
	s_load_b32 s2, s[0:1], 0x2a8
	s_waitcnt lgkmcnt(0)
	v_dual_mov_b32 v1, s6 :: v_dual_mov_b32 v2, s7
	v_dual_mov_b32 v17, s5 :: v_dual_mov_b32 v16, s4
	s_bitcmp0_b32 s2, 0
	s_cbranch_scc1 .LBB67_2
; %bb.1:
	v_dual_mov_b32 v1, s6 :: v_dual_mov_b32 v2, s7
	v_dual_mov_b32 v3, s4 :: v_dual_mov_b32 v4, s5
	s_load_b64 s[2:3], s[0:1], 0x2a0
	flat_load_b64 v[1:2], v[1:2]
	flat_load_b64 v[16:17], v[3:4]
	s_waitcnt vmcnt(1) lgkmcnt(0)
	v_add_co_u32 v1, vcc_lo, v1, s2
	v_add_co_ci_u32_e32 v2, vcc_lo, s3, v2, vcc_lo
.LBB67_2:
	s_clause 0x1
	s_load_b32 s2, s[0:1], 0x2bc
	s_load_b32 s3, s[0:1], 0x2b0
	s_waitcnt lgkmcnt(0)
	s_and_b32 s2, s2, 0xffff
	s_delay_alu instid0(SALU_CYCLE_1)
	s_mul_i32 s4, s3, s2
	s_mul_i32 s13, s15, s2
	s_lshl_b32 s12, s4, 2
	s_load_b64 s[4:5], s[0:1], 0x288
	v_cvt_f32_u32_e32 v3, s12
	s_sub_i32 s7, 0, s12
	v_add_nc_u32_e32 v22, s13, v0
	s_delay_alu instid0(VALU_DEP_2) | instskip(SKIP_4) | instid1(VALU_DEP_1)
	v_rcp_iflag_f32_e32 v3, v3
	s_waitcnt_depctr 0xfff
	v_mul_f32_e32 v3, 0x4f7ffffe, v3
	s_waitcnt lgkmcnt(0)
	s_add_i32 s8, s4, -1
	v_cvt_u32_f32_e32 v3, v3
	s_delay_alu instid0(VALU_DEP_1) | instskip(NEXT) | instid1(VALU_DEP_1)
	v_readfirstlane_b32 s6, v3
	s_mul_i32 s7, s7, s6
	s_delay_alu instid0(SALU_CYCLE_1) | instskip(NEXT) | instid1(SALU_CYCLE_1)
	s_mul_hi_u32 s7, s6, s7
	s_add_i32 s6, s6, s7
	s_delay_alu instid0(SALU_CYCLE_1) | instskip(NEXT) | instid1(SALU_CYCLE_1)
	s_mul_hi_u32 s6, s8, s6
	s_mul_i32 s7, s6, s12
	s_delay_alu instid0(SALU_CYCLE_1)
	s_sub_i32 s7, s8, s7
	s_add_i32 s8, s6, 1
	s_sub_i32 s9, s7, s12
	s_cmp_ge_u32 s7, s12
	s_cselect_b32 s6, s8, s6
	s_cselect_b32 s7, s9, s7
	s_add_i32 s8, s6, 1
	s_cmp_ge_u32 s7, s12
	s_cselect_b32 s6, s8, s6
	s_delay_alu instid0(SALU_CYCLE_1) | instskip(NEXT) | instid1(SALU_CYCLE_1)
	s_add_i32 s6, s6, 1
	s_mul_i32 s14, s12, s6
	s_mov_b32 s6, exec_lo
	v_cmpx_gt_u32_e64 s14, v22
	s_cbranch_execz .LBB67_31
; %bb.3:
	v_alignbit_b32 v23, v2, v1, 2
	v_mad_u64_u32 v[3:4], null, 0xcd9e8d57, v22, 0
	v_lshrrev_b32_e32 v24, 2, v2
	s_waitcnt vmcnt(0)
	v_dual_mov_b32 v11, v17 :: v_dual_add_nc_u32 v34, 0x8ff34781, v16
	v_mad_u64_u32 v[5:6], null, 0xd2511f53, v23, 0
	v_add_co_u32 v26, null, 0x9e3779b9, v16
	v_xor3_b32 v2, v16, v4, v24
	s_delay_alu instid0(VALU_DEP_4) | instskip(SKIP_2) | instid1(VALU_DEP_4)
	v_add_co_u32 v25, null, 0xbb67ae85, v11
	v_add_co_u32 v27, null, 0x3c6ef372, v16
	v_xor_b32_e32 v4, v6, v17
	v_mad_u64_u32 v[6:7], null, 0xd2511f53, v2, 0
	v_add_co_u32 v28, null, 0x76cf5d0a, v11
	s_delay_alu instid0(VALU_DEP_3) | instskip(SKIP_1) | instid1(VALU_DEP_4)
	v_mad_u64_u32 v[8:9], null, 0xcd9e8d57, v4, 0
	v_add_co_u32 v29, null, 0x32370b8f, v11
	v_xor3_b32 v4, v25, v7, v5
	v_add_co_u32 v30, null, 0xdaa66d2b, v16
	v_add_co_u32 v31, null, 0x78dde6e4, v16
	v_xor3_b32 v7, v9, v26, v3
	s_delay_alu instid0(VALU_DEP_4) | instskip(SKIP_1) | instid1(VALU_DEP_3)
	v_mad_u64_u32 v[2:3], null, 0xcd9e8d57, v4, 0
	v_add_co_u32 v32, null, 0xed9eba14, v11
	v_mad_u64_u32 v[4:5], null, 0xd2511f53, v7, 0
	v_div_scale_f32 v13, vcc_lo, 1.0, s5, 1.0
	s_delay_alu instid0(VALU_DEP_4) | instskip(SKIP_3) | instid1(VALU_DEP_4)
	v_xor3_b32 v3, v27, v3, v8
	v_and_b32_e32 v33, 3, v1
	v_add_co_u32 v36, null, 0xa9066899, v11
	v_xor3_b32 v9, v5, v28, v6
	v_mad_u64_u32 v[5:6], null, 0xd2511f53, v3, 0
	v_add_co_u32 v37, null, 0x1715609d, v16
	s_delay_alu instid0(VALU_DEP_3) | instskip(SKIP_1) | instid1(VALU_DEP_4)
	v_mad_u64_u32 v[7:8], null, 0xcd9e8d57, v9, 0
	v_div_scale_f32 v12, null, s5, s5, 1.0
	v_xor3_b32 v4, v29, v6, v4
	v_add_co_u32 v38, null, 0xb54cda56, v16
	s_delay_alu instid0(VALU_DEP_3) | instskip(NEXT) | instid1(VALU_DEP_4)
	v_rcp_f32_e32 v14, v12
	v_xor3_b32 v6, v8, v30, v2
	s_delay_alu instid0(VALU_DEP_3) | instskip(SKIP_1) | instid1(VALU_DEP_3)
	v_mad_u64_u32 v[2:3], null, 0xcd9e8d57, v4, 0
	v_add_co_u32 v40, null, 0x646e171e, v11
	v_mad_u64_u32 v[8:9], null, 0xd2511f53, v6, 0
	v_add_co_u32 v39, null, 0x5384540f, v16
	s_delay_alu instid0(VALU_DEP_4) | instskip(SKIP_3) | instid1(VALU_DEP_4)
	v_xor3_b32 v1, v31, v3, v7
	v_add_co_u32 v42, null, 0x1fd5c5a3, v11
	v_add_co_u32 v41, null, 0xf1bbcdc8, v16
	v_xor3_b32 v7, v9, v32, v5
	v_mad_u64_u32 v[3:4], null, 0xd2511f53, v1, 0
	v_add_co_u32 v43, null, 0xdb3d7428, v11
	s_delay_alu instid0(VALU_DEP_3) | instskip(SKIP_3) | instid1(VALU_DEP_3)
	v_mad_u64_u32 v[5:6], null, 0xcd9e8d57, v7, 0
	s_clause 0x1
	s_load_b64 s[6:7], s[0:1], 0x0
	s_load_b32 s19, s[0:1], 0x144
	v_xor3_b32 v4, v36, v4, v8
	s_clause 0x2
	s_load_b64 s[8:9], s[0:1], 0x1b0
	s_load_b64 s[10:11], s[0:1], 0xd8
	s_load_b32 s0, s[0:1], 0x6c
	s_lshl_b32 s1, s3, 1
	v_xor3_b32 v8, v6, v37, v2
	v_mad_u64_u32 v[1:2], null, 0xcd9e8d57, v4, 0
	v_fma_f32 v4, -v12, v14, 1.0
	v_mov_b32_e32 v19, 0
	s_delay_alu instid0(VALU_DEP_4) | instskip(SKIP_1) | instid1(VALU_DEP_3)
	v_mad_u64_u32 v[6:7], null, 0xd2511f53, v8, 0
	s_mul_i32 s17, s3, 3
	v_fmac_f32_e32 v14, v4, v14
	v_xor3_b32 v5, v38, v2, v5
	s_add_i32 s1, s15, s1
	s_add_i32 s18, s15, s17
	;; [unrolled: 1-line block ×3, first 2 shown]
	s_delay_alu instid0(VALU_DEP_3) | instskip(SKIP_3) | instid1(VALU_DEP_3)
	v_xor3_b32 v7, v7, v40, v3
	v_mad_u64_u32 v[2:3], null, 0xd2511f53, v5, 0
	v_mul_f32_e32 v8, v13, v14
	s_mul_i32 s17, s1, s2
	v_mad_u64_u32 v[4:5], null, 0xcd9e8d57, v7, 0
	s_mul_i32 s18, s18, s2
	s_delay_alu instid0(VALU_DEP_2) | instskip(NEXT) | instid1(VALU_DEP_4)
	v_fma_f32 v7, -v12, v8, v13
	v_xor3_b32 v3, v42, v3, v6
	v_add_nc_u32_e32 v35, 0x96a522ad, v17
	s_mul_i32 s15, s15, s2
	s_waitcnt lgkmcnt(0)
	v_mul_lo_u32 v44, s19, v22
	v_fmac_f32_e32 v8, v7, v14
	v_xor3_b32 v1, v5, v39, v1
	v_mad_u64_u32 v[5:6], null, 0xcd9e8d57, v3, 0
	v_mul_lo_u32 v45, s0, v22
	s_delay_alu instid0(VALU_DEP_4) | instskip(NEXT) | instid1(VALU_DEP_4)
	v_fma_f32 v11, -v12, v8, v13
	v_mad_u64_u32 v[9:10], null, 0xd2511f53, v1, 0
	v_mov_b32_e32 v53, 0
	s_mul_i32 s1, s3, s19
	v_xor3_b32 v3, v41, v6, v4
	v_add_nc_u32_e32 v4, s17, v0
	s_mul_i32 s3, s3, s0
	s_mul_i32 s1, s1, s2
	s_delay_alu instid0(VALU_DEP_4) | instskip(SKIP_3) | instid1(VALU_DEP_4)
	v_xor3_b32 v10, v10, v43, v2
	v_mad_u64_u32 v[1:2], null, 0xd2511f53, v3, 0
	v_div_fmas_f32 v3, v11, v14, v8
	v_mul_lo_u32 v47, s0, v4
	v_mad_u64_u32 v[6:7], null, 0xcd9e8d57, v10, 0
	v_mul_lo_u32 v48, s19, v4
	s_delay_alu instid0(VALU_DEP_4) | instskip(SKIP_3) | instid1(VALU_DEP_4)
	v_div_fixup_f32 v46, v3, s5, 1.0
	v_dual_mov_b32 v8, v1 :: v_dual_add_nc_u32 v1, s18, v0
	s_mul_i32 s3, s3, s2
	s_mov_b32 s16, 0
	v_xor3_b32 v5, v5, v7, v34
	v_xor3_b32 v7, v2, v9, v35
	v_add_nc_u32_e32 v2, s15, v0
	v_mul_lo_u32 v49, s0, v1
	v_mul_lo_u32 v50, s19, v1
	s_lshl_b32 s20, s3, 2
	s_mov_b32 s21, 0
	v_mul_lo_u32 v51, s19, v2
	v_mul_lo_u32 v52, s0, v2
	s_lshl_b32 s19, s1, 2
	s_mov_b32 s22, 0
                                        ; implicit-def: $vgpr1_vgpr2_vgpr3_vgpr4
	s_branch .LBB67_5
.LBB67_4:                               ;   in Loop: Header=BB67_5 Depth=1
	s_or_b32 exec_lo, exec_lo, s1
	v_mov_b32_e32 v12, v20
	v_add_nc_u32_e32 v0, s12, v0
	s_add_i32 s22, s22, s19
	s_add_i32 s21, s21, s20
	s_waitcnt vmcnt(0)
	s_waitcnt_vscnt null, 0x0
	s_barrier
	v_add_nc_u32_e32 v5, s13, v0
	buffer_gl0_inv
	v_cmp_le_u32_e32 vcc_lo, s14, v5
	v_dual_mov_b32 v5, v9 :: v_dual_mov_b32 v6, v10
	v_dual_mov_b32 v7, v11 :: v_dual_mov_b32 v8, v12
	s_or_b32 s16, vcc_lo, s16
	s_delay_alu instid0(SALU_CYCLE_1)
	s_and_not1_b32 exec_lo, exec_lo, s16
	s_cbranch_execz .LBB67_31
.LBB67_5:                               ; =>This Inner Loop Header: Depth=1
	v_add_co_u32 v23, vcc_lo, v23, 1
	s_delay_alu instid0(VALU_DEP_1) | instskip(SKIP_2) | instid1(VALU_DEP_1)
	v_cndmask_b32_e64 v9, 0, 1, vcc_lo
	v_add_co_ci_u32_e32 v24, vcc_lo, 0, v24, vcc_lo
	s_mov_b32 s0, exec_lo
	v_cmp_eq_u32_e32 vcc_lo, 0, v24
	s_delay_alu instid0(VALU_DEP_3) | instskip(NEXT) | instid1(VALU_DEP_1)
	v_cndmask_b32_e32 v9, 0, v9, vcc_lo
	v_add_nc_u32_e32 v22, v9, v22
	s_delay_alu instid0(VALU_DEP_1) | instskip(SKIP_2) | instid1(VALU_DEP_2)
	v_cmp_eq_u32_e32 vcc_lo, 0, v22
	v_cndmask_b32_e32 v9, 0, v9, vcc_lo
	v_mad_u64_u32 v[11:12], null, 0xcd9e8d57, v22, 0
	v_add_nc_u32_e32 v53, v9, v53
	v_mad_u64_u32 v[9:10], null, 0xd2511f53, v23, 0
	s_delay_alu instid0(VALU_DEP_3) | instskip(NEXT) | instid1(VALU_DEP_2)
	v_xor3_b32 v14, v12, v16, v24
	v_xor_b32_e32 v10, v10, v17
	s_delay_alu instid0(VALU_DEP_2) | instskip(NEXT) | instid1(VALU_DEP_2)
	v_mad_u64_u32 v[12:13], null, 0xd2511f53, v14, 0
	v_xor_b32_e32 v10, v53, v10
	s_delay_alu instid0(VALU_DEP_2) | instskip(NEXT) | instid1(VALU_DEP_2)
	v_xor3_b32 v13, v25, v13, v9
	v_mad_u64_u32 v[14:15], null, 0xcd9e8d57, v10, 0
	s_delay_alu instid0(VALU_DEP_2) | instskip(NEXT) | instid1(VALU_DEP_2)
	v_mad_u64_u32 v[9:10], null, 0xcd9e8d57, v13, 0
	v_xor3_b32 v11, v26, v15, v11
	s_delay_alu instid0(VALU_DEP_2) | instskip(NEXT) | instid1(VALU_DEP_2)
	v_xor3_b32 v13, v27, v10, v14
	v_mad_u64_u32 v[20:21], null, 0xd2511f53, v11, 0
	s_delay_alu instid0(VALU_DEP_2) | instskip(NEXT) | instid1(VALU_DEP_2)
	v_mad_u64_u32 v[10:11], null, 0xd2511f53, v13, 0
	v_xor3_b32 v14, v28, v21, v12
	s_delay_alu instid0(VALU_DEP_2) | instskip(NEXT) | instid1(VALU_DEP_2)
	v_xor3_b32 v11, v29, v11, v20
	v_mad_u64_u32 v[12:13], null, 0xcd9e8d57, v14, 0
	s_delay_alu instid0(VALU_DEP_1) | instskip(NEXT) | instid1(VALU_DEP_3)
	v_xor3_b32 v9, v30, v13, v9
	v_mad_u64_u32 v[13:14], null, 0xcd9e8d57, v11, 0
	s_delay_alu instid0(VALU_DEP_2) | instskip(NEXT) | instid1(VALU_DEP_2)
	v_mad_u64_u32 v[20:21], null, 0xd2511f53, v9, 0
	v_xor3_b32 v11, v31, v14, v12
	s_delay_alu instid0(VALU_DEP_2) | instskip(NEXT) | instid1(VALU_DEP_2)
	v_xor3_b32 v14, v32, v21, v10
	v_mad_u64_u32 v[9:10], null, 0xd2511f53, v11, 0
	s_delay_alu instid0(VALU_DEP_2) | instskip(NEXT) | instid1(VALU_DEP_2)
	v_mad_u64_u32 v[11:12], null, 0xcd9e8d57, v14, 0
	v_xor3_b32 v10, v36, v10, v20
	s_delay_alu instid0(VALU_DEP_2) | instskip(NEXT) | instid1(VALU_DEP_2)
	;; [unrolled: 6-line block ×6, first 2 shown]
	v_xor3_b32 v9, v11, v12, v34
	v_mov_b32_e32 v11, v15
	v_cmpx_lt_i32_e32 1, v33
	s_xor_b32 s0, exec_lo, s0
	s_cbranch_execz .LBB67_11
; %bb.6:                                ;   in Loop: Header=BB67_5 Depth=1
	s_mov_b32 s1, exec_lo
	v_cmpx_lt_i32_e32 2, v33
	s_xor_b32 s1, exec_lo, s1
; %bb.7:                                ;   in Loop: Header=BB67_5 Depth=1
	v_dual_mov_b32 v12, v8 :: v_dual_mov_b32 v13, v9
	v_mov_b32_e32 v14, v10
	s_delay_alu instid0(VALU_DEP_2) | instskip(NEXT) | instid1(VALU_DEP_2)
	v_dual_mov_b32 v5, v12 :: v_dual_mov_b32 v6, v13
	v_dual_mov_b32 v7, v14 :: v_dual_mov_b32 v8, v15
; %bb.8:                                ;   in Loop: Header=BB67_5 Depth=1
	s_and_not1_saveexec_b32 s1, s1
; %bb.9:                                ;   in Loop: Header=BB67_5 Depth=1
	s_delay_alu instid0(VALU_DEP_1)
	v_dual_mov_b32 v5, v7 :: v_dual_mov_b32 v6, v8
	v_dual_mov_b32 v7, v9 :: v_dual_mov_b32 v8, v10
; %bb.10:                               ;   in Loop: Header=BB67_5 Depth=1
	s_or_b32 exec_lo, exec_lo, s1
.LBB67_11:                              ;   in Loop: Header=BB67_5 Depth=1
	s_and_not1_saveexec_b32 s0, s0
	s_cbranch_execz .LBB67_15
; %bb.12:                               ;   in Loop: Header=BB67_5 Depth=1
	s_mov_b32 s1, exec_lo
	v_cmpx_eq_u32_e32 1, v33
; %bb.13:                               ;   in Loop: Header=BB67_5 Depth=1
	v_dual_mov_b32 v5, v6 :: v_dual_mov_b32 v6, v7
	v_dual_mov_b32 v7, v8 :: v_dual_mov_b32 v8, v9
; %bb.14:                               ;   in Loop: Header=BB67_5 Depth=1
	s_or_b32 exec_lo, exec_lo, s1
.LBB67_15:                              ;   in Loop: Header=BB67_5 Depth=1
	s_delay_alu instid0(SALU_CYCLE_1) | instskip(SKIP_1) | instid1(VALU_DEP_1)
	s_or_b32 exec_lo, exec_lo, s0
	v_add_nc_u32_e32 v12, s13, v0
	v_cmp_gt_u32_e64 s2, s4, v12
	s_delay_alu instid0(VALU_DEP_1)
	s_and_saveexec_b32 s0, s2
	s_cbranch_execz .LBB67_17
; %bb.16:                               ;   in Loop: Header=BB67_5 Depth=1
	v_add_nc_u32_e32 v18, s21, v45
	s_delay_alu instid0(VALU_DEP_1) | instskip(NEXT) | instid1(VALU_DEP_1)
	v_lshlrev_b64 v[12:13], 2, v[18:19]
	v_add_co_u32 v12, vcc_lo, s6, v12
	s_delay_alu instid0(VALU_DEP_2)
	v_add_co_ci_u32_e32 v13, vcc_lo, s7, v13, vcc_lo
	global_load_b32 v1, v[12:13], off
.LBB67_17:                              ;   in Loop: Header=BB67_5 Depth=1
	s_or_b32 exec_lo, exec_lo, s0
	v_add_nc_u32_e32 v12, s15, v0
	s_delay_alu instid0(VALU_DEP_1) | instskip(NEXT) | instid1(VALU_DEP_1)
	v_cmp_gt_u32_e64 s1, s4, v12
	s_and_saveexec_b32 s0, s1
	s_cbranch_execz .LBB67_19
; %bb.18:                               ;   in Loop: Header=BB67_5 Depth=1
	v_add_nc_u32_e32 v18, s21, v52
	s_delay_alu instid0(VALU_DEP_1) | instskip(NEXT) | instid1(VALU_DEP_1)
	v_lshlrev_b64 v[12:13], 2, v[18:19]
	v_add_co_u32 v12, vcc_lo, s6, v12
	s_delay_alu instid0(VALU_DEP_2)
	v_add_co_ci_u32_e32 v13, vcc_lo, s7, v13, vcc_lo
	global_load_b32 v2, v[12:13], off
.LBB67_19:                              ;   in Loop: Header=BB67_5 Depth=1
	s_or_b32 exec_lo, exec_lo, s0
	v_add_nc_u32_e32 v12, s17, v0
	s_delay_alu instid0(VALU_DEP_1) | instskip(NEXT) | instid1(VALU_DEP_1)
	v_cmp_gt_u32_e64 s0, s4, v12
	s_and_saveexec_b32 s3, s0
	s_cbranch_execz .LBB67_21
; %bb.20:                               ;   in Loop: Header=BB67_5 Depth=1
	v_add_nc_u32_e32 v18, s21, v47
	s_delay_alu instid0(VALU_DEP_1) | instskip(NEXT) | instid1(VALU_DEP_1)
	v_lshlrev_b64 v[12:13], 2, v[18:19]
	v_add_co_u32 v12, vcc_lo, s6, v12
	s_delay_alu instid0(VALU_DEP_2)
	v_add_co_ci_u32_e32 v13, vcc_lo, s7, v13, vcc_lo
	global_load_b32 v3, v[12:13], off
.LBB67_21:                              ;   in Loop: Header=BB67_5 Depth=1
	s_or_b32 exec_lo, exec_lo, s3
	v_add_nc_u32_e32 v12, s18, v0
	s_delay_alu instid0(VALU_DEP_1)
	v_cmp_gt_u32_e32 vcc_lo, s4, v12
	s_and_saveexec_b32 s23, vcc_lo
	s_cbranch_execnz .LBB67_26
; %bb.22:                               ;   in Loop: Header=BB67_5 Depth=1
	s_or_b32 exec_lo, exec_lo, s23
	s_and_saveexec_b32 s23, s2
	s_cbranch_execnz .LBB67_27
.LBB67_23:                              ;   in Loop: Header=BB67_5 Depth=1
	s_or_b32 exec_lo, exec_lo, s23
	s_and_saveexec_b32 s3, s1
	s_cbranch_execnz .LBB67_28
.LBB67_24:                              ;   in Loop: Header=BB67_5 Depth=1
	s_or_b32 exec_lo, exec_lo, s3
	s_and_saveexec_b32 s2, s0
	s_cbranch_execnz .LBB67_29
.LBB67_25:                              ;   in Loop: Header=BB67_5 Depth=1
	s_or_b32 exec_lo, exec_lo, s2
	s_and_saveexec_b32 s1, vcc_lo
	s_cbranch_execz .LBB67_4
	s_branch .LBB67_30
.LBB67_26:                              ;   in Loop: Header=BB67_5 Depth=1
	v_add_nc_u32_e32 v18, s21, v49
	s_delay_alu instid0(VALU_DEP_1) | instskip(NEXT) | instid1(VALU_DEP_1)
	v_lshlrev_b64 v[12:13], 2, v[18:19]
	v_add_co_u32 v12, s3, s6, v12
	s_delay_alu instid0(VALU_DEP_1)
	v_add_co_ci_u32_e64 v13, s3, s7, v13, s3
	global_load_b32 v4, v[12:13], off
	s_or_b32 exec_lo, exec_lo, s23
	s_and_saveexec_b32 s23, s2
	s_cbranch_execz .LBB67_23
.LBB67_27:                              ;   in Loop: Header=BB67_5 Depth=1
	v_cvt_f32_u32_e32 v5, v5
	s_delay_alu instid0(VALU_DEP_1) | instskip(NEXT) | instid1(VALU_DEP_1)
	v_dual_fmaak_f32 v5, 0x2f800000, v5, 0x2f800000 :: v_dual_add_nc_u32 v18, s22, v44
	v_lshlrev_b64 v[12:13], 2, v[18:19]
	s_delay_alu instid0(VALU_DEP_2) | instskip(NEXT) | instid1(VALU_DEP_2)
	v_cmp_gt_f32_e64 s2, s5, v5
	v_add_co_u32 v12, s3, s10, v12
	s_delay_alu instid0(VALU_DEP_1) | instskip(NEXT) | instid1(VALU_DEP_3)
	v_add_co_ci_u32_e64 v13, s3, s11, v13, s3
	v_cndmask_b32_e64 v5, 0, 1.0, s2
	v_cndmask_b32_e64 v14, 0, 1, s2
	s_waitcnt vmcnt(0)
	s_delay_alu instid0(VALU_DEP_2) | instskip(NEXT) | instid1(VALU_DEP_1)
	v_mul_f32_e32 v5, v1, v5
	v_mul_f32_e32 v5, v46, v5
	global_store_b32 v[12:13], v5, off
	global_store_b8 v18, v14, s[8:9]
	s_or_b32 exec_lo, exec_lo, s23
	s_and_saveexec_b32 s3, s1
	s_cbranch_execz .LBB67_24
.LBB67_28:                              ;   in Loop: Header=BB67_5 Depth=1
	v_cvt_f32_u32_e32 v5, v6
	s_delay_alu instid0(VALU_DEP_1) | instskip(NEXT) | instid1(VALU_DEP_1)
	v_dual_fmaak_f32 v5, 0x2f800000, v5, 0x2f800000 :: v_dual_add_nc_u32 v18, s22, v51
	v_cmp_gt_f32_e64 s1, s5, v5
	s_delay_alu instid0(VALU_DEP_2) | instskip(NEXT) | instid1(VALU_DEP_2)
	v_lshlrev_b64 v[5:6], 2, v[18:19]
	v_cndmask_b32_e64 v12, 0, 1.0, s1
	v_cndmask_b32_e64 v13, 0, 1, s1
	s_delay_alu instid0(VALU_DEP_3) | instskip(NEXT) | instid1(VALU_DEP_1)
	v_add_co_u32 v5, s2, s10, v5
	v_add_co_ci_u32_e64 v6, s2, s11, v6, s2
	s_waitcnt vmcnt(0)
	v_mul_f32_e32 v12, v2, v12
	s_delay_alu instid0(VALU_DEP_1)
	v_mul_f32_e32 v12, v46, v12
	global_store_b32 v[5:6], v12, off
	global_store_b8 v18, v13, s[8:9]
	s_or_b32 exec_lo, exec_lo, s3
	s_and_saveexec_b32 s2, s0
	s_cbranch_execz .LBB67_25
.LBB67_29:                              ;   in Loop: Header=BB67_5 Depth=1
	v_cvt_f32_u32_e32 v5, v7
	s_delay_alu instid0(VALU_DEP_1) | instskip(NEXT) | instid1(VALU_DEP_1)
	v_dual_fmaak_f32 v5, 0x2f800000, v5, 0x2f800000 :: v_dual_add_nc_u32 v18, s22, v48
	v_cmp_gt_f32_e64 s0, s5, v5
	s_delay_alu instid0(VALU_DEP_2) | instskip(NEXT) | instid1(VALU_DEP_2)
	v_lshlrev_b64 v[5:6], 2, v[18:19]
	v_cndmask_b32_e64 v7, 0, 1.0, s0
	v_cndmask_b32_e64 v12, 0, 1, s0
	s_delay_alu instid0(VALU_DEP_3) | instskip(NEXT) | instid1(VALU_DEP_1)
	v_add_co_u32 v5, s1, s10, v5
	v_add_co_ci_u32_e64 v6, s1, s11, v6, s1
	s_waitcnt vmcnt(0)
	v_mul_f32_e32 v7, v3, v7
	s_delay_alu instid0(VALU_DEP_1)
	v_mul_f32_e32 v7, v46, v7
	global_store_b32 v[5:6], v7, off
	global_store_b8 v18, v12, s[8:9]
	s_or_b32 exec_lo, exec_lo, s2
	s_and_saveexec_b32 s1, vcc_lo
	s_cbranch_execz .LBB67_4
.LBB67_30:                              ;   in Loop: Header=BB67_5 Depth=1
	v_cvt_f32_u32_e32 v5, v8
	s_delay_alu instid0(VALU_DEP_1) | instskip(NEXT) | instid1(VALU_DEP_1)
	v_dual_fmaak_f32 v5, 0x2f800000, v5, 0x2f800000 :: v_dual_add_nc_u32 v18, s22, v50
	v_cmp_gt_f32_e32 vcc_lo, s5, v5
	s_delay_alu instid0(VALU_DEP_2) | instskip(SKIP_2) | instid1(VALU_DEP_3)
	v_lshlrev_b64 v[5:6], 2, v[18:19]
	v_cndmask_b32_e64 v7, 0, 1.0, vcc_lo
	v_cndmask_b32_e64 v8, 0, 1, vcc_lo
	v_add_co_u32 v5, s0, s10, v5
	s_delay_alu instid0(VALU_DEP_1) | instskip(SKIP_2) | instid1(VALU_DEP_1)
	v_add_co_ci_u32_e64 v6, s0, s11, v6, s0
	s_waitcnt vmcnt(0)
	v_mul_f32_e32 v7, v4, v7
	v_mul_f32_e32 v7, v46, v7
	global_store_b32 v[5:6], v7, off
	global_store_b8 v18, v8, s[8:9]
	s_branch .LBB67_4
.LBB67_31:
	s_endpgm
	.section	.rodata,"a",@progbits
	.p2align	6, 0x0
	.amdhsa_kernel _ZN2at6native12_GLOBAL__N_120fused_dropout_kernelIffjLi1ELi1EhEEvNS_4cuda6detail10TensorInfoIKT_T1_EENS5_IS6_S8_EENS5_IT4_S8_EES8_T0_NS_15PhiloxCudaStateE
		.amdhsa_group_segment_fixed_size 0
		.amdhsa_private_segment_fixed_size 0
		.amdhsa_kernarg_size 944
		.amdhsa_user_sgpr_count 15
		.amdhsa_user_sgpr_dispatch_ptr 0
		.amdhsa_user_sgpr_queue_ptr 0
		.amdhsa_user_sgpr_kernarg_segment_ptr 1
		.amdhsa_user_sgpr_dispatch_id 0
		.amdhsa_user_sgpr_private_segment_size 0
		.amdhsa_wavefront_size32 1
		.amdhsa_uses_dynamic_stack 0
		.amdhsa_enable_private_segment 0
		.amdhsa_system_sgpr_workgroup_id_x 1
		.amdhsa_system_sgpr_workgroup_id_y 0
		.amdhsa_system_sgpr_workgroup_id_z 0
		.amdhsa_system_sgpr_workgroup_info 0
		.amdhsa_system_vgpr_workitem_id 0
		.amdhsa_next_free_vgpr 54
		.amdhsa_next_free_sgpr 24
		.amdhsa_reserve_vcc 1
		.amdhsa_float_round_mode_32 0
		.amdhsa_float_round_mode_16_64 0
		.amdhsa_float_denorm_mode_32 3
		.amdhsa_float_denorm_mode_16_64 3
		.amdhsa_dx10_clamp 1
		.amdhsa_ieee_mode 1
		.amdhsa_fp16_overflow 0
		.amdhsa_workgroup_processor_mode 1
		.amdhsa_memory_ordered 1
		.amdhsa_forward_progress 0
		.amdhsa_shared_vgpr_count 0
		.amdhsa_exception_fp_ieee_invalid_op 0
		.amdhsa_exception_fp_denorm_src 0
		.amdhsa_exception_fp_ieee_div_zero 0
		.amdhsa_exception_fp_ieee_overflow 0
		.amdhsa_exception_fp_ieee_underflow 0
		.amdhsa_exception_fp_ieee_inexact 0
		.amdhsa_exception_int_div_zero 0
	.end_amdhsa_kernel
	.section	.text._ZN2at6native12_GLOBAL__N_120fused_dropout_kernelIffjLi1ELi1EhEEvNS_4cuda6detail10TensorInfoIKT_T1_EENS5_IS6_S8_EENS5_IT4_S8_EES8_T0_NS_15PhiloxCudaStateE,"axG",@progbits,_ZN2at6native12_GLOBAL__N_120fused_dropout_kernelIffjLi1ELi1EhEEvNS_4cuda6detail10TensorInfoIKT_T1_EENS5_IS6_S8_EENS5_IT4_S8_EES8_T0_NS_15PhiloxCudaStateE,comdat
.Lfunc_end67:
	.size	_ZN2at6native12_GLOBAL__N_120fused_dropout_kernelIffjLi1ELi1EhEEvNS_4cuda6detail10TensorInfoIKT_T1_EENS5_IS6_S8_EENS5_IT4_S8_EES8_T0_NS_15PhiloxCudaStateE, .Lfunc_end67-_ZN2at6native12_GLOBAL__N_120fused_dropout_kernelIffjLi1ELi1EhEEvNS_4cuda6detail10TensorInfoIKT_T1_EENS5_IS6_S8_EENS5_IT4_S8_EES8_T0_NS_15PhiloxCudaStateE
                                        ; -- End function
	.section	.AMDGPU.csdata,"",@progbits
; Kernel info:
; codeLenInByte = 2832
; NumSgprs: 26
; NumVgprs: 54
; ScratchSize: 0
; MemoryBound: 0
; FloatMode: 240
; IeeeMode: 1
; LDSByteSize: 0 bytes/workgroup (compile time only)
; SGPRBlocks: 3
; VGPRBlocks: 6
; NumSGPRsForWavesPerEU: 26
; NumVGPRsForWavesPerEU: 54
; Occupancy: 16
; WaveLimiterHint : 1
; COMPUTE_PGM_RSRC2:SCRATCH_EN: 0
; COMPUTE_PGM_RSRC2:USER_SGPR: 15
; COMPUTE_PGM_RSRC2:TRAP_HANDLER: 0
; COMPUTE_PGM_RSRC2:TGID_X_EN: 1
; COMPUTE_PGM_RSRC2:TGID_Y_EN: 0
; COMPUTE_PGM_RSRC2:TGID_Z_EN: 0
; COMPUTE_PGM_RSRC2:TIDIG_COMP_CNT: 0
	.section	.text._ZN2at6native12_GLOBAL__N_120fused_dropout_kernelIffjLin1ELi1EhEEvNS_4cuda6detail10TensorInfoIKT_T1_EENS5_IS6_S8_EENS5_IT4_S8_EES8_T0_NS_15PhiloxCudaStateE,"axG",@progbits,_ZN2at6native12_GLOBAL__N_120fused_dropout_kernelIffjLin1ELi1EhEEvNS_4cuda6detail10TensorInfoIKT_T1_EENS5_IS6_S8_EENS5_IT4_S8_EES8_T0_NS_15PhiloxCudaStateE,comdat
	.globl	_ZN2at6native12_GLOBAL__N_120fused_dropout_kernelIffjLin1ELi1EhEEvNS_4cuda6detail10TensorInfoIKT_T1_EENS5_IS6_S8_EENS5_IT4_S8_EES8_T0_NS_15PhiloxCudaStateE ; -- Begin function _ZN2at6native12_GLOBAL__N_120fused_dropout_kernelIffjLin1ELi1EhEEvNS_4cuda6detail10TensorInfoIKT_T1_EENS5_IS6_S8_EENS5_IT4_S8_EES8_T0_NS_15PhiloxCudaStateE
	.p2align	8
	.type	_ZN2at6native12_GLOBAL__N_120fused_dropout_kernelIffjLin1ELi1EhEEvNS_4cuda6detail10TensorInfoIKT_T1_EENS5_IS6_S8_EENS5_IT4_S8_EES8_T0_NS_15PhiloxCudaStateE,@function
_ZN2at6native12_GLOBAL__N_120fused_dropout_kernelIffjLin1ELi1EhEEvNS_4cuda6detail10TensorInfoIKT_T1_EENS5_IS6_S8_EENS5_IT4_S8_EES8_T0_NS_15PhiloxCudaStateE: ; @_ZN2at6native12_GLOBAL__N_120fused_dropout_kernelIffjLin1ELi1EhEEvNS_4cuda6detail10TensorInfoIKT_T1_EENS5_IS6_S8_EENS5_IT4_S8_EES8_T0_NS_15PhiloxCudaStateE
; %bb.0:
	s_clause 0x1
	s_load_b128 s[4:7], s[0:1], 0x290
	s_load_b32 s2, s[0:1], 0x2a8
	s_waitcnt lgkmcnt(0)
	v_dual_mov_b32 v1, s6 :: v_dual_mov_b32 v2, s7
	v_dual_mov_b32 v16, s5 :: v_dual_mov_b32 v15, s4
	s_bitcmp0_b32 s2, 0
	s_cbranch_scc1 .LBB68_2
; %bb.1:
	v_dual_mov_b32 v1, s6 :: v_dual_mov_b32 v2, s7
	v_dual_mov_b32 v3, s4 :: v_dual_mov_b32 v4, s5
	s_load_b64 s[2:3], s[0:1], 0x2a0
	flat_load_b64 v[1:2], v[1:2]
	flat_load_b64 v[15:16], v[3:4]
	s_waitcnt vmcnt(1) lgkmcnt(0)
	v_add_co_u32 v1, vcc_lo, v1, s2
	v_add_co_ci_u32_e32 v2, vcc_lo, s3, v2, vcc_lo
.LBB68_2:
	s_clause 0x2
	s_load_b32 s2, s[0:1], 0x2bc
	s_load_b32 s18, s[0:1], 0x2b0
	s_load_b64 s[4:5], s[0:1], 0x288
	s_waitcnt lgkmcnt(0)
	s_and_b32 s2, s2, 0xffff
	s_add_i32 s7, s4, -1
	s_mul_i32 s18, s18, s2
	v_mad_u64_u32 v[17:18], null, s15, s2, v[0:1]
	s_lshl_b32 s19, s18, 2
	s_delay_alu instid0(SALU_CYCLE_1) | instskip(SKIP_1) | instid1(VALU_DEP_1)
	v_cvt_f32_u32_e32 v3, s19
	s_sub_i32 s6, 0, s19
	v_rcp_iflag_f32_e32 v3, v3
	s_waitcnt_depctr 0xfff
	v_mul_f32_e32 v3, 0x4f7ffffe, v3
	s_delay_alu instid0(VALU_DEP_1) | instskip(NEXT) | instid1(VALU_DEP_1)
	v_cvt_u32_f32_e32 v3, v3
	v_readfirstlane_b32 s3, v3
	s_delay_alu instid0(VALU_DEP_1) | instskip(NEXT) | instid1(SALU_CYCLE_1)
	s_mul_i32 s6, s6, s3
	s_mul_hi_u32 s6, s3, s6
	s_delay_alu instid0(SALU_CYCLE_1) | instskip(NEXT) | instid1(SALU_CYCLE_1)
	s_add_i32 s3, s3, s6
	s_mul_hi_u32 s3, s7, s3
	s_delay_alu instid0(SALU_CYCLE_1) | instskip(NEXT) | instid1(SALU_CYCLE_1)
	s_mul_i32 s6, s3, s19
	s_sub_i32 s6, s7, s6
	s_add_i32 s7, s3, 1
	s_sub_i32 s8, s6, s19
	s_cmp_ge_u32 s6, s19
	s_cselect_b32 s2, s7, s3
	s_cselect_b32 s3, s8, s6
	s_add_i32 s6, s2, 1
	s_cmp_ge_u32 s3, s19
	s_cselect_b32 s2, s6, s2
	s_delay_alu instid0(SALU_CYCLE_1) | instskip(NEXT) | instid1(SALU_CYCLE_1)
	s_add_i32 s2, s2, 1
	s_mul_i32 s19, s19, s2
	s_mov_b32 s2, exec_lo
	v_cmpx_gt_u32_e64 s19, v17
	s_cbranch_execz .LBB68_43
; %bb.3:
	v_alignbit_b32 v21, v2, v1, 2
	v_mad_u64_u32 v[3:4], null, 0xcd9e8d57, v17, 0
	v_lshrrev_b32_e32 v22, 2, v2
	s_waitcnt vmcnt(0)
	v_dual_mov_b32 v10, v16 :: v_dual_and_b32 v31, 3, v1
	v_mad_u64_u32 v[5:6], null, 0xd2511f53, v21, 0
	v_add_co_u32 v24, null, 0x9e3779b9, v15
	v_xor3_b32 v0, v15, v4, v22
	s_delay_alu instid0(VALU_DEP_4) | instskip(SKIP_2) | instid1(VALU_DEP_4)
	v_add_co_u32 v23, null, 0xbb67ae85, v10
	v_add_co_u32 v25, null, 0x3c6ef372, v15
	v_xor_b32_e32 v2, v6, v16
	v_mad_u64_u32 v[6:7], null, 0xd2511f53, v0, 0
	v_add_co_u32 v26, null, 0x76cf5d0a, v10
	s_delay_alu instid0(VALU_DEP_3) | instskip(SKIP_1) | instid1(VALU_DEP_4)
	v_mad_u64_u32 v[8:9], null, 0xcd9e8d57, v2, 0
	v_add_co_u32 v27, null, 0x32370b8f, v10
	v_xor3_b32 v0, v23, v7, v5
	v_add_co_u32 v28, null, 0xdaa66d2b, v15
	v_add_co_u32 v29, null, 0x78dde6e4, v15
	v_xor3_b32 v7, v9, v24, v3
	s_delay_alu instid0(VALU_DEP_4) | instskip(SKIP_1) | instid1(VALU_DEP_3)
	v_mad_u64_u32 v[2:3], null, 0xcd9e8d57, v0, 0
	v_add_co_u32 v30, null, 0xed9eba14, v10
	v_mad_u64_u32 v[4:5], null, 0xd2511f53, v7, 0
	v_add_co_u32 v34, null, 0xa9066899, v10
	s_delay_alu instid0(VALU_DEP_4) | instskip(SKIP_3) | instid1(VALU_DEP_4)
	v_xor3_b32 v0, v25, v3, v8
	v_add_co_u32 v35, null, 0x1715609d, v15
	v_add_co_u32 v36, null, 0xb54cda56, v15
	v_xor3_b32 v3, v5, v26, v6
	v_mad_u64_u32 v[5:6], null, 0xd2511f53, v0, 0
	v_add_co_u32 v37, null, 0x646e171e, v10
	s_delay_alu instid0(VALU_DEP_3) | instskip(SKIP_1) | instid1(VALU_DEP_4)
	v_mad_u64_u32 v[7:8], null, 0xcd9e8d57, v3, 0
	v_add_co_u32 v38, null, 0x1fd5c5a3, v10
	v_xor3_b32 v0, v27, v6, v4
	v_add_co_u32 v39, null, 0x5384540f, v15
	v_add_co_u32 v40, null, 0xf1bbcdc8, v15
	v_xor3_b32 v4, v8, v28, v2
	s_delay_alu instid0(VALU_DEP_4) | instskip(SKIP_1) | instid1(VALU_DEP_3)
	v_mad_u64_u32 v[2:3], null, 0xcd9e8d57, v0, 0
	v_div_scale_f32 v11, vcc_lo, 1.0, s5, 1.0
	v_mad_u64_u32 v[8:9], null, 0xd2511f53, v4, 0
	v_add_co_u32 v41, null, 0xdb3d7428, v10
	s_delay_alu instid0(VALU_DEP_4) | instskip(SKIP_4) | instid1(VALU_DEP_4)
	v_xor3_b32 v3, v29, v3, v7
	v_div_scale_f32 v7, null, s5, s5, 1.0
	s_clause 0x1
	s_load_b64 s[6:7], s[0:1], 0x1b0
	s_load_b32 s20, s[0:1], 0x144
	v_xor3_b32 v5, v9, v30, v5
	v_mad_u64_u32 v[0:1], null, 0xd2511f53, v3, 0
	v_rcp_f32_e32 v9, v7
	s_clause 0x1
	s_load_b64 s[10:11], s[0:1], 0xd8
	s_load_b32 s14, s[0:1], 0xd0
	v_mad_u64_u32 v[3:4], null, 0xcd9e8d57, v5, 0
	s_clause 0x1
	s_load_b32 s21, s[0:1], 0x6c
	s_load_b64 s[12:13], s[0:1], 0x0
	v_dual_mov_b32 v18, 0 :: v_dual_add_nc_u32 v33, 0x96a522ad, v16
	v_xor3_b32 v5, v34, v1, v8
	s_mov_b32 s9, 0
	v_mov_b32_e32 v42, v17
	v_xor3_b32 v6, v4, v35, v2
	v_mov_b32_e32 v44, 0
	v_mad_u64_u32 v[1:2], null, 0xcd9e8d57, v5, 0
	s_delay_alu instid0(VALU_DEP_3) | instskip(SKIP_4) | instid1(VALU_DEP_2)
	v_mad_u64_u32 v[4:5], null, 0xd2511f53, v6, 0
	v_fma_f32 v6, -v7, v9, 1.0
	v_add_nc_u32_e32 v32, 0x8ff34781, v15
	s_waitcnt lgkmcnt(0)
	s_cmp_gt_i32 s14, 1
	v_fmac_f32_e32 v9, v6, v9
	v_xor3_b32 v6, v36, v2, v3
	v_xor3_b32 v0, v5, v37, v0
	s_cselect_b32 s22, -1, 0
	s_add_i32 s8, s14, -1
	s_delay_alu instid0(VALU_DEP_2) | instskip(NEXT) | instid1(VALU_DEP_2)
	v_mad_u64_u32 v[2:3], null, 0xd2511f53, v6, 0
	v_mad_u64_u32 v[5:6], null, 0xcd9e8d57, v0, 0
	s_lshl_b64 s[2:3], s[8:9], 2
	s_add_i32 s8, s14, 1
	s_add_u32 s0, s2, s0
	s_addc_u32 s1, s3, s1
	s_delay_alu instid0(VALU_DEP_2) | instskip(SKIP_1) | instid1(VALU_DEP_2)
	v_xor3_b32 v3, v38, v3, v4
	s_add_u32 s14, s0, 8
	v_xor3_b32 v6, v6, v39, v1
	s_addc_u32 s15, s1, 0
	s_delay_alu instid0(VALU_DEP_2) | instskip(NEXT) | instid1(VALU_DEP_2)
	v_mad_u64_u32 v[0:1], null, 0xcd9e8d57, v3, 0
	v_mad_u64_u32 v[3:4], null, 0xd2511f53, v6, 0
	s_delay_alu instid0(VALU_DEP_2) | instskip(NEXT) | instid1(VALU_DEP_2)
	v_xor3_b32 v5, v40, v1, v5
	v_xor3_b32 v4, v4, v41, v2
	s_delay_alu instid0(VALU_DEP_2) | instskip(SKIP_1) | instid1(VALU_DEP_3)
	v_mad_u64_u32 v[1:2], null, 0xd2511f53, v5, 0
	v_mul_f32_e32 v8, v11, v9
	v_mad_u64_u32 v[5:6], null, 0xcd9e8d57, v4, 0
	s_delay_alu instid0(VALU_DEP_2) | instskip(NEXT) | instid1(VALU_DEP_1)
	v_fma_f32 v12, -v7, v8, v11
	v_fmac_f32_e32 v8, v12, v9
	s_delay_alu instid0(VALU_DEP_1) | instskip(NEXT) | instid1(VALU_DEP_1)
	v_fma_f32 v7, -v7, v8, v11
	v_div_fmas_f32 v4, v7, v9, v8
	v_mov_b32_e32 v7, v1
	s_delay_alu instid0(VALU_DEP_2)
	v_div_fixup_f32 v43, v4, s5, 1.0
	v_xor3_b32 v4, v0, v6, v32
	v_xor3_b32 v6, v2, v3, v33
                                        ; implicit-def: $vgpr0_vgpr1_vgpr2_vgpr3
	s_branch .LBB68_5
.LBB68_4:                               ;   in Loop: Header=BB68_5 Depth=1
	s_or_b32 exec_lo, exec_lo, s1
	v_mov_b32_e32 v11, v19
	v_dual_mov_b32 v4, v8 :: v_dual_add_nc_u32 v17, s18, v13
	v_dual_mov_b32 v5, v9 :: v_dual_mov_b32 v6, v10
	s_delay_alu instid0(VALU_DEP_3) | instskip(NEXT) | instid1(VALU_DEP_3)
	v_mov_b32_e32 v7, v11
	v_cmp_le_u32_e32 vcc_lo, s19, v17
	s_waitcnt vmcnt(0)
	s_waitcnt_vscnt null, 0x0
	s_barrier
	buffer_gl0_inv
	s_or_b32 s9, vcc_lo, s9
	s_delay_alu instid0(SALU_CYCLE_1)
	s_and_not1_b32 exec_lo, exec_lo, s9
	s_cbranch_execz .LBB68_43
.LBB68_5:                               ; =>This Loop Header: Depth=1
                                        ;     Child Loop BB68_18 Depth 2
                                        ;     Child Loop BB68_23 Depth 2
	;; [unrolled: 1-line block ×4, first 2 shown]
	v_add_co_u32 v21, vcc_lo, v21, 1
	s_delay_alu instid0(VALU_DEP_1) | instskip(SKIP_2) | instid1(VALU_DEP_1)
	v_cndmask_b32_e64 v8, 0, 1, vcc_lo
	v_add_co_ci_u32_e32 v22, vcc_lo, 0, v22, vcc_lo
	s_mov_b32 s0, exec_lo
	v_cmp_eq_u32_e32 vcc_lo, 0, v22
	s_delay_alu instid0(VALU_DEP_3) | instskip(NEXT) | instid1(VALU_DEP_1)
	v_cndmask_b32_e32 v8, 0, v8, vcc_lo
	v_add_nc_u32_e32 v42, v8, v42
	s_delay_alu instid0(VALU_DEP_1) | instskip(SKIP_2) | instid1(VALU_DEP_2)
	v_cmp_eq_u32_e32 vcc_lo, 0, v42
	v_mad_u64_u32 v[10:11], null, 0xcd9e8d57, v42, 0
	v_cndmask_b32_e32 v8, 0, v8, vcc_lo
	v_xor3_b32 v13, v11, v15, v22
	s_delay_alu instid0(VALU_DEP_2) | instskip(SKIP_1) | instid1(VALU_DEP_3)
	v_add_nc_u32_e32 v44, v8, v44
	v_mad_u64_u32 v[8:9], null, 0xd2511f53, v21, 0
	v_mad_u64_u32 v[11:12], null, 0xd2511f53, v13, 0
	s_delay_alu instid0(VALU_DEP_2) | instskip(NEXT) | instid1(VALU_DEP_2)
	v_xor_b32_e32 v9, v9, v16
	v_xor3_b32 v12, v23, v12, v8
	s_delay_alu instid0(VALU_DEP_2) | instskip(NEXT) | instid1(VALU_DEP_1)
	v_xor_b32_e32 v9, v44, v9
	v_mad_u64_u32 v[13:14], null, 0xcd9e8d57, v9, 0
	s_delay_alu instid0(VALU_DEP_3) | instskip(NEXT) | instid1(VALU_DEP_2)
	v_mad_u64_u32 v[8:9], null, 0xcd9e8d57, v12, 0
	v_xor3_b32 v10, v24, v14, v10
	s_delay_alu instid0(VALU_DEP_2) | instskip(NEXT) | instid1(VALU_DEP_2)
	v_xor3_b32 v12, v25, v9, v13
	v_mad_u64_u32 v[19:20], null, 0xd2511f53, v10, 0
	s_delay_alu instid0(VALU_DEP_2) | instskip(NEXT) | instid1(VALU_DEP_2)
	v_mad_u64_u32 v[9:10], null, 0xd2511f53, v12, 0
	v_xor3_b32 v13, v26, v20, v11
	s_delay_alu instid0(VALU_DEP_2) | instskip(NEXT) | instid1(VALU_DEP_2)
	v_xor3_b32 v10, v27, v10, v19
	v_mad_u64_u32 v[11:12], null, 0xcd9e8d57, v13, 0
	s_delay_alu instid0(VALU_DEP_1) | instskip(NEXT) | instid1(VALU_DEP_3)
	v_xor3_b32 v8, v28, v12, v8
	v_mad_u64_u32 v[12:13], null, 0xcd9e8d57, v10, 0
	s_delay_alu instid0(VALU_DEP_2) | instskip(NEXT) | instid1(VALU_DEP_2)
	v_mad_u64_u32 v[19:20], null, 0xd2511f53, v8, 0
	v_xor3_b32 v10, v29, v13, v11
	s_delay_alu instid0(VALU_DEP_2) | instskip(NEXT) | instid1(VALU_DEP_2)
	v_xor3_b32 v13, v30, v20, v9
	v_mad_u64_u32 v[8:9], null, 0xd2511f53, v10, 0
	s_delay_alu instid0(VALU_DEP_2) | instskip(NEXT) | instid1(VALU_DEP_2)
	v_mad_u64_u32 v[10:11], null, 0xcd9e8d57, v13, 0
	v_xor3_b32 v9, v34, v9, v19
	s_delay_alu instid0(VALU_DEP_2) | instskip(NEXT) | instid1(VALU_DEP_2)
	;; [unrolled: 6-line block ×6, first 2 shown]
	v_xor3_b32 v8, v10, v11, v32
	v_mov_b32_e32 v10, v14
	v_cmpx_lt_i32_e32 1, v31
	s_xor_b32 s0, exec_lo, s0
	s_cbranch_execnz .LBB68_8
; %bb.6:                                ;   in Loop: Header=BB68_5 Depth=1
	s_and_not1_saveexec_b32 s0, s0
	s_cbranch_execnz .LBB68_13
.LBB68_7:                               ;   in Loop: Header=BB68_5 Depth=1
	s_or_b32 exec_lo, exec_lo, s0
	v_cmp_gt_u32_e64 s0, s4, v17
	s_delay_alu instid0(VALU_DEP_1)
	s_and_saveexec_b32 s1, s0
	s_cbranch_execnz .LBB68_16
	s_branch .LBB68_20
.LBB68_8:                               ;   in Loop: Header=BB68_5 Depth=1
	s_mov_b32 s1, exec_lo
	v_cmpx_lt_i32_e32 2, v31
	s_xor_b32 s1, exec_lo, s1
; %bb.9:                                ;   in Loop: Header=BB68_5 Depth=1
	v_dual_mov_b32 v11, v7 :: v_dual_mov_b32 v12, v8
	v_mov_b32_e32 v13, v9
	s_delay_alu instid0(VALU_DEP_2) | instskip(NEXT) | instid1(VALU_DEP_2)
	v_dual_mov_b32 v4, v11 :: v_dual_mov_b32 v5, v12
	v_dual_mov_b32 v6, v13 :: v_dual_mov_b32 v7, v14
; %bb.10:                               ;   in Loop: Header=BB68_5 Depth=1
	s_and_not1_saveexec_b32 s1, s1
; %bb.11:                               ;   in Loop: Header=BB68_5 Depth=1
	s_delay_alu instid0(VALU_DEP_1)
	v_dual_mov_b32 v4, v6 :: v_dual_mov_b32 v5, v7
	v_dual_mov_b32 v6, v8 :: v_dual_mov_b32 v7, v9
; %bb.12:                               ;   in Loop: Header=BB68_5 Depth=1
	s_or_b32 exec_lo, exec_lo, s1
	s_and_not1_saveexec_b32 s0, s0
	s_cbranch_execz .LBB68_7
.LBB68_13:                              ;   in Loop: Header=BB68_5 Depth=1
	s_mov_b32 s1, exec_lo
	v_cmpx_eq_u32_e32 1, v31
; %bb.14:                               ;   in Loop: Header=BB68_5 Depth=1
	v_dual_mov_b32 v4, v5 :: v_dual_mov_b32 v5, v6
	v_dual_mov_b32 v6, v7 :: v_dual_mov_b32 v7, v8
; %bb.15:                               ;   in Loop: Header=BB68_5 Depth=1
	s_or_b32 exec_lo, exec_lo, s1
	s_delay_alu instid0(SALU_CYCLE_1) | instskip(SKIP_1) | instid1(VALU_DEP_1)
	s_or_b32 exec_lo, exec_lo, s0
	v_cmp_gt_u32_e64 s0, s4, v17
	s_and_saveexec_b32 s1, s0
	s_cbranch_execz .LBB68_20
.LBB68_16:                              ;   in Loop: Header=BB68_5 Depth=1
	v_dual_mov_b32 v0, 0 :: v_dual_mov_b32 v11, v17
	s_and_not1_b32 vcc_lo, exec_lo, s22
	s_cbranch_vccnz .LBB68_19
; %bb.17:                               ;   in Loop: Header=BB68_5 Depth=1
	v_dual_mov_b32 v0, 0 :: v_dual_mov_b32 v11, v17
	s_mov_b64 s[2:3], s[14:15]
	s_mov_b32 s16, s8
	s_set_inst_prefetch_distance 0x1
	.p2align	6
.LBB68_18:                              ;   Parent Loop BB68_5 Depth=1
                                        ; =>  This Inner Loop Header: Depth=2
	s_clause 0x1
	s_load_b32 s17, s[2:3], 0x0
	s_load_b32 s23, s[2:3], 0x64
	s_add_i32 s16, s16, -1
	s_waitcnt lgkmcnt(0)
	v_cvt_f32_u32_e32 v12, s17
	s_sub_i32 s24, 0, s17
	s_add_u32 s2, s2, -4
	s_addc_u32 s3, s3, -1
	s_cmp_gt_u32 s16, 2
	v_rcp_iflag_f32_e32 v12, v12
	s_waitcnt_depctr 0xfff
	v_mul_f32_e32 v12, 0x4f7ffffe, v12
	s_delay_alu instid0(VALU_DEP_1) | instskip(NEXT) | instid1(VALU_DEP_1)
	v_cvt_u32_f32_e32 v12, v12
	v_mul_lo_u32 v13, s24, v12
	s_delay_alu instid0(VALU_DEP_1) | instskip(NEXT) | instid1(VALU_DEP_1)
	v_mul_hi_u32 v13, v12, v13
	v_dual_mov_b32 v14, v11 :: v_dual_add_nc_u32 v11, v12, v13
	s_delay_alu instid0(VALU_DEP_1) | instskip(NEXT) | instid1(VALU_DEP_1)
	v_mul_hi_u32 v11, v14, v11
	v_mul_lo_u32 v12, v11, s17
	v_add_nc_u32_e32 v13, 1, v11
	s_delay_alu instid0(VALU_DEP_2) | instskip(NEXT) | instid1(VALU_DEP_1)
	v_sub_nc_u32_e32 v12, v14, v12
	v_subrev_nc_u32_e32 v20, s17, v12
	v_cmp_le_u32_e32 vcc_lo, s17, v12
	s_delay_alu instid0(VALU_DEP_2) | instskip(NEXT) | instid1(VALU_DEP_1)
	v_dual_cndmask_b32 v11, v11, v13 :: v_dual_cndmask_b32 v12, v12, v20
	v_add_nc_u32_e32 v13, 1, v11
	s_delay_alu instid0(VALU_DEP_2) | instskip(NEXT) | instid1(VALU_DEP_2)
	v_cmp_le_u32_e32 vcc_lo, s17, v12
	v_cndmask_b32_e32 v11, v11, v13, vcc_lo
	s_delay_alu instid0(VALU_DEP_1) | instskip(NEXT) | instid1(VALU_DEP_1)
	v_mul_lo_u32 v12, v11, s17
	v_sub_nc_u32_e32 v14, v14, v12
	s_delay_alu instid0(VALU_DEP_1) | instskip(NEXT) | instid1(VALU_DEP_1)
	v_mad_u64_u32 v[12:13], null, s23, v14, v[0:1]
	v_mov_b32_e32 v0, v12
	s_cbranch_scc1 .LBB68_18
.LBB68_19:                              ;   in Loop: Header=BB68_5 Depth=1
	s_set_inst_prefetch_distance 0x2
	s_delay_alu instid0(VALU_DEP_1) | instskip(SKIP_1) | instid1(VALU_DEP_1)
	v_mad_u64_u32 v[12:13], null, s21, v11, v[0:1]
	v_mov_b32_e32 v13, v18
	v_lshlrev_b64 v[11:12], 2, v[12:13]
	s_delay_alu instid0(VALU_DEP_1) | instskip(NEXT) | instid1(VALU_DEP_2)
	v_add_co_u32 v11, vcc_lo, s12, v11
	v_add_co_ci_u32_e32 v12, vcc_lo, s13, v12, vcc_lo
	global_load_b32 v0, v[11:12], off
.LBB68_20:                              ;   in Loop: Header=BB68_5 Depth=1
	s_or_b32 exec_lo, exec_lo, s1
	v_add_nc_u32_e32 v11, s18, v17
	s_delay_alu instid0(VALU_DEP_1) | instskip(NEXT) | instid1(VALU_DEP_1)
	v_cmp_gt_u32_e64 s1, s4, v11
	s_and_saveexec_b32 s16, s1
	s_cbranch_execz .LBB68_25
; %bb.21:                               ;   in Loop: Header=BB68_5 Depth=1
	v_dual_mov_b32 v1, 0 :: v_dual_mov_b32 v12, v11
	s_and_not1_b32 vcc_lo, exec_lo, s22
	s_cbranch_vccnz .LBB68_24
; %bb.22:                               ;   in Loop: Header=BB68_5 Depth=1
	v_dual_mov_b32 v1, 0 :: v_dual_mov_b32 v12, v11
	s_mov_b64 s[2:3], s[14:15]
	s_mov_b32 s17, s8
	s_set_inst_prefetch_distance 0x1
	.p2align	6
.LBB68_23:                              ;   Parent Loop BB68_5 Depth=1
                                        ; =>  This Inner Loop Header: Depth=2
	s_clause 0x1
	s_load_b32 s23, s[2:3], 0x0
	s_load_b32 s24, s[2:3], 0x64
	s_add_i32 s17, s17, -1
	v_mov_b32_e32 v20, v12
	s_waitcnt lgkmcnt(0)
	v_cvt_f32_u32_e32 v13, s23
	s_sub_i32 s25, 0, s23
	s_add_u32 s2, s2, -4
	s_addc_u32 s3, s3, -1
	s_cmp_gt_u32 s17, 2
	v_rcp_iflag_f32_e32 v13, v13
	s_waitcnt_depctr 0xfff
	v_mul_f32_e32 v13, 0x4f7ffffe, v13
	s_delay_alu instid0(VALU_DEP_1) | instskip(NEXT) | instid1(VALU_DEP_1)
	v_cvt_u32_f32_e32 v13, v13
	v_mul_lo_u32 v14, s25, v13
	s_delay_alu instid0(VALU_DEP_1) | instskip(NEXT) | instid1(VALU_DEP_1)
	v_mul_hi_u32 v14, v13, v14
	v_add_nc_u32_e32 v12, v13, v14
	s_delay_alu instid0(VALU_DEP_1) | instskip(NEXT) | instid1(VALU_DEP_1)
	v_mul_hi_u32 v12, v20, v12
	v_mul_lo_u32 v13, v12, s23
	s_delay_alu instid0(VALU_DEP_1) | instskip(NEXT) | instid1(VALU_DEP_1)
	v_sub_nc_u32_e32 v13, v20, v13
	v_subrev_nc_u32_e32 v45, s23, v13
	v_cmp_le_u32_e32 vcc_lo, s23, v13
	s_delay_alu instid0(VALU_DEP_2) | instskip(NEXT) | instid1(VALU_DEP_1)
	v_dual_cndmask_b32 v13, v13, v45 :: v_dual_add_nc_u32 v14, 1, v12
	v_cndmask_b32_e32 v12, v12, v14, vcc_lo
	s_delay_alu instid0(VALU_DEP_2) | instskip(NEXT) | instid1(VALU_DEP_2)
	v_cmp_le_u32_e32 vcc_lo, s23, v13
	v_add_nc_u32_e32 v14, 1, v12
	s_delay_alu instid0(VALU_DEP_1) | instskip(NEXT) | instid1(VALU_DEP_1)
	v_cndmask_b32_e32 v12, v12, v14, vcc_lo
	v_mul_lo_u32 v13, v12, s23
	s_delay_alu instid0(VALU_DEP_1) | instskip(NEXT) | instid1(VALU_DEP_1)
	v_sub_nc_u32_e32 v20, v20, v13
	v_mad_u64_u32 v[13:14], null, s24, v20, v[1:2]
	s_delay_alu instid0(VALU_DEP_1)
	v_mov_b32_e32 v1, v13
	s_cbranch_scc1 .LBB68_23
.LBB68_24:                              ;   in Loop: Header=BB68_5 Depth=1
	s_set_inst_prefetch_distance 0x2
	s_delay_alu instid0(VALU_DEP_1) | instskip(SKIP_1) | instid1(VALU_DEP_1)
	v_mad_u64_u32 v[13:14], null, s21, v12, v[1:2]
	v_mov_b32_e32 v14, v18
	v_lshlrev_b64 v[12:13], 2, v[13:14]
	s_delay_alu instid0(VALU_DEP_1) | instskip(NEXT) | instid1(VALU_DEP_2)
	v_add_co_u32 v12, vcc_lo, s12, v12
	v_add_co_ci_u32_e32 v13, vcc_lo, s13, v13, vcc_lo
	global_load_b32 v1, v[12:13], off
.LBB68_25:                              ;   in Loop: Header=BB68_5 Depth=1
	s_or_b32 exec_lo, exec_lo, s16
	v_add_nc_u32_e32 v12, s18, v11
	s_delay_alu instid0(VALU_DEP_1) | instskip(NEXT) | instid1(VALU_DEP_1)
	v_cmp_gt_u32_e64 s2, s4, v12
	s_and_saveexec_b32 s3, s2
	s_cbranch_execz .LBB68_30
; %bb.26:                               ;   in Loop: Header=BB68_5 Depth=1
	v_dual_mov_b32 v2, 0 :: v_dual_mov_b32 v13, v12
	s_and_not1_b32 vcc_lo, exec_lo, s22
	s_cbranch_vccnz .LBB68_29
; %bb.27:                               ;   in Loop: Header=BB68_5 Depth=1
	v_dual_mov_b32 v2, 0 :: v_dual_mov_b32 v13, v12
	s_mov_b64 s[16:17], s[14:15]
	s_mov_b32 s23, s8
	s_set_inst_prefetch_distance 0x1
	.p2align	6
.LBB68_28:                              ;   Parent Loop BB68_5 Depth=1
                                        ; =>  This Inner Loop Header: Depth=2
	s_clause 0x1
	s_load_b32 s24, s[16:17], 0x0
	s_load_b32 s25, s[16:17], 0x64
	s_add_i32 s23, s23, -1
	v_mov_b32_e32 v45, v13
	s_waitcnt lgkmcnt(0)
	v_cvt_f32_u32_e32 v14, s24
	s_sub_i32 s26, 0, s24
	s_add_u32 s16, s16, -4
	s_addc_u32 s17, s17, -1
	s_cmp_gt_u32 s23, 2
	v_rcp_iflag_f32_e32 v14, v14
	s_waitcnt_depctr 0xfff
	v_mul_f32_e32 v14, 0x4f7ffffe, v14
	s_delay_alu instid0(VALU_DEP_1) | instskip(NEXT) | instid1(VALU_DEP_1)
	v_cvt_u32_f32_e32 v14, v14
	v_mul_lo_u32 v20, s26, v14
	s_delay_alu instid0(VALU_DEP_1) | instskip(NEXT) | instid1(VALU_DEP_1)
	v_mul_hi_u32 v20, v14, v20
	v_add_nc_u32_e32 v13, v14, v20
	s_delay_alu instid0(VALU_DEP_1) | instskip(NEXT) | instid1(VALU_DEP_1)
	v_mul_hi_u32 v13, v45, v13
	v_mul_lo_u32 v14, v13, s24
	v_add_nc_u32_e32 v20, 1, v13
	s_delay_alu instid0(VALU_DEP_2) | instskip(NEXT) | instid1(VALU_DEP_1)
	v_sub_nc_u32_e32 v14, v45, v14
	v_subrev_nc_u32_e32 v46, s24, v14
	v_cmp_le_u32_e32 vcc_lo, s24, v14
	s_delay_alu instid0(VALU_DEP_2) | instskip(NEXT) | instid1(VALU_DEP_1)
	v_dual_cndmask_b32 v13, v13, v20 :: v_dual_cndmask_b32 v14, v14, v46
	v_add_nc_u32_e32 v20, 1, v13
	s_delay_alu instid0(VALU_DEP_2) | instskip(NEXT) | instid1(VALU_DEP_2)
	v_cmp_le_u32_e32 vcc_lo, s24, v14
	v_cndmask_b32_e32 v13, v13, v20, vcc_lo
	s_delay_alu instid0(VALU_DEP_1) | instskip(NEXT) | instid1(VALU_DEP_1)
	v_mul_lo_u32 v14, v13, s24
	v_sub_nc_u32_e32 v14, v45, v14
	s_delay_alu instid0(VALU_DEP_1) | instskip(NEXT) | instid1(VALU_DEP_1)
	v_mad_u64_u32 v[45:46], null, s25, v14, v[2:3]
	v_mov_b32_e32 v2, v45
	s_cbranch_scc1 .LBB68_28
.LBB68_29:                              ;   in Loop: Header=BB68_5 Depth=1
	s_set_inst_prefetch_distance 0x2
	s_delay_alu instid0(VALU_DEP_1) | instskip(SKIP_1) | instid1(VALU_DEP_1)
	v_mad_u64_u32 v[45:46], null, s21, v13, v[2:3]
	v_mov_b32_e32 v46, v18
	v_lshlrev_b64 v[13:14], 2, v[45:46]
	s_delay_alu instid0(VALU_DEP_1) | instskip(NEXT) | instid1(VALU_DEP_2)
	v_add_co_u32 v13, vcc_lo, s12, v13
	v_add_co_ci_u32_e32 v14, vcc_lo, s13, v14, vcc_lo
	global_load_b32 v2, v[13:14], off
.LBB68_30:                              ;   in Loop: Header=BB68_5 Depth=1
	s_or_b32 exec_lo, exec_lo, s3
	v_add_nc_u32_e32 v13, s18, v12
	s_delay_alu instid0(VALU_DEP_1) | instskip(NEXT) | instid1(VALU_DEP_1)
	v_cmp_gt_u32_e64 s3, s4, v13
	s_and_saveexec_b32 s23, s3
	s_cbranch_execnz .LBB68_35
; %bb.31:                               ;   in Loop: Header=BB68_5 Depth=1
	s_or_b32 exec_lo, exec_lo, s23
	s_and_saveexec_b32 s16, s0
	s_cbranch_execnz .LBB68_39
.LBB68_32:                              ;   in Loop: Header=BB68_5 Depth=1
	s_or_b32 exec_lo, exec_lo, s16
	s_and_saveexec_b32 s16, s1
	s_cbranch_execnz .LBB68_40
.LBB68_33:                              ;   in Loop: Header=BB68_5 Depth=1
	s_or_b32 exec_lo, exec_lo, s16
	s_and_saveexec_b32 s1, s2
	s_cbranch_execnz .LBB68_41
.LBB68_34:                              ;   in Loop: Header=BB68_5 Depth=1
	s_or_b32 exec_lo, exec_lo, s1
	s_and_saveexec_b32 s1, s3
	s_cbranch_execz .LBB68_4
	s_branch .LBB68_42
.LBB68_35:                              ;   in Loop: Header=BB68_5 Depth=1
	v_dual_mov_b32 v3, 0 :: v_dual_mov_b32 v14, v13
	s_and_not1_b32 vcc_lo, exec_lo, s22
	s_cbranch_vccnz .LBB68_38
; %bb.36:                               ;   in Loop: Header=BB68_5 Depth=1
	v_dual_mov_b32 v3, 0 :: v_dual_mov_b32 v14, v13
	s_mov_b64 s[16:17], s[14:15]
	s_mov_b32 s24, s8
	s_set_inst_prefetch_distance 0x1
	.p2align	6
.LBB68_37:                              ;   Parent Loop BB68_5 Depth=1
                                        ; =>  This Inner Loop Header: Depth=2
	s_clause 0x1
	s_load_b32 s25, s[16:17], 0x0
	s_load_b32 s26, s[16:17], 0x64
	v_mov_b32_e32 v46, v14
	s_add_i32 s24, s24, -1
	s_waitcnt lgkmcnt(0)
	v_cvt_f32_u32_e32 v20, s25
	s_sub_i32 s27, 0, s25
	s_add_u32 s16, s16, -4
	s_addc_u32 s17, s17, -1
	s_cmp_gt_u32 s24, 2
	v_rcp_iflag_f32_e32 v20, v20
	s_waitcnt_depctr 0xfff
	v_mul_f32_e32 v20, 0x4f7ffffe, v20
	s_delay_alu instid0(VALU_DEP_1) | instskip(NEXT) | instid1(VALU_DEP_1)
	v_cvt_u32_f32_e32 v20, v20
	v_mul_lo_u32 v45, s27, v20
	s_delay_alu instid0(VALU_DEP_1) | instskip(NEXT) | instid1(VALU_DEP_1)
	v_mul_hi_u32 v45, v20, v45
	v_add_nc_u32_e32 v14, v20, v45
	s_delay_alu instid0(VALU_DEP_1) | instskip(NEXT) | instid1(VALU_DEP_1)
	v_mul_hi_u32 v14, v46, v14
	v_mul_lo_u32 v20, v14, s25
	v_add_nc_u32_e32 v45, 1, v14
	s_delay_alu instid0(VALU_DEP_2) | instskip(NEXT) | instid1(VALU_DEP_1)
	v_sub_nc_u32_e32 v20, v46, v20
	v_subrev_nc_u32_e32 v47, s25, v20
	v_cmp_le_u32_e32 vcc_lo, s25, v20
	s_delay_alu instid0(VALU_DEP_4) | instskip(NEXT) | instid1(VALU_DEP_1)
	v_cndmask_b32_e32 v14, v14, v45, vcc_lo
	v_dual_cndmask_b32 v20, v20, v47 :: v_dual_add_nc_u32 v45, 1, v14
	s_delay_alu instid0(VALU_DEP_1) | instskip(NEXT) | instid1(VALU_DEP_2)
	v_cmp_le_u32_e32 vcc_lo, s25, v20
	v_cndmask_b32_e32 v14, v14, v45, vcc_lo
	s_delay_alu instid0(VALU_DEP_1) | instskip(NEXT) | instid1(VALU_DEP_1)
	v_mul_lo_u32 v20, v14, s25
	v_sub_nc_u32_e32 v20, v46, v20
	s_delay_alu instid0(VALU_DEP_1) | instskip(NEXT) | instid1(VALU_DEP_1)
	v_mad_u64_u32 v[45:46], null, s26, v20, v[3:4]
	v_mov_b32_e32 v3, v45
	s_cbranch_scc1 .LBB68_37
.LBB68_38:                              ;   in Loop: Header=BB68_5 Depth=1
	s_set_inst_prefetch_distance 0x2
	s_delay_alu instid0(VALU_DEP_1) | instskip(SKIP_1) | instid1(VALU_DEP_1)
	v_mad_u64_u32 v[45:46], null, s21, v14, v[3:4]
	v_mov_b32_e32 v46, v18
	v_lshlrev_b64 v[45:46], 2, v[45:46]
	s_delay_alu instid0(VALU_DEP_1) | instskip(NEXT) | instid1(VALU_DEP_2)
	v_add_co_u32 v45, vcc_lo, s12, v45
	v_add_co_ci_u32_e32 v46, vcc_lo, s13, v46, vcc_lo
	global_load_b32 v3, v[45:46], off
	s_or_b32 exec_lo, exec_lo, s23
	s_and_saveexec_b32 s16, s0
	s_cbranch_execz .LBB68_32
.LBB68_39:                              ;   in Loop: Header=BB68_5 Depth=1
	v_cvt_f32_u32_e32 v4, v4
	v_mul_lo_u32 v17, v17, s20
	s_delay_alu instid0(VALU_DEP_2) | instskip(NEXT) | instid1(VALU_DEP_2)
	v_fmaak_f32 v4, 0x2f800000, v4, 0x2f800000
	v_lshlrev_b64 v[45:46], 2, v[17:18]
	s_delay_alu instid0(VALU_DEP_2) | instskip(NEXT) | instid1(VALU_DEP_2)
	v_cmp_gt_f32_e32 vcc_lo, s5, v4
	v_add_co_u32 v45, s0, s10, v45
	v_cndmask_b32_e64 v4, 0, 1.0, vcc_lo
	s_delay_alu instid0(VALU_DEP_4) | instskip(SKIP_2) | instid1(VALU_DEP_3)
	v_add_co_ci_u32_e64 v46, s0, s11, v46, s0
	v_cndmask_b32_e64 v14, 0, 1, vcc_lo
	s_waitcnt vmcnt(0)
	v_mul_f32_e32 v4, v0, v4
	s_delay_alu instid0(VALU_DEP_1)
	v_mul_f32_e32 v4, v43, v4
	global_store_b32 v[45:46], v4, off
	global_store_b8 v17, v14, s[6:7]
	s_or_b32 exec_lo, exec_lo, s16
	s_and_saveexec_b32 s16, s1
	s_cbranch_execz .LBB68_33
.LBB68_40:                              ;   in Loop: Header=BB68_5 Depth=1
	v_cvt_f32_u32_e32 v4, v5
	v_mul_lo_u32 v17, v11, s20
	s_delay_alu instid0(VALU_DEP_2) | instskip(NEXT) | instid1(VALU_DEP_1)
	v_fmaak_f32 v4, 0x2f800000, v4, 0x2f800000
	v_cmp_gt_f32_e32 vcc_lo, s5, v4
	s_delay_alu instid0(VALU_DEP_3) | instskip(SKIP_2) | instid1(VALU_DEP_3)
	v_lshlrev_b64 v[4:5], 2, v[17:18]
	v_cndmask_b32_e64 v11, 0, 1.0, vcc_lo
	v_cndmask_b32_e64 v14, 0, 1, vcc_lo
	v_add_co_u32 v4, s0, s10, v4
	s_delay_alu instid0(VALU_DEP_1) | instskip(SKIP_2) | instid1(VALU_DEP_1)
	v_add_co_ci_u32_e64 v5, s0, s11, v5, s0
	s_waitcnt vmcnt(0)
	v_mul_f32_e32 v11, v1, v11
	v_mul_f32_e32 v11, v43, v11
	global_store_b32 v[4:5], v11, off
	global_store_b8 v17, v14, s[6:7]
	s_or_b32 exec_lo, exec_lo, s16
	s_and_saveexec_b32 s1, s2
	s_cbranch_execz .LBB68_34
.LBB68_41:                              ;   in Loop: Header=BB68_5 Depth=1
	v_cvt_f32_u32_e32 v4, v6
	v_mul_lo_u32 v17, v12, s20
	s_delay_alu instid0(VALU_DEP_2) | instskip(NEXT) | instid1(VALU_DEP_1)
	v_fmaak_f32 v4, 0x2f800000, v4, 0x2f800000
	v_cmp_gt_f32_e32 vcc_lo, s5, v4
	s_delay_alu instid0(VALU_DEP_3) | instskip(SKIP_2) | instid1(VALU_DEP_3)
	v_lshlrev_b64 v[4:5], 2, v[17:18]
	v_cndmask_b32_e64 v6, 0, 1.0, vcc_lo
	v_cndmask_b32_e64 v11, 0, 1, vcc_lo
	v_add_co_u32 v4, s0, s10, v4
	s_delay_alu instid0(VALU_DEP_1) | instskip(SKIP_2) | instid1(VALU_DEP_1)
	v_add_co_ci_u32_e64 v5, s0, s11, v5, s0
	s_waitcnt vmcnt(0)
	v_mul_f32_e32 v6, v2, v6
	v_mul_f32_e32 v6, v43, v6
	global_store_b32 v[4:5], v6, off
	global_store_b8 v17, v11, s[6:7]
	s_or_b32 exec_lo, exec_lo, s1
	s_and_saveexec_b32 s1, s3
	s_cbranch_execz .LBB68_4
.LBB68_42:                              ;   in Loop: Header=BB68_5 Depth=1
	v_cvt_f32_u32_e32 v4, v7
	v_mul_lo_u32 v17, v13, s20
	s_delay_alu instid0(VALU_DEP_2) | instskip(NEXT) | instid1(VALU_DEP_1)
	v_fmaak_f32 v4, 0x2f800000, v4, 0x2f800000
	v_cmp_gt_f32_e32 vcc_lo, s5, v4
	s_delay_alu instid0(VALU_DEP_3) | instskip(SKIP_2) | instid1(VALU_DEP_3)
	v_lshlrev_b64 v[4:5], 2, v[17:18]
	v_cndmask_b32_e64 v6, 0, 1.0, vcc_lo
	v_cndmask_b32_e64 v7, 0, 1, vcc_lo
	v_add_co_u32 v4, s0, s10, v4
	s_delay_alu instid0(VALU_DEP_1) | instskip(SKIP_2) | instid1(VALU_DEP_1)
	v_add_co_ci_u32_e64 v5, s0, s11, v5, s0
	s_waitcnt vmcnt(0)
	v_mul_f32_e32 v6, v3, v6
	v_mul_f32_e32 v6, v43, v6
	global_store_b32 v[4:5], v6, off
	global_store_b8 v17, v7, s[6:7]
	s_branch .LBB68_4
.LBB68_43:
	s_endpgm
	.section	.rodata,"a",@progbits
	.p2align	6, 0x0
	.amdhsa_kernel _ZN2at6native12_GLOBAL__N_120fused_dropout_kernelIffjLin1ELi1EhEEvNS_4cuda6detail10TensorInfoIKT_T1_EENS5_IS6_S8_EENS5_IT4_S8_EES8_T0_NS_15PhiloxCudaStateE
		.amdhsa_group_segment_fixed_size 0
		.amdhsa_private_segment_fixed_size 0
		.amdhsa_kernarg_size 944
		.amdhsa_user_sgpr_count 15
		.amdhsa_user_sgpr_dispatch_ptr 0
		.amdhsa_user_sgpr_queue_ptr 0
		.amdhsa_user_sgpr_kernarg_segment_ptr 1
		.amdhsa_user_sgpr_dispatch_id 0
		.amdhsa_user_sgpr_private_segment_size 0
		.amdhsa_wavefront_size32 1
		.amdhsa_uses_dynamic_stack 0
		.amdhsa_enable_private_segment 0
		.amdhsa_system_sgpr_workgroup_id_x 1
		.amdhsa_system_sgpr_workgroup_id_y 0
		.amdhsa_system_sgpr_workgroup_id_z 0
		.amdhsa_system_sgpr_workgroup_info 0
		.amdhsa_system_vgpr_workitem_id 0
		.amdhsa_next_free_vgpr 48
		.amdhsa_next_free_sgpr 28
		.amdhsa_reserve_vcc 1
		.amdhsa_float_round_mode_32 0
		.amdhsa_float_round_mode_16_64 0
		.amdhsa_float_denorm_mode_32 3
		.amdhsa_float_denorm_mode_16_64 3
		.amdhsa_dx10_clamp 1
		.amdhsa_ieee_mode 1
		.amdhsa_fp16_overflow 0
		.amdhsa_workgroup_processor_mode 1
		.amdhsa_memory_ordered 1
		.amdhsa_forward_progress 0
		.amdhsa_shared_vgpr_count 0
		.amdhsa_exception_fp_ieee_invalid_op 0
		.amdhsa_exception_fp_denorm_src 0
		.amdhsa_exception_fp_ieee_div_zero 0
		.amdhsa_exception_fp_ieee_overflow 0
		.amdhsa_exception_fp_ieee_underflow 0
		.amdhsa_exception_fp_ieee_inexact 0
		.amdhsa_exception_int_div_zero 0
	.end_amdhsa_kernel
	.section	.text._ZN2at6native12_GLOBAL__N_120fused_dropout_kernelIffjLin1ELi1EhEEvNS_4cuda6detail10TensorInfoIKT_T1_EENS5_IS6_S8_EENS5_IT4_S8_EES8_T0_NS_15PhiloxCudaStateE,"axG",@progbits,_ZN2at6native12_GLOBAL__N_120fused_dropout_kernelIffjLin1ELi1EhEEvNS_4cuda6detail10TensorInfoIKT_T1_EENS5_IS6_S8_EENS5_IT4_S8_EES8_T0_NS_15PhiloxCudaStateE,comdat
.Lfunc_end68:
	.size	_ZN2at6native12_GLOBAL__N_120fused_dropout_kernelIffjLin1ELi1EhEEvNS_4cuda6detail10TensorInfoIKT_T1_EENS5_IS6_S8_EENS5_IT4_S8_EES8_T0_NS_15PhiloxCudaStateE, .Lfunc_end68-_ZN2at6native12_GLOBAL__N_120fused_dropout_kernelIffjLin1ELi1EhEEvNS_4cuda6detail10TensorInfoIKT_T1_EENS5_IS6_S8_EENS5_IT4_S8_EES8_T0_NS_15PhiloxCudaStateE
                                        ; -- End function
	.section	.AMDGPU.csdata,"",@progbits
; Kernel info:
; codeLenInByte = 3768
; NumSgprs: 30
; NumVgprs: 48
; ScratchSize: 0
; MemoryBound: 0
; FloatMode: 240
; IeeeMode: 1
; LDSByteSize: 0 bytes/workgroup (compile time only)
; SGPRBlocks: 3
; VGPRBlocks: 5
; NumSGPRsForWavesPerEU: 30
; NumVGPRsForWavesPerEU: 48
; Occupancy: 16
; WaveLimiterHint : 1
; COMPUTE_PGM_RSRC2:SCRATCH_EN: 0
; COMPUTE_PGM_RSRC2:USER_SGPR: 15
; COMPUTE_PGM_RSRC2:TRAP_HANDLER: 0
; COMPUTE_PGM_RSRC2:TGID_X_EN: 1
; COMPUTE_PGM_RSRC2:TGID_Y_EN: 0
; COMPUTE_PGM_RSRC2:TGID_Z_EN: 0
; COMPUTE_PGM_RSRC2:TIDIG_COMP_CNT: 0
	.section	.text._ZN2at6native12_GLOBAL__N_120fused_dropout_kernelIffjLin1ELin1EhEEvNS_4cuda6detail10TensorInfoIKT_T1_EENS5_IS6_S8_EENS5_IT4_S8_EES8_T0_NS_15PhiloxCudaStateE,"axG",@progbits,_ZN2at6native12_GLOBAL__N_120fused_dropout_kernelIffjLin1ELin1EhEEvNS_4cuda6detail10TensorInfoIKT_T1_EENS5_IS6_S8_EENS5_IT4_S8_EES8_T0_NS_15PhiloxCudaStateE,comdat
	.globl	_ZN2at6native12_GLOBAL__N_120fused_dropout_kernelIffjLin1ELin1EhEEvNS_4cuda6detail10TensorInfoIKT_T1_EENS5_IS6_S8_EENS5_IT4_S8_EES8_T0_NS_15PhiloxCudaStateE ; -- Begin function _ZN2at6native12_GLOBAL__N_120fused_dropout_kernelIffjLin1ELin1EhEEvNS_4cuda6detail10TensorInfoIKT_T1_EENS5_IS6_S8_EENS5_IT4_S8_EES8_T0_NS_15PhiloxCudaStateE
	.p2align	8
	.type	_ZN2at6native12_GLOBAL__N_120fused_dropout_kernelIffjLin1ELin1EhEEvNS_4cuda6detail10TensorInfoIKT_T1_EENS5_IS6_S8_EENS5_IT4_S8_EES8_T0_NS_15PhiloxCudaStateE,@function
_ZN2at6native12_GLOBAL__N_120fused_dropout_kernelIffjLin1ELin1EhEEvNS_4cuda6detail10TensorInfoIKT_T1_EENS5_IS6_S8_EENS5_IT4_S8_EES8_T0_NS_15PhiloxCudaStateE: ; @_ZN2at6native12_GLOBAL__N_120fused_dropout_kernelIffjLin1ELin1EhEEvNS_4cuda6detail10TensorInfoIKT_T1_EENS5_IS6_S8_EENS5_IT4_S8_EES8_T0_NS_15PhiloxCudaStateE
; %bb.0:
	s_clause 0x1
	s_load_b128 s[4:7], s[0:1], 0x290
	s_load_b32 s2, s[0:1], 0x2a8
	s_waitcnt lgkmcnt(0)
	v_dual_mov_b32 v1, s6 :: v_dual_mov_b32 v2, s7
	v_dual_mov_b32 v16, s5 :: v_dual_mov_b32 v15, s4
	s_bitcmp0_b32 s2, 0
	s_cbranch_scc1 .LBB69_2
; %bb.1:
	v_dual_mov_b32 v1, s6 :: v_dual_mov_b32 v2, s7
	v_dual_mov_b32 v3, s4 :: v_dual_mov_b32 v4, s5
	s_load_b64 s[2:3], s[0:1], 0x2a0
	flat_load_b64 v[1:2], v[1:2]
	flat_load_b64 v[15:16], v[3:4]
	s_waitcnt vmcnt(1) lgkmcnt(0)
	v_add_co_u32 v1, vcc_lo, v1, s2
	v_add_co_ci_u32_e32 v2, vcc_lo, s3, v2, vcc_lo
.LBB69_2:
	s_clause 0x2
	s_load_b32 s2, s[0:1], 0x2bc
	s_load_b32 s20, s[0:1], 0x2b0
	s_load_b64 s[4:5], s[0:1], 0x288
	s_waitcnt lgkmcnt(0)
	s_and_b32 s2, s2, 0xffff
	s_add_i32 s7, s4, -1
	s_mul_i32 s20, s20, s2
	v_mad_u64_u32 v[17:18], null, s15, s2, v[0:1]
	s_lshl_b32 s21, s20, 2
	s_delay_alu instid0(SALU_CYCLE_1) | instskip(SKIP_1) | instid1(VALU_DEP_1)
	v_cvt_f32_u32_e32 v3, s21
	s_sub_i32 s6, 0, s21
	v_rcp_iflag_f32_e32 v3, v3
	s_waitcnt_depctr 0xfff
	v_mul_f32_e32 v3, 0x4f7ffffe, v3
	s_delay_alu instid0(VALU_DEP_1) | instskip(NEXT) | instid1(VALU_DEP_1)
	v_cvt_u32_f32_e32 v3, v3
	v_readfirstlane_b32 s3, v3
	s_delay_alu instid0(VALU_DEP_1) | instskip(NEXT) | instid1(SALU_CYCLE_1)
	s_mul_i32 s6, s6, s3
	s_mul_hi_u32 s6, s3, s6
	s_delay_alu instid0(SALU_CYCLE_1) | instskip(NEXT) | instid1(SALU_CYCLE_1)
	s_add_i32 s3, s3, s6
	s_mul_hi_u32 s3, s7, s3
	s_delay_alu instid0(SALU_CYCLE_1) | instskip(NEXT) | instid1(SALU_CYCLE_1)
	s_mul_i32 s6, s3, s21
	s_sub_i32 s6, s7, s6
	s_add_i32 s7, s3, 1
	s_sub_i32 s8, s6, s21
	s_cmp_ge_u32 s6, s21
	s_cselect_b32 s2, s7, s3
	s_cselect_b32 s3, s8, s6
	s_add_i32 s6, s2, 1
	s_cmp_ge_u32 s3, s21
	s_cselect_b32 s2, s6, s2
	s_delay_alu instid0(SALU_CYCLE_1) | instskip(NEXT) | instid1(SALU_CYCLE_1)
	s_add_i32 s2, s2, 1
	s_mul_i32 s22, s21, s2
	s_mov_b32 s2, exec_lo
	v_cmpx_gt_u32_e64 s22, v17
	s_cbranch_execz .LBB69_55
; %bb.3:
	v_mad_u64_u32 v[3:4], null, 0xcd9e8d57, v17, 0
	v_alignbit_b32 v20, v2, v1, 2
	v_lshrrev_b32_e32 v21, 2, v2
	s_waitcnt vmcnt(0)
	v_dual_mov_b32 v11, v16 :: v_dual_and_b32 v28, 3, v1
	v_add_co_u32 v23, null, 0x9e3779b9, v15
	v_mad_u64_u32 v[5:6], null, 0xd2511f53, v20, 0
	v_xor3_b32 v0, v15, v4, v21
	s_delay_alu instid0(VALU_DEP_4) | instskip(SKIP_1) | instid1(VALU_DEP_3)
	v_add_co_u32 v22, null, 0xbb67ae85, v11
	v_add_co_u32 v24, null, 0x3c6ef372, v15
	v_mad_u64_u32 v[7:8], null, 0xd2511f53, v0, 0
	v_xor_b32_e32 v0, v6, v16
	v_add_co_u32 v25, null, 0x76cf5d0a, v11
	v_add_co_u32 v26, null, 0x32370b8f, v11
	s_delay_alu instid0(VALU_DEP_3) | instskip(SKIP_3) | instid1(VALU_DEP_3)
	v_mad_u64_u32 v[9:10], null, 0xcd9e8d57, v0, 0
	v_xor3_b32 v0, v22, v8, v5
	v_add_co_u32 v29, null, 0xdaa66d2b, v15
	v_add_co_u32 v32, null, 0x78dde6e4, v15
	v_mad_u64_u32 v[4:5], null, 0xcd9e8d57, v0, 0
	v_xor3_b32 v0, v10, v23, v3
	v_add_co_u32 v33, null, 0xed9eba14, v11
	v_add_co_u32 v35, null, 0xa9066899, v11
	s_delay_alu instid0(VALU_DEP_3) | instskip(SKIP_3) | instid1(VALU_DEP_3)
	v_mad_u64_u32 v[2:3], null, 0xd2511f53, v0, 0
	v_xor3_b32 v0, v24, v5, v9
	v_add_co_u32 v36, null, 0x1715609d, v15
	v_div_scale_f32 v9, null, s5, s5, 1.0
	v_mad_u64_u32 v[5:6], null, 0xd2511f53, v0, 0
	v_xor3_b32 v3, v3, v25, v7
	s_delay_alu instid0(VALU_DEP_3) | instskip(SKIP_2) | instid1(VALU_DEP_3)
	v_rcp_f32_e32 v12, v9
	v_add_co_u32 v34, null, 0xb54cda56, v15
	v_add_co_u32 v39, null, 0x646e171e, v11
	v_mad_u64_u32 v[0:1], null, 0xcd9e8d57, v3, 0
	v_xor3_b32 v6, v26, v6, v2
	v_add_co_u32 v37, null, 0x5384540f, v15
	v_add_co_u32 v40, null, 0x1fd5c5a3, v11
	s_delay_alu instid0(VALU_DEP_3)
	v_mad_u64_u32 v[2:3], null, 0xcd9e8d57, v6, 0
	v_xor3_b32 v1, v1, v29, v4
	s_clause 0x4
	s_load_b32 s14, s[0:1], 0xd0
	s_load_b32 s24, s[0:1], 0x6c
	s_load_b64 s[12:13], s[0:1], 0x0
	s_load_b64 s[8:9], s[0:1], 0x1b0
	s_load_b32 s17, s[0:1], 0x1a8
	v_mad_u64_u32 v[6:7], null, 0xd2511f53, v1, 0
	v_xor3_b32 v3, v32, v3, v0
	v_div_scale_f32 v10, vcc_lo, 1.0, s5, 1.0
	v_add_co_u32 v38, null, 0xf1bbcdc8, v15
	s_delay_alu instid0(VALU_DEP_3) | instskip(SKIP_4) | instid1(VALU_DEP_3)
	v_mad_u64_u32 v[0:1], null, 0xd2511f53, v3, 0
	v_xor3_b32 v5, v7, v33, v5
	v_fma_f32 v7, -v9, v12, 1.0
	v_add_co_u32 v41, null, 0xdb3d7428, v11
	s_add_u32 s16, s0, 0xd8
	v_mad_u64_u32 v[3:4], null, 0xcd9e8d57, v5, 0
	v_xor3_b32 v1, v35, v1, v6
	v_fmac_f32_e32 v12, v7, v12
	s_addc_u32 s18, s1, 0
	s_clause 0x1
	s_load_b32 s23, s[0:1], 0x144
	s_load_b64 s[10:11], s[0:1], 0xd8
	s_waitcnt lgkmcnt(0)
	s_cmp_gt_i32 s14, 1
	v_mad_u64_u32 v[5:6], null, 0xcd9e8d57, v1, 0
	v_xor3_b32 v4, v4, v36, v2
	v_mul_f32_e32 v13, v10, v12
	s_cselect_b32 s25, -1, 0
	s_cmp_gt_i32 s17, 1
	s_mov_b32 s7, 0
	v_mad_u64_u32 v[1:2], null, 0xd2511f53, v4, 0
	s_delay_alu instid0(VALU_DEP_4) | instskip(SKIP_3) | instid1(VALU_DEP_2)
	v_xor3_b32 v6, v34, v6, v3
	s_cselect_b32 s26, -1, 0
	s_add_i32 s6, s14, -1
	v_dual_mov_b32 v27, 0 :: v_dual_add_nc_u32 v30, 0x8ff34781, v15
	v_mad_u64_u32 v[3:4], null, 0xd2511f53, v6, 0
	s_delay_alu instid0(VALU_DEP_4) | instskip(SKIP_3) | instid1(VALU_DEP_2)
	v_xor3_b32 v0, v2, v39, v0
	v_dual_mov_b32 v44, 0 :: v_dual_add_nc_u32 v31, 0x96a522ad, v16
	s_lshl_b64 s[2:3], s[6:7], 2
	s_add_i32 s27, s14, 1
	v_mad_u64_u32 v[6:7], null, 0xcd9e8d57, v0, 0
	s_delay_alu instid0(VALU_DEP_4)
	v_xor3_b32 v2, v40, v4, v1
	s_add_u32 s0, s2, s0
	s_addc_u32 s1, s3, s1
	s_add_u32 s14, s0, 8
	s_addc_u32 s15, s1, 0
	v_mad_u64_u32 v[0:1], null, 0xcd9e8d57, v2, 0
	s_delay_alu instid0(VALU_DEP_3)
	v_xor3_b32 v4, v7, v37, v5
	v_fma_f32 v5, -v9, v13, v10
	s_add_i32 s6, s17, -1
	v_mov_b32_e32 v43, v17
	s_lshl_b64 s[0:1], s[6:7], 2
	v_mad_u64_u32 v[7:8], null, 0xd2511f53, v4, 0
	v_xor3_b32 v4, v38, v1, v6
	v_fmac_f32_e32 v13, v5, v12
	s_add_i32 s6, s17, 1
	s_add_u32 s0, s0, s16
	s_addc_u32 s1, s1, s18
	v_mad_u64_u32 v[1:2], null, 0xd2511f53, v4, 0
	s_delay_alu instid0(VALU_DEP_4) | instskip(SKIP_3) | instid1(VALU_DEP_2)
	v_xor3_b32 v3, v8, v41, v3
	v_fma_f32 v8, -v9, v13, v10
	s_add_u32 s16, s0, 8
	s_addc_u32 s17, s1, 0
	v_mad_u64_u32 v[5:6], null, 0xcd9e8d57, v3, 0
	s_delay_alu instid0(VALU_DEP_1) | instskip(SKIP_3) | instid1(VALU_DEP_1)
	v_xor3_b32 v4, v0, v6, v30
	v_xor3_b32 v6, v2, v7, v31
	v_mov_b32_e32 v7, v1
	v_div_fmas_f32 v3, v8, v12, v13
	v_div_fixup_f32 v42, v3, s5, 1.0
                                        ; implicit-def: $vgpr0_vgpr1_vgpr2_vgpr3
	s_branch .LBB69_6
.LBB69_4:                               ;   in Loop: Header=BB69_6 Depth=1
	s_set_inst_prefetch_distance 0x2
	v_cvt_f32_u32_e32 v7, v7
	v_mad_u64_u32 v[5:6], null, s23, v12, v[4:5]
	v_mov_b32_e32 v6, v27
	s_delay_alu instid0(VALU_DEP_3) | instskip(NEXT) | instid1(VALU_DEP_2)
	v_fmaak_f32 v4, 0x2f800000, v7, 0x2f800000
	v_lshlrev_b64 v[6:7], 2, v[5:6]
	s_delay_alu instid0(VALU_DEP_2) | instskip(NEXT) | instid1(VALU_DEP_2)
	v_cmp_gt_f32_e32 vcc_lo, s5, v4
	v_add_co_u32 v6, s0, s10, v6
	v_cndmask_b32_e64 v4, 0, 1.0, vcc_lo
	s_delay_alu instid0(VALU_DEP_4) | instskip(SKIP_2) | instid1(VALU_DEP_3)
	v_add_co_ci_u32_e64 v7, s0, s11, v7, s0
	v_cndmask_b32_e64 v11, 0, 1, vcc_lo
	s_waitcnt vmcnt(0)
	v_mul_f32_e32 v4, v3, v4
	s_delay_alu instid0(VALU_DEP_1)
	v_mul_f32_e32 v4, v42, v4
	global_store_b32 v[6:7], v4, off
	global_store_b8 v5, v11, s[8:9]
.LBB69_5:                               ;   in Loop: Header=BB69_6 Depth=1
	s_or_b32 exec_lo, exec_lo, s2
	v_mov_b32_e32 v11, v18
	v_dual_mov_b32 v4, v8 :: v_dual_add_nc_u32 v17, s21, v17
	v_dual_mov_b32 v5, v9 :: v_dual_mov_b32 v6, v10
	s_delay_alu instid0(VALU_DEP_3) | instskip(NEXT) | instid1(VALU_DEP_3)
	v_mov_b32_e32 v7, v11
	v_cmp_le_u32_e32 vcc_lo, s22, v17
	s_waitcnt vmcnt(0)
	s_waitcnt_vscnt null, 0x0
	s_barrier
	buffer_gl0_inv
	s_or_b32 s7, vcc_lo, s7
	s_delay_alu instid0(SALU_CYCLE_1)
	s_and_not1_b32 exec_lo, exec_lo, s7
	s_cbranch_execz .LBB69_55
.LBB69_6:                               ; =>This Loop Header: Depth=1
                                        ;     Child Loop BB69_19 Depth 2
                                        ;     Child Loop BB69_24 Depth 2
	;; [unrolled: 1-line block ×8, first 2 shown]
	v_add_co_u32 v20, vcc_lo, v20, 1
	s_delay_alu instid0(VALU_DEP_1) | instskip(SKIP_2) | instid1(VALU_DEP_1)
	v_cndmask_b32_e64 v8, 0, 1, vcc_lo
	v_add_co_ci_u32_e32 v21, vcc_lo, 0, v21, vcc_lo
	s_mov_b32 s0, exec_lo
	v_cmp_eq_u32_e32 vcc_lo, 0, v21
	s_delay_alu instid0(VALU_DEP_3) | instskip(NEXT) | instid1(VALU_DEP_1)
	v_cndmask_b32_e32 v8, 0, v8, vcc_lo
	v_add_nc_u32_e32 v43, v8, v43
	s_delay_alu instid0(VALU_DEP_1) | instskip(SKIP_2) | instid1(VALU_DEP_2)
	v_cmp_eq_u32_e32 vcc_lo, 0, v43
	v_cndmask_b32_e32 v8, 0, v8, vcc_lo
	v_mad_u64_u32 v[10:11], null, 0xcd9e8d57, v43, 0
	v_add_nc_u32_e32 v44, v8, v44
	v_mad_u64_u32 v[8:9], null, 0xd2511f53, v20, 0
	s_delay_alu instid0(VALU_DEP_3) | instskip(NEXT) | instid1(VALU_DEP_2)
	v_xor3_b32 v13, v11, v15, v21
	v_xor_b32_e32 v9, v9, v16
	s_delay_alu instid0(VALU_DEP_2) | instskip(NEXT) | instid1(VALU_DEP_2)
	v_mad_u64_u32 v[11:12], null, 0xd2511f53, v13, 0
	v_xor_b32_e32 v9, v44, v9
	s_delay_alu instid0(VALU_DEP_2) | instskip(NEXT) | instid1(VALU_DEP_2)
	v_xor3_b32 v12, v22, v12, v8
	v_mad_u64_u32 v[13:14], null, 0xcd9e8d57, v9, 0
	s_delay_alu instid0(VALU_DEP_2) | instskip(NEXT) | instid1(VALU_DEP_2)
	v_mad_u64_u32 v[8:9], null, 0xcd9e8d57, v12, 0
	v_xor3_b32 v10, v23, v14, v10
	s_delay_alu instid0(VALU_DEP_2) | instskip(NEXT) | instid1(VALU_DEP_2)
	v_xor3_b32 v12, v24, v9, v13
	v_mad_u64_u32 v[18:19], null, 0xd2511f53, v10, 0
	s_delay_alu instid0(VALU_DEP_2) | instskip(NEXT) | instid1(VALU_DEP_2)
	v_mad_u64_u32 v[9:10], null, 0xd2511f53, v12, 0
	v_xor3_b32 v13, v25, v19, v11
	s_delay_alu instid0(VALU_DEP_2) | instskip(NEXT) | instid1(VALU_DEP_2)
	v_xor3_b32 v10, v26, v10, v18
	v_mad_u64_u32 v[11:12], null, 0xcd9e8d57, v13, 0
	s_delay_alu instid0(VALU_DEP_1) | instskip(NEXT) | instid1(VALU_DEP_3)
	v_xor3_b32 v8, v29, v12, v8
	v_mad_u64_u32 v[12:13], null, 0xcd9e8d57, v10, 0
	s_delay_alu instid0(VALU_DEP_2) | instskip(NEXT) | instid1(VALU_DEP_2)
	v_mad_u64_u32 v[18:19], null, 0xd2511f53, v8, 0
	v_xor3_b32 v10, v32, v13, v11
	s_delay_alu instid0(VALU_DEP_2) | instskip(NEXT) | instid1(VALU_DEP_2)
	v_xor3_b32 v13, v33, v19, v9
	v_mad_u64_u32 v[8:9], null, 0xd2511f53, v10, 0
	s_delay_alu instid0(VALU_DEP_2) | instskip(NEXT) | instid1(VALU_DEP_2)
	v_mad_u64_u32 v[10:11], null, 0xcd9e8d57, v13, 0
	v_xor3_b32 v9, v35, v9, v18
	s_delay_alu instid0(VALU_DEP_2) | instskip(NEXT) | instid1(VALU_DEP_2)
	;; [unrolled: 6-line block ×6, first 2 shown]
	v_xor3_b32 v8, v10, v11, v30
	v_mov_b32_e32 v10, v14
	v_cmpx_lt_i32_e32 1, v28
	s_xor_b32 s0, exec_lo, s0
	s_cbranch_execnz .LBB69_9
; %bb.7:                                ;   in Loop: Header=BB69_6 Depth=1
	s_and_not1_saveexec_b32 s0, s0
	s_cbranch_execnz .LBB69_14
.LBB69_8:                               ;   in Loop: Header=BB69_6 Depth=1
	s_or_b32 exec_lo, exec_lo, s0
	v_cmp_gt_u32_e64 s3, s4, v17
	s_delay_alu instid0(VALU_DEP_1)
	s_and_saveexec_b32 s2, s3
	s_cbranch_execnz .LBB69_17
	s_branch .LBB69_21
.LBB69_9:                               ;   in Loop: Header=BB69_6 Depth=1
	s_mov_b32 s1, exec_lo
	v_cmpx_lt_i32_e32 2, v28
	s_xor_b32 s1, exec_lo, s1
; %bb.10:                               ;   in Loop: Header=BB69_6 Depth=1
	v_dual_mov_b32 v11, v7 :: v_dual_mov_b32 v12, v8
	v_mov_b32_e32 v13, v9
	s_delay_alu instid0(VALU_DEP_2) | instskip(NEXT) | instid1(VALU_DEP_2)
	v_dual_mov_b32 v4, v11 :: v_dual_mov_b32 v5, v12
	v_dual_mov_b32 v6, v13 :: v_dual_mov_b32 v7, v14
; %bb.11:                               ;   in Loop: Header=BB69_6 Depth=1
	s_and_not1_saveexec_b32 s1, s1
; %bb.12:                               ;   in Loop: Header=BB69_6 Depth=1
	s_delay_alu instid0(VALU_DEP_1)
	v_dual_mov_b32 v4, v6 :: v_dual_mov_b32 v5, v7
	v_dual_mov_b32 v6, v8 :: v_dual_mov_b32 v7, v9
; %bb.13:                               ;   in Loop: Header=BB69_6 Depth=1
	s_or_b32 exec_lo, exec_lo, s1
	s_and_not1_saveexec_b32 s0, s0
	s_cbranch_execz .LBB69_8
.LBB69_14:                              ;   in Loop: Header=BB69_6 Depth=1
	s_mov_b32 s1, exec_lo
	v_cmpx_eq_u32_e32 1, v28
; %bb.15:                               ;   in Loop: Header=BB69_6 Depth=1
	v_dual_mov_b32 v4, v5 :: v_dual_mov_b32 v5, v6
	v_dual_mov_b32 v6, v7 :: v_dual_mov_b32 v7, v8
; %bb.16:                               ;   in Loop: Header=BB69_6 Depth=1
	s_or_b32 exec_lo, exec_lo, s1
	s_delay_alu instid0(SALU_CYCLE_1) | instskip(SKIP_1) | instid1(VALU_DEP_1)
	s_or_b32 exec_lo, exec_lo, s0
	v_cmp_gt_u32_e64 s3, s4, v17
	s_and_saveexec_b32 s2, s3
	s_cbranch_execz .LBB69_21
.LBB69_17:                              ;   in Loop: Header=BB69_6 Depth=1
	v_dual_mov_b32 v0, 0 :: v_dual_mov_b32 v11, v17
	s_and_not1_b32 vcc_lo, exec_lo, s25
	s_cbranch_vccnz .LBB69_20
; %bb.18:                               ;   in Loop: Header=BB69_6 Depth=1
	v_dual_mov_b32 v0, 0 :: v_dual_mov_b32 v11, v17
	s_mov_b64 s[0:1], s[14:15]
	s_mov_b32 s18, s27
	s_set_inst_prefetch_distance 0x1
	.p2align	6
.LBB69_19:                              ;   Parent Loop BB69_6 Depth=1
                                        ; =>  This Inner Loop Header: Depth=2
	s_clause 0x1
	s_load_b32 s19, s[0:1], 0x0
	s_load_b32 s28, s[0:1], 0x64
	s_add_i32 s18, s18, -1
	s_waitcnt lgkmcnt(0)
	v_cvt_f32_u32_e32 v12, s19
	s_sub_i32 s29, 0, s19
	s_add_u32 s0, s0, -4
	s_addc_u32 s1, s1, -1
	s_cmp_gt_u32 s18, 2
	v_rcp_iflag_f32_e32 v12, v12
	s_waitcnt_depctr 0xfff
	v_mul_f32_e32 v12, 0x4f7ffffe, v12
	s_delay_alu instid0(VALU_DEP_1) | instskip(NEXT) | instid1(VALU_DEP_1)
	v_cvt_u32_f32_e32 v12, v12
	v_mul_lo_u32 v13, s29, v12
	s_delay_alu instid0(VALU_DEP_1) | instskip(NEXT) | instid1(VALU_DEP_1)
	v_mul_hi_u32 v13, v12, v13
	v_dual_mov_b32 v14, v11 :: v_dual_add_nc_u32 v11, v12, v13
	s_delay_alu instid0(VALU_DEP_1) | instskip(NEXT) | instid1(VALU_DEP_1)
	v_mul_hi_u32 v11, v14, v11
	v_mul_lo_u32 v12, v11, s19
	v_add_nc_u32_e32 v13, 1, v11
	s_delay_alu instid0(VALU_DEP_2) | instskip(NEXT) | instid1(VALU_DEP_1)
	v_sub_nc_u32_e32 v12, v14, v12
	v_subrev_nc_u32_e32 v19, s19, v12
	v_cmp_le_u32_e32 vcc_lo, s19, v12
	s_delay_alu instid0(VALU_DEP_2) | instskip(NEXT) | instid1(VALU_DEP_1)
	v_dual_cndmask_b32 v11, v11, v13 :: v_dual_cndmask_b32 v12, v12, v19
	v_add_nc_u32_e32 v13, 1, v11
	s_delay_alu instid0(VALU_DEP_2) | instskip(NEXT) | instid1(VALU_DEP_2)
	v_cmp_le_u32_e32 vcc_lo, s19, v12
	v_cndmask_b32_e32 v11, v11, v13, vcc_lo
	s_delay_alu instid0(VALU_DEP_1) | instskip(NEXT) | instid1(VALU_DEP_1)
	v_mul_lo_u32 v12, v11, s19
	v_sub_nc_u32_e32 v14, v14, v12
	s_delay_alu instid0(VALU_DEP_1) | instskip(NEXT) | instid1(VALU_DEP_1)
	v_mad_u64_u32 v[12:13], null, s28, v14, v[0:1]
	v_mov_b32_e32 v0, v12
	s_cbranch_scc1 .LBB69_19
.LBB69_20:                              ;   in Loop: Header=BB69_6 Depth=1
	s_set_inst_prefetch_distance 0x2
	s_delay_alu instid0(VALU_DEP_1) | instskip(SKIP_1) | instid1(VALU_DEP_1)
	v_mad_u64_u32 v[12:13], null, s24, v11, v[0:1]
	v_mov_b32_e32 v13, v27
	v_lshlrev_b64 v[11:12], 2, v[12:13]
	s_delay_alu instid0(VALU_DEP_1) | instskip(NEXT) | instid1(VALU_DEP_2)
	v_add_co_u32 v11, vcc_lo, s12, v11
	v_add_co_ci_u32_e32 v12, vcc_lo, s13, v12, vcc_lo
	global_load_b32 v0, v[11:12], off
.LBB69_21:                              ;   in Loop: Header=BB69_6 Depth=1
	s_or_b32 exec_lo, exec_lo, s2
	v_add_nc_u32_e32 v14, s20, v17
	s_delay_alu instid0(VALU_DEP_1) | instskip(NEXT) | instid1(VALU_DEP_1)
	v_cmp_gt_u32_e64 s2, s4, v14
	s_and_saveexec_b32 s18, s2
	s_cbranch_execz .LBB69_26
; %bb.22:                               ;   in Loop: Header=BB69_6 Depth=1
	v_mov_b32_e32 v1, 0
	v_mov_b32_e32 v11, v14
	s_and_not1_b32 vcc_lo, exec_lo, s25
	s_cbranch_vccnz .LBB69_25
; %bb.23:                               ;   in Loop: Header=BB69_6 Depth=1
	v_mov_b32_e32 v1, 0
	v_mov_b32_e32 v11, v14
	s_mov_b64 s[0:1], s[14:15]
	s_mov_b32 s19, s27
	s_set_inst_prefetch_distance 0x1
	.p2align	6
.LBB69_24:                              ;   Parent Loop BB69_6 Depth=1
                                        ; =>  This Inner Loop Header: Depth=2
	s_clause 0x1
	s_load_b32 s28, s[0:1], 0x0
	s_load_b32 s29, s[0:1], 0x64
	s_add_i32 s19, s19, -1
	v_mov_b32_e32 v19, v11
	s_waitcnt lgkmcnt(0)
	v_cvt_f32_u32_e32 v12, s28
	s_sub_i32 s30, 0, s28
	s_add_u32 s0, s0, -4
	s_addc_u32 s1, s1, -1
	s_cmp_gt_u32 s19, 2
	v_rcp_iflag_f32_e32 v12, v12
	s_waitcnt_depctr 0xfff
	v_mul_f32_e32 v12, 0x4f7ffffe, v12
	s_delay_alu instid0(VALU_DEP_1) | instskip(NEXT) | instid1(VALU_DEP_1)
	v_cvt_u32_f32_e32 v12, v12
	v_mul_lo_u32 v13, s30, v12
	s_delay_alu instid0(VALU_DEP_1) | instskip(NEXT) | instid1(VALU_DEP_1)
	v_mul_hi_u32 v13, v12, v13
	v_add_nc_u32_e32 v11, v12, v13
	s_delay_alu instid0(VALU_DEP_1) | instskip(NEXT) | instid1(VALU_DEP_1)
	v_mul_hi_u32 v11, v19, v11
	v_mul_lo_u32 v12, v11, s28
	s_delay_alu instid0(VALU_DEP_1) | instskip(NEXT) | instid1(VALU_DEP_1)
	v_sub_nc_u32_e32 v12, v19, v12
	v_subrev_nc_u32_e32 v45, s28, v12
	v_cmp_le_u32_e32 vcc_lo, s28, v12
	s_delay_alu instid0(VALU_DEP_2) | instskip(NEXT) | instid1(VALU_DEP_1)
	v_dual_cndmask_b32 v12, v12, v45 :: v_dual_add_nc_u32 v13, 1, v11
	v_cndmask_b32_e32 v11, v11, v13, vcc_lo
	s_delay_alu instid0(VALU_DEP_2) | instskip(NEXT) | instid1(VALU_DEP_2)
	v_cmp_le_u32_e32 vcc_lo, s28, v12
	v_add_nc_u32_e32 v13, 1, v11
	s_delay_alu instid0(VALU_DEP_1) | instskip(NEXT) | instid1(VALU_DEP_1)
	v_cndmask_b32_e32 v11, v11, v13, vcc_lo
	v_mul_lo_u32 v12, v11, s28
	s_delay_alu instid0(VALU_DEP_1) | instskip(NEXT) | instid1(VALU_DEP_1)
	v_sub_nc_u32_e32 v19, v19, v12
	v_mad_u64_u32 v[12:13], null, s29, v19, v[1:2]
	s_delay_alu instid0(VALU_DEP_1)
	v_mov_b32_e32 v1, v12
	s_cbranch_scc1 .LBB69_24
.LBB69_25:                              ;   in Loop: Header=BB69_6 Depth=1
	s_set_inst_prefetch_distance 0x2
	s_delay_alu instid0(VALU_DEP_1) | instskip(SKIP_1) | instid1(VALU_DEP_1)
	v_mad_u64_u32 v[12:13], null, s24, v11, v[1:2]
	v_mov_b32_e32 v13, v27
	v_lshlrev_b64 v[11:12], 2, v[12:13]
	s_delay_alu instid0(VALU_DEP_1) | instskip(NEXT) | instid1(VALU_DEP_2)
	v_add_co_u32 v11, vcc_lo, s12, v11
	v_add_co_ci_u32_e32 v12, vcc_lo, s13, v12, vcc_lo
	global_load_b32 v1, v[11:12], off
.LBB69_26:                              ;   in Loop: Header=BB69_6 Depth=1
	s_or_b32 exec_lo, exec_lo, s18
	v_add_nc_u32_e32 v13, s20, v14
	s_delay_alu instid0(VALU_DEP_1) | instskip(NEXT) | instid1(VALU_DEP_1)
	v_cmp_gt_u32_e64 s1, s4, v13
	s_and_saveexec_b32 s0, s1
	s_cbranch_execz .LBB69_31
; %bb.27:                               ;   in Loop: Header=BB69_6 Depth=1
	v_dual_mov_b32 v2, 0 :: v_dual_mov_b32 v11, v13
	s_and_not1_b32 vcc_lo, exec_lo, s25
	s_cbranch_vccnz .LBB69_30
; %bb.28:                               ;   in Loop: Header=BB69_6 Depth=1
	v_dual_mov_b32 v2, 0 :: v_dual_mov_b32 v11, v13
	s_mov_b64 s[18:19], s[14:15]
	s_mov_b32 s28, s27
	s_set_inst_prefetch_distance 0x1
	.p2align	6
.LBB69_29:                              ;   Parent Loop BB69_6 Depth=1
                                        ; =>  This Inner Loop Header: Depth=2
	s_clause 0x1
	s_load_b32 s29, s[18:19], 0x0
	s_load_b32 s30, s[18:19], 0x64
	s_add_i32 s28, s28, -1
	v_mov_b32_e32 v45, v11
	s_waitcnt lgkmcnt(0)
	v_cvt_f32_u32_e32 v12, s29
	s_sub_i32 s31, 0, s29
	s_add_u32 s18, s18, -4
	s_addc_u32 s19, s19, -1
	s_cmp_gt_u32 s28, 2
	v_rcp_iflag_f32_e32 v12, v12
	s_waitcnt_depctr 0xfff
	v_mul_f32_e32 v12, 0x4f7ffffe, v12
	s_delay_alu instid0(VALU_DEP_1) | instskip(NEXT) | instid1(VALU_DEP_1)
	v_cvt_u32_f32_e32 v12, v12
	v_mul_lo_u32 v19, s31, v12
	s_delay_alu instid0(VALU_DEP_1) | instskip(NEXT) | instid1(VALU_DEP_1)
	v_mul_hi_u32 v19, v12, v19
	v_add_nc_u32_e32 v11, v12, v19
	s_delay_alu instid0(VALU_DEP_1) | instskip(NEXT) | instid1(VALU_DEP_1)
	v_mul_hi_u32 v11, v45, v11
	v_mul_lo_u32 v12, v11, s29
	s_delay_alu instid0(VALU_DEP_1) | instskip(NEXT) | instid1(VALU_DEP_1)
	v_sub_nc_u32_e32 v12, v45, v12
	v_subrev_nc_u32_e32 v46, s29, v12
	v_cmp_le_u32_e32 vcc_lo, s29, v12
	s_delay_alu instid0(VALU_DEP_2) | instskip(NEXT) | instid1(VALU_DEP_1)
	v_dual_cndmask_b32 v12, v12, v46 :: v_dual_add_nc_u32 v19, 1, v11
	v_cndmask_b32_e32 v11, v11, v19, vcc_lo
	s_delay_alu instid0(VALU_DEP_2) | instskip(NEXT) | instid1(VALU_DEP_2)
	v_cmp_le_u32_e32 vcc_lo, s29, v12
	v_add_nc_u32_e32 v19, 1, v11
	s_delay_alu instid0(VALU_DEP_1) | instskip(NEXT) | instid1(VALU_DEP_1)
	v_cndmask_b32_e32 v11, v11, v19, vcc_lo
	v_mul_lo_u32 v12, v11, s29
	s_delay_alu instid0(VALU_DEP_1) | instskip(NEXT) | instid1(VALU_DEP_1)
	v_sub_nc_u32_e32 v12, v45, v12
	v_mad_u64_u32 v[45:46], null, s30, v12, v[2:3]
	s_delay_alu instid0(VALU_DEP_1)
	v_mov_b32_e32 v2, v45
	s_cbranch_scc1 .LBB69_29
.LBB69_30:                              ;   in Loop: Header=BB69_6 Depth=1
	s_set_inst_prefetch_distance 0x2
	s_delay_alu instid0(VALU_DEP_1) | instskip(SKIP_1) | instid1(VALU_DEP_1)
	v_mad_u64_u32 v[45:46], null, s24, v11, v[2:3]
	v_mov_b32_e32 v46, v27
	v_lshlrev_b64 v[11:12], 2, v[45:46]
	s_delay_alu instid0(VALU_DEP_1) | instskip(NEXT) | instid1(VALU_DEP_2)
	v_add_co_u32 v11, vcc_lo, s12, v11
	v_add_co_ci_u32_e32 v12, vcc_lo, s13, v12, vcc_lo
	global_load_b32 v2, v[11:12], off
.LBB69_31:                              ;   in Loop: Header=BB69_6 Depth=1
	s_or_b32 exec_lo, exec_lo, s0
	v_add_nc_u32_e32 v12, s20, v13
	s_delay_alu instid0(VALU_DEP_1) | instskip(NEXT) | instid1(VALU_DEP_1)
	v_cmp_gt_u32_e64 s0, s4, v12
	s_and_saveexec_b32 s28, s0
	s_cbranch_execnz .LBB69_36
; %bb.32:                               ;   in Loop: Header=BB69_6 Depth=1
	s_or_b32 exec_lo, exec_lo, s28
	s_and_saveexec_b32 s28, s3
	s_cbranch_execnz .LBB69_40
.LBB69_33:                              ;   in Loop: Header=BB69_6 Depth=1
	s_or_b32 exec_lo, exec_lo, s28
	s_and_saveexec_b32 s18, s2
	s_cbranch_execnz .LBB69_44
.LBB69_34:                              ;   in Loop: Header=BB69_6 Depth=1
	s_or_b32 exec_lo, exec_lo, s18
	s_and_saveexec_b32 s18, s1
	s_cbranch_execnz .LBB69_48
.LBB69_35:                              ;   in Loop: Header=BB69_6 Depth=1
	s_or_b32 exec_lo, exec_lo, s18
	s_and_saveexec_b32 s2, s0
	s_cbranch_execz .LBB69_5
	s_branch .LBB69_52
.LBB69_36:                              ;   in Loop: Header=BB69_6 Depth=1
	v_mov_b32_e32 v3, 0
	v_mov_b32_e32 v11, v12
	s_and_not1_b32 vcc_lo, exec_lo, s25
	s_cbranch_vccnz .LBB69_39
; %bb.37:                               ;   in Loop: Header=BB69_6 Depth=1
	v_mov_b32_e32 v3, 0
	v_mov_b32_e32 v11, v12
	s_mov_b64 s[18:19], s[14:15]
	s_mov_b32 s29, s27
	s_set_inst_prefetch_distance 0x1
	.p2align	6
.LBB69_38:                              ;   Parent Loop BB69_6 Depth=1
                                        ; =>  This Inner Loop Header: Depth=2
	s_clause 0x1
	s_load_b32 s30, s[18:19], 0x0
	s_load_b32 s31, s[18:19], 0x64
	s_add_i32 s29, s29, -1
	v_mov_b32_e32 v46, v11
	s_waitcnt lgkmcnt(0)
	v_cvt_f32_u32_e32 v19, s30
	s_sub_i32 s33, 0, s30
	s_add_u32 s18, s18, -4
	s_addc_u32 s19, s19, -1
	s_cmp_gt_u32 s29, 2
	v_rcp_iflag_f32_e32 v19, v19
	s_waitcnt_depctr 0xfff
	v_mul_f32_e32 v19, 0x4f7ffffe, v19
	s_delay_alu instid0(VALU_DEP_1) | instskip(NEXT) | instid1(VALU_DEP_1)
	v_cvt_u32_f32_e32 v19, v19
	v_mul_lo_u32 v45, s33, v19
	s_delay_alu instid0(VALU_DEP_1) | instskip(NEXT) | instid1(VALU_DEP_1)
	v_mul_hi_u32 v45, v19, v45
	v_add_nc_u32_e32 v11, v19, v45
	s_delay_alu instid0(VALU_DEP_1) | instskip(NEXT) | instid1(VALU_DEP_1)
	v_mul_hi_u32 v11, v46, v11
	v_mul_lo_u32 v19, v11, s30
	v_add_nc_u32_e32 v45, 1, v11
	s_delay_alu instid0(VALU_DEP_2) | instskip(NEXT) | instid1(VALU_DEP_1)
	v_sub_nc_u32_e32 v19, v46, v19
	v_subrev_nc_u32_e32 v47, s30, v19
	v_cmp_le_u32_e32 vcc_lo, s30, v19
	s_delay_alu instid0(VALU_DEP_4) | instskip(NEXT) | instid1(VALU_DEP_3)
	v_cndmask_b32_e32 v11, v11, v45, vcc_lo
	v_cndmask_b32_e32 v19, v19, v47, vcc_lo
	s_delay_alu instid0(VALU_DEP_2) | instskip(NEXT) | instid1(VALU_DEP_2)
	v_add_nc_u32_e32 v45, 1, v11
	v_cmp_le_u32_e32 vcc_lo, s30, v19
	s_delay_alu instid0(VALU_DEP_2) | instskip(NEXT) | instid1(VALU_DEP_1)
	v_cndmask_b32_e32 v11, v11, v45, vcc_lo
	v_mul_lo_u32 v19, v11, s30
	s_delay_alu instid0(VALU_DEP_1) | instskip(NEXT) | instid1(VALU_DEP_1)
	v_sub_nc_u32_e32 v19, v46, v19
	v_mad_u64_u32 v[45:46], null, s31, v19, v[3:4]
	s_delay_alu instid0(VALU_DEP_1)
	v_mov_b32_e32 v3, v45
	s_cbranch_scc1 .LBB69_38
.LBB69_39:                              ;   in Loop: Header=BB69_6 Depth=1
	s_set_inst_prefetch_distance 0x2
	s_delay_alu instid0(VALU_DEP_1) | instskip(SKIP_1) | instid1(VALU_DEP_1)
	v_mad_u64_u32 v[45:46], null, s24, v11, v[3:4]
	v_mov_b32_e32 v46, v27
	v_lshlrev_b64 v[45:46], 2, v[45:46]
	s_delay_alu instid0(VALU_DEP_1) | instskip(NEXT) | instid1(VALU_DEP_2)
	v_add_co_u32 v45, vcc_lo, s12, v45
	v_add_co_ci_u32_e32 v46, vcc_lo, s13, v46, vcc_lo
	global_load_b32 v3, v[45:46], off
	s_or_b32 exec_lo, exec_lo, s28
	s_and_saveexec_b32 s28, s3
	s_cbranch_execz .LBB69_33
.LBB69_40:                              ;   in Loop: Header=BB69_6 Depth=1
	v_mov_b32_e32 v11, 0
	v_mov_b32_e32 v19, v17
	s_and_not1_b32 vcc_lo, exec_lo, s26
	s_cbranch_vccnz .LBB69_43
; %bb.41:                               ;   in Loop: Header=BB69_6 Depth=1
	v_mov_b32_e32 v11, 0
	v_mov_b32_e32 v19, v17
	s_mov_b64 s[18:19], s[16:17]
	s_mov_b32 s3, s6
	s_set_inst_prefetch_distance 0x1
	.p2align	6
.LBB69_42:                              ;   Parent Loop BB69_6 Depth=1
                                        ; =>  This Inner Loop Header: Depth=2
	s_clause 0x1
	s_load_b32 s29, s[18:19], 0x0
	s_load_b32 s30, s[18:19], 0x64
	v_mov_b32_e32 v47, v19
	s_add_i32 s3, s3, -1
	s_waitcnt lgkmcnt(0)
	v_cvt_f32_u32_e32 v45, s29
	s_sub_i32 s31, 0, s29
	s_add_u32 s18, s18, -4
	s_addc_u32 s19, s19, -1
	s_cmp_gt_u32 s3, 2
	v_rcp_iflag_f32_e32 v45, v45
	s_waitcnt_depctr 0xfff
	v_mul_f32_e32 v45, 0x4f7ffffe, v45
	s_delay_alu instid0(VALU_DEP_1) | instskip(NEXT) | instid1(VALU_DEP_1)
	v_cvt_u32_f32_e32 v45, v45
	v_mul_lo_u32 v46, s31, v45
	s_delay_alu instid0(VALU_DEP_1) | instskip(NEXT) | instid1(VALU_DEP_1)
	v_mul_hi_u32 v46, v45, v46
	v_add_nc_u32_e32 v19, v45, v46
	s_delay_alu instid0(VALU_DEP_1) | instskip(NEXT) | instid1(VALU_DEP_1)
	v_mul_hi_u32 v19, v47, v19
	v_add_nc_u32_e32 v46, 1, v19
	v_mul_lo_u32 v45, v19, s29
	s_delay_alu instid0(VALU_DEP_1) | instskip(NEXT) | instid1(VALU_DEP_1)
	v_sub_nc_u32_e32 v45, v47, v45
	v_subrev_nc_u32_e32 v48, s29, v45
	v_cmp_le_u32_e32 vcc_lo, s29, v45
	v_cndmask_b32_e32 v19, v19, v46, vcc_lo
	s_delay_alu instid0(VALU_DEP_1) | instskip(NEXT) | instid1(VALU_DEP_1)
	v_dual_cndmask_b32 v45, v45, v48 :: v_dual_add_nc_u32 v46, 1, v19
	v_cmp_le_u32_e32 vcc_lo, s29, v45
	s_delay_alu instid0(VALU_DEP_2) | instskip(NEXT) | instid1(VALU_DEP_1)
	v_cndmask_b32_e32 v19, v19, v46, vcc_lo
	v_mul_lo_u32 v45, v19, s29
	s_delay_alu instid0(VALU_DEP_1) | instskip(NEXT) | instid1(VALU_DEP_1)
	v_sub_nc_u32_e32 v47, v47, v45
	v_mad_u64_u32 v[45:46], null, s30, v47, v[11:12]
	s_delay_alu instid0(VALU_DEP_1)
	v_mov_b32_e32 v11, v45
	s_cbranch_scc1 .LBB69_42
.LBB69_43:                              ;   in Loop: Header=BB69_6 Depth=1
	s_set_inst_prefetch_distance 0x2
	v_cvt_f32_u32_e32 v4, v4
	s_delay_alu instid0(VALU_DEP_2) | instskip(SKIP_1) | instid1(VALU_DEP_3)
	v_mad_u64_u32 v[45:46], null, s23, v19, v[11:12]
	v_mov_b32_e32 v46, v27
	v_fmaak_f32 v4, 0x2f800000, v4, 0x2f800000
	s_delay_alu instid0(VALU_DEP_2) | instskip(NEXT) | instid1(VALU_DEP_2)
	v_lshlrev_b64 v[46:47], 2, v[45:46]
	v_cmp_gt_f32_e32 vcc_lo, s5, v4
	s_delay_alu instid0(VALU_DEP_2) | instskip(SKIP_1) | instid1(VALU_DEP_4)
	v_add_co_u32 v46, s3, s10, v46
	v_cndmask_b32_e64 v4, 0, 1.0, vcc_lo
	v_add_co_ci_u32_e64 v47, s3, s11, v47, s3
	v_cndmask_b32_e64 v11, 0, 1, vcc_lo
	s_waitcnt vmcnt(0)
	s_delay_alu instid0(VALU_DEP_3) | instskip(NEXT) | instid1(VALU_DEP_1)
	v_mul_f32_e32 v4, v0, v4
	v_mul_f32_e32 v4, v42, v4
	global_store_b32 v[46:47], v4, off
	global_store_b8 v45, v11, s[8:9]
	s_or_b32 exec_lo, exec_lo, s28
	s_and_saveexec_b32 s18, s2
	s_cbranch_execz .LBB69_34
.LBB69_44:                              ;   in Loop: Header=BB69_6 Depth=1
	v_mov_b32_e32 v4, 0
	s_and_not1_b32 vcc_lo, exec_lo, s26
	s_cbranch_vccnz .LBB69_47
; %bb.45:                               ;   in Loop: Header=BB69_6 Depth=1
	v_mov_b32_e32 v4, 0
	s_mov_b64 s[2:3], s[16:17]
	s_mov_b32 s19, s6
	s_set_inst_prefetch_distance 0x1
	.p2align	6
.LBB69_46:                              ;   Parent Loop BB69_6 Depth=1
                                        ; =>  This Inner Loop Header: Depth=2
	s_clause 0x1
	s_load_b32 s28, s[2:3], 0x0
	s_load_b32 s29, s[2:3], 0x64
	v_mov_b32_e32 v45, v14
	s_add_i32 s19, s19, -1
	s_waitcnt lgkmcnt(0)
	v_cvt_f32_u32_e32 v11, s28
	s_sub_i32 s30, 0, s28
	s_add_u32 s2, s2, -4
	s_addc_u32 s3, s3, -1
	s_cmp_gt_u32 s19, 2
	v_rcp_iflag_f32_e32 v11, v11
	s_waitcnt_depctr 0xfff
	v_mul_f32_e32 v11, 0x4f7ffffe, v11
	s_delay_alu instid0(VALU_DEP_1) | instskip(NEXT) | instid1(VALU_DEP_1)
	v_cvt_u32_f32_e32 v11, v11
	v_mul_lo_u32 v19, s30, v11
	s_delay_alu instid0(VALU_DEP_1) | instskip(NEXT) | instid1(VALU_DEP_1)
	v_mul_hi_u32 v19, v11, v19
	v_add_nc_u32_e32 v11, v11, v19
	s_delay_alu instid0(VALU_DEP_1) | instskip(NEXT) | instid1(VALU_DEP_1)
	v_mul_hi_u32 v11, v45, v11
	v_mul_lo_u32 v14, v11, s28
	v_add_nc_u32_e32 v19, 1, v11
	s_delay_alu instid0(VALU_DEP_2) | instskip(NEXT) | instid1(VALU_DEP_1)
	v_sub_nc_u32_e32 v14, v45, v14
	v_subrev_nc_u32_e32 v46, s28, v14
	v_cmp_le_u32_e32 vcc_lo, s28, v14
	s_delay_alu instid0(VALU_DEP_2) | instskip(NEXT) | instid1(VALU_DEP_1)
	v_dual_cndmask_b32 v11, v11, v19 :: v_dual_cndmask_b32 v14, v14, v46
	v_add_nc_u32_e32 v19, 1, v11
	s_delay_alu instid0(VALU_DEP_2) | instskip(NEXT) | instid1(VALU_DEP_2)
	v_cmp_le_u32_e32 vcc_lo, s28, v14
	v_cndmask_b32_e32 v14, v11, v19, vcc_lo
	s_delay_alu instid0(VALU_DEP_1) | instskip(NEXT) | instid1(VALU_DEP_1)
	v_mul_lo_u32 v11, v14, s28
	v_sub_nc_u32_e32 v11, v45, v11
	s_delay_alu instid0(VALU_DEP_1) | instskip(NEXT) | instid1(VALU_DEP_1)
	v_mad_u64_u32 v[45:46], null, s29, v11, v[4:5]
	v_mov_b32_e32 v4, v45
	s_cbranch_scc1 .LBB69_46
.LBB69_47:                              ;   in Loop: Header=BB69_6 Depth=1
	s_set_inst_prefetch_distance 0x2
	v_cvt_f32_u32_e32 v5, v5
	s_delay_alu instid0(VALU_DEP_1) | instskip(SKIP_1) | instid1(VALU_DEP_1)
	v_mad_u64_u32 v[45:46], null, s23, v14, v[4:5]
	v_fmaak_f32 v4, 0x2f800000, v5, 0x2f800000
	v_cmp_gt_f32_e32 vcc_lo, s5, v4
	v_cndmask_b32_e64 v11, 0, 1.0, vcc_lo
	v_cndmask_b32_e64 v14, 0, 1, vcc_lo
	s_waitcnt vmcnt(0)
	s_delay_alu instid0(VALU_DEP_2) | instskip(NEXT) | instid1(VALU_DEP_1)
	v_dual_mul_f32 v11, v1, v11 :: v_dual_mov_b32 v46, v27
	v_mul_f32_e32 v11, v42, v11
	s_delay_alu instid0(VALU_DEP_2) | instskip(NEXT) | instid1(VALU_DEP_1)
	v_lshlrev_b64 v[4:5], 2, v[45:46]
	v_add_co_u32 v4, s2, s10, v4
	s_delay_alu instid0(VALU_DEP_1)
	v_add_co_ci_u32_e64 v5, s2, s11, v5, s2
	global_store_b32 v[4:5], v11, off
	global_store_b8 v45, v14, s[8:9]
	s_or_b32 exec_lo, exec_lo, s18
	s_and_saveexec_b32 s18, s1
	s_cbranch_execz .LBB69_35
.LBB69_48:                              ;   in Loop: Header=BB69_6 Depth=1
	v_mov_b32_e32 v4, 0
	s_and_not1_b32 vcc_lo, exec_lo, s26
	s_cbranch_vccnz .LBB69_51
; %bb.49:                               ;   in Loop: Header=BB69_6 Depth=1
	v_mov_b32_e32 v4, 0
	s_mov_b64 s[2:3], s[16:17]
	s_mov_b32 s1, s6
	s_set_inst_prefetch_distance 0x1
	.p2align	6
.LBB69_50:                              ;   Parent Loop BB69_6 Depth=1
                                        ; =>  This Inner Loop Header: Depth=2
	s_clause 0x1
	s_load_b32 s19, s[2:3], 0x0
	s_load_b32 s28, s[2:3], 0x64
	s_add_i32 s1, s1, -1
	v_mov_b32_e32 v14, v13
	s_waitcnt lgkmcnt(0)
	v_cvt_f32_u32_e32 v5, s19
	s_sub_i32 s29, 0, s19
	s_add_u32 s2, s2, -4
	s_addc_u32 s3, s3, -1
	s_cmp_gt_u32 s1, 2
	v_rcp_iflag_f32_e32 v5, v5
	s_waitcnt_depctr 0xfff
	v_mul_f32_e32 v5, 0x4f7ffffe, v5
	s_delay_alu instid0(VALU_DEP_1) | instskip(NEXT) | instid1(VALU_DEP_1)
	v_cvt_u32_f32_e32 v5, v5
	v_mul_lo_u32 v11, s29, v5
	s_delay_alu instid0(VALU_DEP_1) | instskip(NEXT) | instid1(VALU_DEP_1)
	v_mul_hi_u32 v11, v5, v11
	v_add_nc_u32_e32 v5, v5, v11
	s_delay_alu instid0(VALU_DEP_1) | instskip(NEXT) | instid1(VALU_DEP_1)
	v_mul_hi_u32 v5, v14, v5
	v_mul_lo_u32 v11, v5, s19
	v_add_nc_u32_e32 v13, 1, v5
	s_delay_alu instid0(VALU_DEP_2) | instskip(NEXT) | instid1(VALU_DEP_1)
	v_sub_nc_u32_e32 v11, v14, v11
	v_subrev_nc_u32_e32 v19, s19, v11
	v_cmp_le_u32_e32 vcc_lo, s19, v11
	s_delay_alu instid0(VALU_DEP_4) | instskip(NEXT) | instid1(VALU_DEP_3)
	v_cndmask_b32_e32 v5, v5, v13, vcc_lo
	v_cndmask_b32_e32 v11, v11, v19, vcc_lo
	s_delay_alu instid0(VALU_DEP_2) | instskip(NEXT) | instid1(VALU_DEP_2)
	v_add_nc_u32_e32 v13, 1, v5
	v_cmp_le_u32_e32 vcc_lo, s19, v11
	s_delay_alu instid0(VALU_DEP_2) | instskip(NEXT) | instid1(VALU_DEP_1)
	v_cndmask_b32_e32 v13, v5, v13, vcc_lo
	v_mul_lo_u32 v5, v13, s19
	s_delay_alu instid0(VALU_DEP_1) | instskip(NEXT) | instid1(VALU_DEP_1)
	v_sub_nc_u32_e32 v5, v14, v5
	v_mad_u64_u32 v[45:46], null, s28, v5, v[4:5]
	s_delay_alu instid0(VALU_DEP_1)
	v_mov_b32_e32 v4, v45
	s_cbranch_scc1 .LBB69_50
.LBB69_51:                              ;   in Loop: Header=BB69_6 Depth=1
	s_set_inst_prefetch_distance 0x2
	v_cvt_f32_u32_e32 v11, v6
	s_delay_alu instid0(VALU_DEP_2) | instskip(SKIP_1) | instid1(VALU_DEP_3)
	v_mad_u64_u32 v[5:6], null, s23, v13, v[4:5]
	v_mov_b32_e32 v6, v27
	v_fmaak_f32 v4, 0x2f800000, v11, 0x2f800000
	s_delay_alu instid0(VALU_DEP_2) | instskip(NEXT) | instid1(VALU_DEP_2)
	v_lshlrev_b64 v[13:14], 2, v[5:6]
	v_cmp_gt_f32_e32 vcc_lo, s5, v4
	s_delay_alu instid0(VALU_DEP_2) | instskip(SKIP_1) | instid1(VALU_DEP_4)
	v_add_co_u32 v13, s1, s10, v13
	v_cndmask_b32_e64 v4, 0, 1.0, vcc_lo
	v_add_co_ci_u32_e64 v14, s1, s11, v14, s1
	v_cndmask_b32_e64 v6, 0, 1, vcc_lo
	s_waitcnt vmcnt(0)
	s_delay_alu instid0(VALU_DEP_3) | instskip(NEXT) | instid1(VALU_DEP_1)
	v_mul_f32_e32 v4, v2, v4
	v_mul_f32_e32 v4, v42, v4
	global_store_b32 v[13:14], v4, off
	global_store_b8 v5, v6, s[8:9]
	s_or_b32 exec_lo, exec_lo, s18
	s_and_saveexec_b32 s2, s0
	s_cbranch_execz .LBB69_5
.LBB69_52:                              ;   in Loop: Header=BB69_6 Depth=1
	v_mov_b32_e32 v4, 0
	s_and_not1_b32 vcc_lo, exec_lo, s26
	s_cbranch_vccnz .LBB69_4
; %bb.53:                               ;   in Loop: Header=BB69_6 Depth=1
	v_mov_b32_e32 v4, 0
	s_mov_b64 s[0:1], s[16:17]
	s_mov_b32 s3, s6
	s_set_inst_prefetch_distance 0x1
	.p2align	6
.LBB69_54:                              ;   Parent Loop BB69_6 Depth=1
                                        ; =>  This Inner Loop Header: Depth=2
	s_clause 0x1
	s_load_b32 s18, s[0:1], 0x0
	s_load_b32 s19, s[0:1], 0x64
	v_mov_b32_e32 v11, v12
	s_add_i32 s3, s3, -1
	s_waitcnt lgkmcnt(0)
	v_cvt_f32_u32_e32 v5, s18
	s_sub_i32 s28, 0, s18
	s_add_u32 s0, s0, -4
	s_addc_u32 s1, s1, -1
	s_cmp_gt_u32 s3, 2
	v_rcp_iflag_f32_e32 v5, v5
	s_waitcnt_depctr 0xfff
	v_mul_f32_e32 v5, 0x4f7ffffe, v5
	s_delay_alu instid0(VALU_DEP_1) | instskip(NEXT) | instid1(VALU_DEP_1)
	v_cvt_u32_f32_e32 v5, v5
	v_mul_lo_u32 v6, s28, v5
	s_delay_alu instid0(VALU_DEP_1) | instskip(NEXT) | instid1(VALU_DEP_1)
	v_mul_hi_u32 v6, v5, v6
	v_add_nc_u32_e32 v5, v5, v6
	s_delay_alu instid0(VALU_DEP_1) | instskip(NEXT) | instid1(VALU_DEP_1)
	v_mul_hi_u32 v5, v11, v5
	v_mul_lo_u32 v6, v5, s18
	v_add_nc_u32_e32 v12, 1, v5
	s_delay_alu instid0(VALU_DEP_2) | instskip(NEXT) | instid1(VALU_DEP_1)
	v_sub_nc_u32_e32 v6, v11, v6
	v_subrev_nc_u32_e32 v13, s18, v6
	v_cmp_le_u32_e32 vcc_lo, s18, v6
	s_delay_alu instid0(VALU_DEP_2) | instskip(NEXT) | instid1(VALU_DEP_1)
	v_dual_cndmask_b32 v6, v6, v13 :: v_dual_cndmask_b32 v5, v5, v12
	v_cmp_le_u32_e32 vcc_lo, s18, v6
	s_delay_alu instid0(VALU_DEP_2) | instskip(NEXT) | instid1(VALU_DEP_1)
	v_add_nc_u32_e32 v12, 1, v5
	v_cndmask_b32_e32 v12, v5, v12, vcc_lo
	s_delay_alu instid0(VALU_DEP_1) | instskip(NEXT) | instid1(VALU_DEP_1)
	v_mul_lo_u32 v5, v12, s18
	v_sub_nc_u32_e32 v11, v11, v5
	s_delay_alu instid0(VALU_DEP_1) | instskip(NEXT) | instid1(VALU_DEP_1)
	v_mad_u64_u32 v[5:6], null, s19, v11, v[4:5]
	v_mov_b32_e32 v4, v5
	s_cbranch_scc1 .LBB69_54
	s_branch .LBB69_4
.LBB69_55:
	s_endpgm
	.section	.rodata,"a",@progbits
	.p2align	6, 0x0
	.amdhsa_kernel _ZN2at6native12_GLOBAL__N_120fused_dropout_kernelIffjLin1ELin1EhEEvNS_4cuda6detail10TensorInfoIKT_T1_EENS5_IS6_S8_EENS5_IT4_S8_EES8_T0_NS_15PhiloxCudaStateE
		.amdhsa_group_segment_fixed_size 0
		.amdhsa_private_segment_fixed_size 0
		.amdhsa_kernarg_size 944
		.amdhsa_user_sgpr_count 15
		.amdhsa_user_sgpr_dispatch_ptr 0
		.amdhsa_user_sgpr_queue_ptr 0
		.amdhsa_user_sgpr_kernarg_segment_ptr 1
		.amdhsa_user_sgpr_dispatch_id 0
		.amdhsa_user_sgpr_private_segment_size 0
		.amdhsa_wavefront_size32 1
		.amdhsa_uses_dynamic_stack 0
		.amdhsa_enable_private_segment 0
		.amdhsa_system_sgpr_workgroup_id_x 1
		.amdhsa_system_sgpr_workgroup_id_y 0
		.amdhsa_system_sgpr_workgroup_id_z 0
		.amdhsa_system_sgpr_workgroup_info 0
		.amdhsa_system_vgpr_workitem_id 0
		.amdhsa_next_free_vgpr 49
		.amdhsa_next_free_sgpr 34
		.amdhsa_reserve_vcc 1
		.amdhsa_float_round_mode_32 0
		.amdhsa_float_round_mode_16_64 0
		.amdhsa_float_denorm_mode_32 3
		.amdhsa_float_denorm_mode_16_64 3
		.amdhsa_dx10_clamp 1
		.amdhsa_ieee_mode 1
		.amdhsa_fp16_overflow 0
		.amdhsa_workgroup_processor_mode 1
		.amdhsa_memory_ordered 1
		.amdhsa_forward_progress 0
		.amdhsa_shared_vgpr_count 0
		.amdhsa_exception_fp_ieee_invalid_op 0
		.amdhsa_exception_fp_denorm_src 0
		.amdhsa_exception_fp_ieee_div_zero 0
		.amdhsa_exception_fp_ieee_overflow 0
		.amdhsa_exception_fp_ieee_underflow 0
		.amdhsa_exception_fp_ieee_inexact 0
		.amdhsa_exception_int_div_zero 0
	.end_amdhsa_kernel
	.section	.text._ZN2at6native12_GLOBAL__N_120fused_dropout_kernelIffjLin1ELin1EhEEvNS_4cuda6detail10TensorInfoIKT_T1_EENS5_IS6_S8_EENS5_IT4_S8_EES8_T0_NS_15PhiloxCudaStateE,"axG",@progbits,_ZN2at6native12_GLOBAL__N_120fused_dropout_kernelIffjLin1ELin1EhEEvNS_4cuda6detail10TensorInfoIKT_T1_EENS5_IS6_S8_EENS5_IT4_S8_EES8_T0_NS_15PhiloxCudaStateE,comdat
.Lfunc_end69:
	.size	_ZN2at6native12_GLOBAL__N_120fused_dropout_kernelIffjLin1ELin1EhEEvNS_4cuda6detail10TensorInfoIKT_T1_EENS5_IS6_S8_EENS5_IT4_S8_EES8_T0_NS_15PhiloxCudaStateE, .Lfunc_end69-_ZN2at6native12_GLOBAL__N_120fused_dropout_kernelIffjLin1ELin1EhEEvNS_4cuda6detail10TensorInfoIKT_T1_EENS5_IS6_S8_EENS5_IT4_S8_EES8_T0_NS_15PhiloxCudaStateE
                                        ; -- End function
	.section	.AMDGPU.csdata,"",@progbits
; Kernel info:
; codeLenInByte = 4796
; NumSgprs: 36
; NumVgprs: 49
; ScratchSize: 0
; MemoryBound: 0
; FloatMode: 240
; IeeeMode: 1
; LDSByteSize: 0 bytes/workgroup (compile time only)
; SGPRBlocks: 4
; VGPRBlocks: 6
; NumSGPRsForWavesPerEU: 36
; NumVGPRsForWavesPerEU: 49
; Occupancy: 16
; WaveLimiterHint : 1
; COMPUTE_PGM_RSRC2:SCRATCH_EN: 0
; COMPUTE_PGM_RSRC2:USER_SGPR: 15
; COMPUTE_PGM_RSRC2:TRAP_HANDLER: 0
; COMPUTE_PGM_RSRC2:TGID_X_EN: 1
; COMPUTE_PGM_RSRC2:TGID_Y_EN: 0
; COMPUTE_PGM_RSRC2:TGID_Z_EN: 0
; COMPUTE_PGM_RSRC2:TIDIG_COMP_CNT: 0
	.section	.text._ZN2at6native12_GLOBAL__N_124fused_dropout_kernel_vecIN3c104HalfEfjLi1ELi16EhEEvNS_4cuda6detail10TensorInfoIKT_T1_EENS7_IS8_SA_EENS7_IT4_SA_EESA_T0_NS_15PhiloxCudaStateE,"axG",@progbits,_ZN2at6native12_GLOBAL__N_124fused_dropout_kernel_vecIN3c104HalfEfjLi1ELi16EhEEvNS_4cuda6detail10TensorInfoIKT_T1_EENS7_IS8_SA_EENS7_IT4_SA_EESA_T0_NS_15PhiloxCudaStateE,comdat
	.globl	_ZN2at6native12_GLOBAL__N_124fused_dropout_kernel_vecIN3c104HalfEfjLi1ELi16EhEEvNS_4cuda6detail10TensorInfoIKT_T1_EENS7_IS8_SA_EENS7_IT4_SA_EESA_T0_NS_15PhiloxCudaStateE ; -- Begin function _ZN2at6native12_GLOBAL__N_124fused_dropout_kernel_vecIN3c104HalfEfjLi1ELi16EhEEvNS_4cuda6detail10TensorInfoIKT_T1_EENS7_IS8_SA_EENS7_IT4_SA_EESA_T0_NS_15PhiloxCudaStateE
	.p2align	8
	.type	_ZN2at6native12_GLOBAL__N_124fused_dropout_kernel_vecIN3c104HalfEfjLi1ELi16EhEEvNS_4cuda6detail10TensorInfoIKT_T1_EENS7_IS8_SA_EENS7_IT4_SA_EESA_T0_NS_15PhiloxCudaStateE,@function
_ZN2at6native12_GLOBAL__N_124fused_dropout_kernel_vecIN3c104HalfEfjLi1ELi16EhEEvNS_4cuda6detail10TensorInfoIKT_T1_EENS7_IS8_SA_EENS7_IT4_SA_EESA_T0_NS_15PhiloxCudaStateE: ; @_ZN2at6native12_GLOBAL__N_124fused_dropout_kernel_vecIN3c104HalfEfjLi1ELi16EhEEvNS_4cuda6detail10TensorInfoIKT_T1_EENS7_IS8_SA_EENS7_IT4_SA_EESA_T0_NS_15PhiloxCudaStateE
; %bb.0:
	s_clause 0x1
	s_load_b128 s[4:7], s[0:1], 0x290
	s_load_b32 s2, s[0:1], 0x2a8
	s_waitcnt lgkmcnt(0)
	v_dual_mov_b32 v1, s6 :: v_dual_mov_b32 v2, s7
	v_dual_mov_b32 v11, s5 :: v_dual_mov_b32 v10, s4
	s_bitcmp0_b32 s2, 0
	s_cbranch_scc1 .LBB70_2
; %bb.1:
	v_dual_mov_b32 v1, s6 :: v_dual_mov_b32 v2, s7
	v_dual_mov_b32 v3, s4 :: v_dual_mov_b32 v4, s5
	s_load_b64 s[2:3], s[0:1], 0x2a0
	flat_load_b64 v[1:2], v[1:2]
	flat_load_b64 v[10:11], v[3:4]
	s_waitcnt vmcnt(1) lgkmcnt(0)
	v_add_co_u32 v1, vcc_lo, v1, s2
	v_add_co_ci_u32_e32 v2, vcc_lo, s3, v2, vcc_lo
.LBB70_2:
	s_clause 0x1
	s_load_b32 s4, s[0:1], 0x2bc
	s_load_b64 s[16:17], s[0:1], 0x288
	s_add_u32 s2, s0, 0x2b0
	s_addc_u32 s3, s1, 0
	s_mov_b32 s5, exec_lo
	s_waitcnt lgkmcnt(0)
	s_and_b32 s4, s4, 0xffff
	s_delay_alu instid0(SALU_CYCLE_1) | instskip(NEXT) | instid1(VALU_DEP_1)
	v_mad_u64_u32 v[8:9], null, s15, s4, v[0:1]
	v_lshlrev_b32_e32 v12, 4, v8
	s_delay_alu instid0(VALU_DEP_1)
	v_cmpx_gt_u32_e64 s16, v12
	s_cbranch_execz .LBB70_45
; %bb.3:
	v_mad_u64_u32 v[3:4], null, 0xcd9e8d57, v8, 0
	v_alignbit_b32 v20, v2, v1, 2
	v_lshrrev_b32_e32 v9, 2, v2
	s_waitcnt vmcnt(0)
	v_mov_b32_e32 v16, v11
	v_add_co_u32 v22, null, 0x9e3779b9, v10
	v_mad_u64_u32 v[5:6], null, 0xd2511f53, v20, 0
	v_xor3_b32 v0, v10, v4, v9
	s_delay_alu instid0(VALU_DEP_4) | instskip(SKIP_1) | instid1(VALU_DEP_3)
	v_add_co_u32 v21, null, 0xbb67ae85, v16
	v_add_co_u32 v23, null, 0x3c6ef372, v10
	v_mad_u64_u32 v[13:14], null, 0xd2511f53, v0, 0
	v_xor_b32_e32 v0, v6, v11
	v_add_co_u32 v24, null, 0x76cf5d0a, v16
	v_add_co_u32 v25, null, 0x32370b8f, v16
	s_delay_alu instid0(VALU_DEP_3) | instskip(SKIP_3) | instid1(VALU_DEP_3)
	v_mad_u64_u32 v[6:7], null, 0xcd9e8d57, v0, 0
	v_xor3_b32 v0, v21, v14, v5
	v_add_co_u32 v26, null, 0xdaa66d2b, v10
	v_add_co_u32 v27, null, 0x78dde6e4, v10
	v_mad_u64_u32 v[4:5], null, 0xcd9e8d57, v0, 0
	v_xor3_b32 v0, v7, v22, v3
	v_add_co_u32 v28, null, 0xed9eba14, v16
	v_add_co_u32 v29, null, 0xa9066899, v16
	s_delay_alu instid0(VALU_DEP_3) | instskip(SKIP_3) | instid1(VALU_DEP_3)
	v_mad_u64_u32 v[2:3], null, 0xd2511f53, v0, 0
	v_xor3_b32 v0, v23, v5, v6
	v_div_scale_f32 v17, null, s17, s17, 1.0
	v_add_co_u32 v30, null, 0x1715609d, v10
	v_mad_u64_u32 v[5:6], null, 0xd2511f53, v0, 0
	v_xor3_b32 v0, v3, v24, v13
	s_delay_alu instid0(VALU_DEP_4) | instskip(SKIP_2) | instid1(VALU_DEP_3)
	v_rcp_f32_e32 v18, v17
	v_add_co_u32 v31, null, 0xb54cda56, v10
	v_add_co_u32 v32, null, 0x646e171e, v16
	v_mad_u64_u32 v[13:14], null, 0xcd9e8d57, v0, 0
	v_xor3_b32 v0, v25, v6, v2
	v_add_co_u32 v34, null, 0x5384540f, v10
	v_add_co_u32 v35, null, 0xf1bbcdc8, v10
	s_delay_alu instid0(VALU_DEP_3)
	v_mad_u64_u32 v[2:3], null, 0xcd9e8d57, v0, 0
	v_xor3_b32 v0, v14, v26, v4
	s_load_b32 s2, s[2:3], 0x0
	s_clause 0x2
	s_load_b64 s[18:19], s[0:1], 0x0
	s_load_b64 s[20:21], s[0:1], 0xd8
	;; [unrolled: 1-line block ×3, first 2 shown]
	v_add_nc_u32_e32 v37, 0x8ff34781, v10
	v_and_b32_e32 v39, 3, v1
	v_mad_u64_u32 v[6:7], null, 0xd2511f53, v0, 0
	v_xor3_b32 v0, v27, v3, v13
	s_mov_b32 s15, 0
	v_add_nc_u32_e32 v38, 0x96a522ad, v11
	s_delay_alu instid0(VALU_DEP_2) | instskip(NEXT) | instid1(VALU_DEP_4)
	v_mad_u64_u32 v[3:4], null, 0xd2511f53, v0, 0
	v_xor3_b32 v0, v7, v28, v5
	s_delay_alu instid0(VALU_DEP_1) | instskip(NEXT) | instid1(VALU_DEP_3)
	v_mad_u64_u32 v[13:14], null, 0xcd9e8d57, v0, 0
	v_xor3_b32 v0, v29, v4, v6
	s_waitcnt lgkmcnt(0)
	s_mul_i32 s2, s2, s4
	s_delay_alu instid0(SALU_CYCLE_1) | instskip(NEXT) | instid1(VALU_DEP_1)
	s_lshl_b32 s24, s2, 4
	v_mad_u64_u32 v[4:5], null, 0xcd9e8d57, v0, 0
	s_delay_alu instid0(VALU_DEP_3) | instskip(SKIP_1) | instid1(VALU_DEP_2)
	v_xor3_b32 v0, v14, v30, v2
	v_fma_f32 v2, -v17, v18, 1.0
	v_mad_u64_u32 v[6:7], null, 0xd2511f53, v0, 0
	s_delay_alu instid0(VALU_DEP_4) | instskip(SKIP_1) | instid1(VALU_DEP_4)
	v_xor3_b32 v0, v31, v5, v13
	v_div_scale_f32 v5, vcc_lo, 1.0, s17, 1.0
	v_fmac_f32_e32 v18, v2, v18
	s_delay_alu instid0(VALU_DEP_3) | instskip(SKIP_1) | instid1(VALU_DEP_3)
	v_mad_u64_u32 v[13:14], null, 0xd2511f53, v0, 0
	v_xor3_b32 v0, v7, v32, v3
	v_mul_f32_e32 v7, v5, v18
	v_add_co_u32 v33, null, 0x1fd5c5a3, v16
	v_add_co_u32 v36, null, 0xdb3d7428, v16
	s_delay_alu instid0(VALU_DEP_4) | instskip(NEXT) | instid1(VALU_DEP_3)
	v_mad_u64_u32 v[2:3], null, 0xcd9e8d57, v0, 0
	v_xor3_b32 v0, v33, v14, v6
	v_fma_f32 v6, -v17, v7, v5
	s_delay_alu instid0(VALU_DEP_2) | instskip(NEXT) | instid1(VALU_DEP_4)
	v_mad_u64_u32 v[14:15], null, 0xcd9e8d57, v0, 0
	v_xor3_b32 v0, v3, v34, v4
	s_delay_alu instid0(VALU_DEP_1) | instskip(NEXT) | instid1(VALU_DEP_3)
	v_mad_u64_u32 v[3:4], null, 0xd2511f53, v0, 0
	v_xor3_b32 v0, v35, v15, v2
	s_delay_alu instid0(VALU_DEP_1) | instskip(NEXT) | instid1(VALU_DEP_3)
	v_mad_u64_u32 v[15:16], null, 0xd2511f53, v0, 0
	v_xor3_b32 v2, v4, v36, v13
	v_mov_b32_e32 v13, 0
	v_fmac_f32_e32 v7, v6, v18
	s_delay_alu instid0(VALU_DEP_2) | instskip(NEXT) | instid1(VALU_DEP_2)
	v_mov_b32_e32 v19, v13
	v_fma_f32 v4, -v17, v7, v5
	v_mad_u64_u32 v[5:6], null, 0xcd9e8d57, v2, 0
	s_delay_alu instid0(VALU_DEP_2) | instskip(SKIP_1) | instid1(VALU_DEP_3)
	v_div_fmas_f32 v0, v4, v18, v7
	v_mov_b32_e32 v7, v15
	v_xor3_b32 v4, v14, v6, v37
	s_delay_alu instid0(VALU_DEP_3)
	v_div_fixup_f32 v40, v0, s17, 1.0
	v_xor3_b32 v6, v16, v3, v38
	s_branch .LBB70_6
.LBB70_4:                               ;   in Loop: Header=BB70_6 Depth=1
	s_or_b32 exec_lo, exec_lo, s1
	s_delay_alu instid0(VALU_DEP_1)
	v_mov_b32_e32 v7, v48
.LBB70_5:                               ;   in Loop: Header=BB70_6 Depth=1
	s_or_b32 exec_lo, exec_lo, s0
	v_lshlrev_b64 v[47:48], 1, v[12:13]
	v_cvt_f32_u32_e32 v18, v46
	v_cvt_f32_u32_e32 v44, v44
	;; [unrolled: 1-line block ×5, first 2 shown]
	v_add_co_u32 v55, vcc_lo, s18, v47
	v_add_co_ci_u32_e32 v56, vcc_lo, s19, v48, vcc_lo
	v_cvt_f32_u32_e32 v45, v45
	v_cvt_f32_u32_e32 v43, v43
	;; [unrolled: 1-line block ×3, first 2 shown]
	s_clause 0x1
	global_load_b128 v[51:54], v[55:56], off
	global_load_b128 v[55:58], v[55:56], off offset:16
	v_cvt_f32_u32_e32 v41, v41
	v_cvt_f32_u32_e32 v1, v1
	;; [unrolled: 1-line block ×6, first 2 shown]
	v_dual_fmaak_f32 v18, 0x2f800000, v18, 0x2f800000 :: v_dual_fmaak_f32 v43, 0x2f800000, v43, 0x2f800000
	v_dual_fmaak_f32 v44, 0x2f800000, v44, 0x2f800000 :: v_dual_fmaak_f32 v59, 0x2f800000, v14, 0x2f800000
	;; [unrolled: 1-line block ×3, first 2 shown]
	v_add_co_u32 v14, vcc_lo, s20, v47
	v_dual_fmaak_f32 v50, 0x2f800000, v15, 0x2f800000 :: v_dual_fmaak_f32 v45, 0x2f800000, v45, 0x2f800000
	v_add_co_ci_u32_e32 v15, vcc_lo, s21, v48, vcc_lo
	v_cvt_f32_u32_e32 v49, v49
	v_dual_fmaak_f32 v42, 0x2f800000, v42, 0x2f800000 :: v_dual_fmaak_f32 v41, 0x2f800000, v41, 0x2f800000
	v_dual_fmaak_f32 v2, 0x2f800000, v2, 0x2f800000 :: v_dual_fmaak_f32 v3, 0x2f800000, v3, 0x2f800000
	;; [unrolled: 1-line block ×3, first 2 shown]
	v_cmp_gt_f32_e32 vcc_lo, s17, v0
	v_cmp_gt_f32_e64 s8, s17, v18
	v_cmp_gt_f32_e64 s10, s17, v44
	;; [unrolled: 1-line block ×4, first 2 shown]
	v_cndmask_b32_e64 v0, 0, 1.0, vcc_lo
	v_fmaak_f32 v49, 0x2f800000, v49, 0x2f800000
	v_cmp_gt_f32_e64 s4, s17, v43
	v_cmp_gt_f32_e64 s6, s17, v41
	;; [unrolled: 1-line block ×5, first 2 shown]
	v_cndmask_b32_e64 v67, 0, 1, s8
	v_cndmask_b32_e64 v71, 0, 1, s10
	v_cmp_gt_f32_e64 s1, s17, v2
	v_cmp_gt_f32_e64 s3, s17, v59
	;; [unrolled: 1-line block ×5, first 2 shown]
	v_cndmask_b32_e64 v2, 0, 1, s0
	v_cndmask_b32_e64 v45, 0, 1, s2
	;; [unrolled: 1-line block ×7, first 2 shown]
	v_lshlrev_b16 v67, 8, v67
	v_lshlrev_b16 v71, 8, v71
	v_cndmask_b32_e64 v1, 0, 1, vcc_lo
	v_cndmask_b32_e64 v3, 0, 1, s1
	v_cndmask_b32_e64 v46, 0, 1, s3
	;; [unrolled: 1-line block ×4, first 2 shown]
	v_lshlrev_b16 v69, 8, v69
	v_lshlrev_b16 v49, 8, v49
	;; [unrolled: 1-line block ×5, first 2 shown]
	v_or_b32_e32 v66, v66, v67
	v_or_b32_e32 v67, v68, v71
	v_cndmask_b32_e64 v59, 0, 1.0, s3
	v_cndmask_b32_e64 v43, 0, 1.0, s9
	v_or_b32_e32 v69, v72, v69
	v_or_b32_e32 v46, v46, v49
	;; [unrolled: 1-line block ×5, first 2 shown]
	v_and_b32_e32 v64, 0xffff, v66
	v_cvt_f32_u32_e32 v17, v17
	v_cndmask_b32_e64 v47, 0, 1.0, s0
	v_cndmask_b32_e64 v42, 0, 1.0, s5
	;; [unrolled: 1-line block ×4, first 2 shown]
	v_lshlrev_b32_e32 v49, 16, v49
	v_cndmask_b32_e64 v48, 0, 1.0, s1
	v_and_b32_e32 v66, 0xffff, v1
	v_cndmask_b32_e64 v73, 0, 1, s13
	v_cndmask_b32_e64 v41, 0, 1.0, s7
	v_cndmask_b32_e64 v60, 0, 1.0, s2
	;; [unrolled: 1-line block ×7, first 2 shown]
	s_waitcnt vmcnt(0)
	v_lshrrev_b32_e32 v68, 16, v56
	v_cvt_f32_f16_e32 v56, v56
	v_lshlrev_b32_e32 v65, 16, v67
	s_delay_alu instid0(VALU_DEP_2) | instskip(NEXT) | instid1(VALU_DEP_2)
	v_dual_mul_f32 v56, v43, v56 :: v_dual_lshlrev_b32 v67, 16, v2
	v_or_b32_e32 v2, v64, v65
	v_lshrrev_b32_e32 v64, 16, v54
	v_cvt_f32_f16_e32 v54, v54
	v_and_b32_e32 v3, 0xffff, v69
	v_lshrrev_b32_e32 v69, 16, v57
	v_cvt_f32_f16_e32 v57, v57
	v_and_b32_e32 v46, 0xffff, v46
	v_lshrrev_b32_e32 v65, 16, v55
	v_cvt_f32_f16_e32 v55, v55
	s_delay_alu instid0(VALU_DEP_4) | instskip(NEXT) | instid1(VALU_DEP_4)
	v_mul_f32_e32 v7, v7, v57
	v_or_b32_e32 v1, v46, v49
	v_lshrrev_b32_e32 v46, 16, v52
	v_cvt_f32_f16_e32 v52, v52
	v_fmaak_f32 v17, 0x2f800000, v17, 0x2f800000
	v_lshrrev_b32_e32 v49, 16, v53
	v_cvt_f32_f16_e32 v53, v53
	v_cvt_f32_f16_e32 v46, v46
	v_mul_f32_e32 v48, v48, v52
	v_cmp_gt_f32_e64 s14, s17, v17
	v_mul_f32_e32 v52, v42, v54
	v_cvt_f32_f16_e32 v49, v49
	v_cvt_f32_f16_e32 v57, v69
	v_fma_mixlo_f16 v42, v40, v48, 0
	v_cndmask_b32_e64 v70, 0, 1, s14
	v_cndmask_b32_e64 v17, 0, 1.0, s14
	v_dual_mul_f32 v60, v60, v46 :: v_dual_mul_f32 v49, v61, v49
	v_mul_f32_e32 v54, v41, v55
	s_delay_alu instid0(VALU_DEP_4) | instskip(SKIP_3) | instid1(VALU_DEP_4)
	v_lshlrev_b16 v70, 8, v70
	v_cvt_f32_f16_e32 v55, v65
	v_fma_mixlo_f16 v46, v40, v56, 0
	v_fma_mixhi_f16 v42, v40, v60, 0
	v_or_b32_e32 v70, v73, v70
	s_delay_alu instid0(VALU_DEP_1) | instskip(SKIP_2) | instid1(VALU_DEP_3)
	v_dual_mul_f32 v18, v18, v55 :: v_dual_lshlrev_b32 v45, 16, v70
	v_lshrrev_b32_e32 v70, 16, v58
	v_cvt_f32_f16_e32 v58, v58
	v_or_b32_e32 v3, v3, v45
	v_lshrrev_b32_e32 v45, 16, v51
	v_cvt_f32_f16_e32 v51, v51
	s_delay_alu instid0(VALU_DEP_4) | instskip(SKIP_1) | instid1(VALU_DEP_4)
	v_mul_f32_e32 v58, v44, v58
	v_fma_mixlo_f16 v44, v40, v52, 0
	v_cvt_f32_f16_e32 v45, v45
	s_delay_alu instid0(VALU_DEP_4) | instskip(SKIP_3) | instid1(VALU_DEP_4)
	v_dual_mul_f32 v0, v0, v51 :: v_dual_mul_f32 v51, v59, v53
	v_cvt_f32_f16_e32 v53, v64
	v_cvt_f32_f16_e32 v59, v68
	;; [unrolled: 1-line block ×3, first 2 shown]
	v_fma_mixlo_f16 v41, v40, v0, 0
	v_mul_f32_e32 v0, v47, v45
	v_fma_mixlo_f16 v43, v40, v51, 0
	v_mul_f32_e32 v51, v62, v53
	;; [unrolled: 2-line block ×5, first 2 shown]
	v_fma_mixhi_f16 v44, v40, v51, 0
	v_fma_mixhi_f16 v43, v40, v49, 0
	;; [unrolled: 1-line block ×4, first 2 shown]
	v_mov_b32_e32 v7, v16
	v_fma_mixhi_f16 v48, v40, v17, 0
	v_fma_mixhi_f16 v46, v40, v50, 0
	;; [unrolled: 1-line block ×3, first 2 shown]
	v_or_b32_e32 v0, v66, v67
	s_clause 0x1
	global_store_b128 v[14:15], v[41:44], off
	global_store_b128 v[14:15], v[45:48], off offset:16
	global_store_b128 v12, v[0:3], s[22:23]
	v_add_nc_u32_e32 v12, s24, v12
	s_waitcnt_vscnt null, 0x0
	s_barrier
	buffer_gl0_inv
	v_cmp_le_u32_e32 vcc_lo, s16, v12
	s_or_b32 s15, vcc_lo, s15
	s_delay_alu instid0(SALU_CYCLE_1)
	s_and_not1_b32 exec_lo, exec_lo, s15
	s_cbranch_execz .LBB70_45
.LBB70_6:                               ; =>This Inner Loop Header: Depth=1
	v_add_co_u32 v2, vcc_lo, v20, 1
	s_delay_alu instid0(VALU_DEP_1) | instskip(SKIP_2) | instid1(VALU_DEP_1)
	v_cndmask_b32_e64 v0, 0, 1, vcc_lo
	v_add_co_ci_u32_e32 v16, vcc_lo, 0, v9, vcc_lo
	s_mov_b32 s0, exec_lo
	v_cmp_eq_u32_e32 vcc_lo, 0, v16
	s_delay_alu instid0(VALU_DEP_3) | instskip(SKIP_1) | instid1(VALU_DEP_2)
	v_cndmask_b32_e32 v3, 0, v0, vcc_lo
	v_mad_u64_u32 v[0:1], null, 0xd2511f53, v2, 0
	v_add_nc_u32_e32 v18, v3, v8
	s_delay_alu instid0(VALU_DEP_2) | instskip(NEXT) | instid1(VALU_DEP_2)
	v_xor_b32_e32 v8, v1, v11
	v_cmp_eq_u32_e32 vcc_lo, 0, v18
	v_cndmask_b32_e32 v3, 0, v3, vcc_lo
	v_mad_u64_u32 v[1:2], null, 0xcd9e8d57, v18, 0
	s_delay_alu instid0(VALU_DEP_2) | instskip(NEXT) | instid1(VALU_DEP_2)
	v_add_nc_u32_e32 v19, v3, v19
	v_xor3_b32 v14, v2, v10, v16
	s_delay_alu instid0(VALU_DEP_2) | instskip(NEXT) | instid1(VALU_DEP_1)
	v_xor_b32_e32 v8, v19, v8
	v_mad_u64_u32 v[2:3], null, 0xcd9e8d57, v8, 0
	s_delay_alu instid0(VALU_DEP_3) | instskip(NEXT) | instid1(VALU_DEP_2)
	v_mad_u64_u32 v[8:9], null, 0xd2511f53, v14, 0
	v_xor3_b32 v3, v22, v3, v1
	s_delay_alu instid0(VALU_DEP_2) | instskip(NEXT) | instid1(VALU_DEP_2)
	v_xor3_b32 v9, v21, v9, v0
	v_mad_u64_u32 v[0:1], null, 0xd2511f53, v3, 0
	s_delay_alu instid0(VALU_DEP_2) | instskip(NEXT) | instid1(VALU_DEP_2)
	v_mad_u64_u32 v[14:15], null, 0xcd9e8d57, v9, 0
	v_xor3_b32 v3, v24, v1, v8
	s_delay_alu instid0(VALU_DEP_2) | instskip(NEXT) | instid1(VALU_DEP_2)
	v_xor3_b32 v15, v23, v15, v2
	v_mad_u64_u32 v[1:2], null, 0xcd9e8d57, v3, 0
	s_delay_alu instid0(VALU_DEP_2) | instskip(NEXT) | instid1(VALU_DEP_2)
	v_mad_u64_u32 v[8:9], null, 0xd2511f53, v15, 0
	v_xor3_b32 v14, v26, v2, v14
	s_delay_alu instid0(VALU_DEP_2) | instskip(NEXT) | instid1(VALU_DEP_2)
	v_xor3_b32 v0, v25, v9, v0
	v_mad_u64_u32 v[2:3], null, 0xd2511f53, v14, 0
	s_delay_alu instid0(VALU_DEP_2) | instskip(NEXT) | instid1(VALU_DEP_2)
	v_mad_u64_u32 v[14:15], null, 0xcd9e8d57, v0, 0
	v_xor3_b32 v3, v28, v3, v8
	s_delay_alu instid0(VALU_DEP_2) | instskip(NEXT) | instid1(VALU_DEP_2)
	v_xor3_b32 v15, v27, v15, v1
	v_mad_u64_u32 v[0:1], null, 0xcd9e8d57, v3, 0
	s_delay_alu instid0(VALU_DEP_2) | instskip(NEXT) | instid1(VALU_DEP_2)
	v_mad_u64_u32 v[8:9], null, 0xd2511f53, v15, 0
	v_xor3_b32 v3, v30, v1, v14
	s_delay_alu instid0(VALU_DEP_2) | instskip(NEXT) | instid1(VALU_DEP_2)
	v_xor3_b32 v9, v29, v9, v2
	v_mad_u64_u32 v[1:2], null, 0xd2511f53, v3, 0
	s_delay_alu instid0(VALU_DEP_2) | instskip(NEXT) | instid1(VALU_DEP_2)
	v_mad_u64_u32 v[14:15], null, 0xcd9e8d57, v9, 0
	v_xor3_b32 v8, v32, v2, v8
	s_delay_alu instid0(VALU_DEP_2) | instskip(NEXT) | instid1(VALU_DEP_2)
	v_xor3_b32 v0, v31, v15, v0
	v_mad_u64_u32 v[2:3], null, 0xcd9e8d57, v8, 0
	s_delay_alu instid0(VALU_DEP_2) | instskip(NEXT) | instid1(VALU_DEP_2)
	v_mad_u64_u32 v[8:9], null, 0xd2511f53, v0, 0
	v_xor3_b32 v3, v34, v3, v14
	s_delay_alu instid0(VALU_DEP_2) | instskip(NEXT) | instid1(VALU_DEP_2)
	v_xor3_b32 v9, v33, v9, v1
	v_mad_u64_u32 v[0:1], null, 0xd2511f53, v3, 0
	s_delay_alu instid0(VALU_DEP_2) | instskip(NEXT) | instid1(VALU_DEP_2)
	v_mad_u64_u32 v[41:42], null, 0xcd9e8d57, v9, 0
	v_xor3_b32 v1, v36, v1, v8
	s_delay_alu instid0(VALU_DEP_2) | instskip(NEXT) | instid1(VALU_DEP_2)
	v_xor3_b32 v2, v35, v42, v2
	v_mad_u64_u32 v[8:9], null, 0xcd9e8d57, v1, 0
	s_delay_alu instid0(VALU_DEP_2) | instskip(NEXT) | instid1(VALU_DEP_2)
	v_mad_u64_u32 v[14:15], null, 0xd2511f53, v2, 0
	v_xor3_b32 v17, v9, v41, v37
	s_delay_alu instid0(VALU_DEP_2)
	v_xor3_b32 v9, v15, v0, v38
                                        ; implicit-def: $vgpr0_vgpr1_vgpr2_vgpr3
	v_cmpx_lt_i32_e32 1, v39
	s_xor_b32 s0, exec_lo, s0
	s_cbranch_execz .LBB70_12
; %bb.7:                                ;   in Loop: Header=BB70_6 Depth=1
	s_mov_b32 s1, exec_lo
                                        ; implicit-def: $vgpr0_vgpr1_vgpr2_vgpr3
	v_cmpx_lt_i32_e32 2, v39
	s_xor_b32 s1, exec_lo, s1
; %bb.8:                                ;   in Loop: Header=BB70_6 Depth=1
	v_dual_mov_b32 v6, v7 :: v_dual_mov_b32 v7, v17
	s_delay_alu instid0(VALU_DEP_1)
	v_dual_mov_b32 v0, v6 :: v_dual_mov_b32 v1, v7
	v_dual_mov_b32 v2, v8 :: v_dual_mov_b32 v3, v9
                                        ; implicit-def: $vgpr4_vgpr5_vgpr6_vgpr7
; %bb.9:                                ;   in Loop: Header=BB70_6 Depth=1
	s_and_not1_saveexec_b32 s1, s1
; %bb.10:                               ;   in Loop: Header=BB70_6 Depth=1
	v_dual_mov_b32 v0, v6 :: v_dual_mov_b32 v1, v7
	v_dual_mov_b32 v2, v17 :: v_dual_mov_b32 v3, v8
; %bb.11:                               ;   in Loop: Header=BB70_6 Depth=1
	s_or_b32 exec_lo, exec_lo, s1
                                        ; implicit-def: $vgpr4_vgpr5_vgpr6_vgpr7
.LBB70_12:                              ;   in Loop: Header=BB70_6 Depth=1
	s_and_not1_saveexec_b32 s0, s0
	s_cbranch_execz .LBB70_16
; %bb.13:                               ;   in Loop: Header=BB70_6 Depth=1
	s_mov_b32 s1, exec_lo
	v_cmpx_eq_u32_e32 1, v39
; %bb.14:                               ;   in Loop: Header=BB70_6 Depth=1
	v_dual_mov_b32 v4, v5 :: v_dual_mov_b32 v5, v6
	v_dual_mov_b32 v6, v7 :: v_dual_mov_b32 v7, v17
; %bb.15:                               ;   in Loop: Header=BB70_6 Depth=1
	s_or_b32 exec_lo, exec_lo, s1
	s_delay_alu instid0(VALU_DEP_2) | instskip(NEXT) | instid1(VALU_DEP_2)
	v_dual_mov_b32 v0, v4 :: v_dual_mov_b32 v1, v5
	v_dual_mov_b32 v2, v6 :: v_dual_mov_b32 v3, v7
.LBB70_16:                              ;   in Loop: Header=BB70_6 Depth=1
	s_or_b32 exec_lo, exec_lo, s0
	v_add_nc_u32_e32 v6, 2, v20
	s_mov_b32 s0, exec_lo
	s_delay_alu instid0(VALU_DEP_1) | instskip(SKIP_2) | instid1(VALU_DEP_1)
	v_cmp_eq_u32_e32 vcc_lo, 0, v6
	v_cndmask_b32_e64 v4, 0, 1, vcc_lo
	v_add_co_ci_u32_e32 v7, vcc_lo, 0, v16, vcc_lo
	v_cmp_eq_u32_e32 vcc_lo, 0, v7
	s_delay_alu instid0(VALU_DEP_3) | instskip(SKIP_1) | instid1(VALU_DEP_2)
	v_cndmask_b32_e32 v15, 0, v4, vcc_lo
	v_mad_u64_u32 v[4:5], null, 0xd2511f53, v6, 0
	v_add_nc_u32_e32 v18, v15, v18
	s_delay_alu instid0(VALU_DEP_2) | instskip(NEXT) | instid1(VALU_DEP_2)
	v_xor_b32_e32 v5, v5, v11
	v_cmp_eq_u32_e32 vcc_lo, 0, v18
	v_cndmask_b32_e32 v6, 0, v15, vcc_lo
	v_mad_u64_u32 v[15:16], null, 0xcd9e8d57, v18, 0
	s_delay_alu instid0(VALU_DEP_2) | instskip(NEXT) | instid1(VALU_DEP_2)
	v_add_nc_u32_e32 v19, v6, v19
	v_xor3_b32 v16, v16, v10, v7
	s_delay_alu instid0(VALU_DEP_2) | instskip(NEXT) | instid1(VALU_DEP_2)
	v_xor_b32_e32 v43, v19, v5
	v_mad_u64_u32 v[5:6], null, 0xd2511f53, v16, 0
	s_delay_alu instid0(VALU_DEP_2) | instskip(NEXT) | instid1(VALU_DEP_2)
	v_mad_u64_u32 v[41:42], null, 0xcd9e8d57, v43, 0
	v_xor3_b32 v4, v21, v6, v4
	s_delay_alu instid0(VALU_DEP_2) | instskip(NEXT) | instid1(VALU_DEP_2)
	v_xor3_b32 v6, v22, v42, v15
	v_mad_u64_u32 v[15:16], null, 0xcd9e8d57, v4, 0
	s_delay_alu instid0(VALU_DEP_2) | instskip(NEXT) | instid1(VALU_DEP_2)
	v_mad_u64_u32 v[42:43], null, 0xd2511f53, v6, 0
	v_xor3_b32 v6, v23, v16, v41
	s_delay_alu instid0(VALU_DEP_2) | instskip(NEXT) | instid1(VALU_DEP_2)
	v_xor3_b32 v16, v24, v43, v5
	;; [unrolled: 6-line block ×7, first 2 shown]
	v_mad_u64_u32 v[42:43], null, 0xcd9e8d57, v6, 0
	s_delay_alu instid0(VALU_DEP_2) | instskip(NEXT) | instid1(VALU_DEP_2)
	v_mad_u64_u32 v[44:45], null, 0xd2511f53, v4, 0
	v_xor3_b32 v4, v35, v43, v41
                                        ; implicit-def: $vgpr41
                                        ; implicit-def: $vgpr43
	s_delay_alu instid0(VALU_DEP_2) | instskip(NEXT) | instid1(VALU_DEP_2)
	v_xor3_b32 v6, v36, v45, v5
	v_mad_u64_u32 v[15:16], null, 0xd2511f53, v4, 0
	s_delay_alu instid0(VALU_DEP_2) | instskip(NEXT) | instid1(VALU_DEP_2)
	v_mad_u64_u32 v[4:5], null, 0xcd9e8d57, v6, 0
	v_xor3_b32 v6, v16, v44, v38
	s_delay_alu instid0(VALU_DEP_2)
	v_xor3_b32 v5, v5, v42, v37
                                        ; implicit-def: $vgpr42
	v_cmpx_lt_i32_e32 1, v39
	s_xor_b32 s0, exec_lo, s0
	s_cbranch_execz .LBB70_22
; %bb.17:                               ;   in Loop: Header=BB70_6 Depth=1
	s_mov_b32 s1, exec_lo
	v_cmpx_lt_i32_e32 2, v39
	s_xor_b32 s1, exec_lo, s1
; %bb.18:                               ;   in Loop: Header=BB70_6 Depth=1
                                        ; implicit-def: $vgpr9
; %bb.19:                               ;   in Loop: Header=BB70_6 Depth=1
	s_delay_alu instid0(SALU_CYCLE_1)
	s_or_saveexec_b32 s1, s1
	v_dual_mov_b32 v41, v6 :: v_dual_mov_b32 v42, v4
	v_mov_b32_e32 v43, v5
	s_xor_b32 exec_lo, exec_lo, s1
; %bb.20:                               ;   in Loop: Header=BB70_6 Depth=1
	v_dual_mov_b32 v41, v4 :: v_dual_mov_b32 v42, v5
	v_dual_mov_b32 v43, v14 :: v_dual_mov_b32 v14, v9
; %bb.21:                               ;   in Loop: Header=BB70_6 Depth=1
	s_or_b32 exec_lo, exec_lo, s1
                                        ; implicit-def: $vgpr9
                                        ; implicit-def: $vgpr17
.LBB70_22:                              ;   in Loop: Header=BB70_6 Depth=1
	s_and_not1_saveexec_b32 s0, s0
	s_cbranch_execz .LBB70_26
; %bb.23:                               ;   in Loop: Header=BB70_6 Depth=1
	s_delay_alu instid0(VALU_DEP_1)
	v_dual_mov_b32 v41, v14 :: v_dual_mov_b32 v42, v9
	v_mov_b32_e32 v43, v8
	s_mov_b32 s1, exec_lo
	v_cmpx_eq_u32_e32 1, v39
; %bb.24:                               ;   in Loop: Header=BB70_6 Depth=1
	v_dual_mov_b32 v41, v5 :: v_dual_mov_b32 v42, v14
	v_mov_b32_e32 v43, v9
	v_mov_b32_e32 v17, v8
; %bb.25:                               ;   in Loop: Header=BB70_6 Depth=1
	s_or_b32 exec_lo, exec_lo, s1
	s_delay_alu instid0(VALU_DEP_1)
	v_mov_b32_e32 v14, v17
.LBB70_26:                              ;   in Loop: Header=BB70_6 Depth=1
	s_or_b32 exec_lo, exec_lo, s0
	v_add_nc_u32_e32 v17, 3, v20
	s_mov_b32 s0, exec_lo
	s_delay_alu instid0(VALU_DEP_1) | instskip(SKIP_2) | instid1(VALU_DEP_1)
	v_cmp_eq_u32_e32 vcc_lo, 0, v17
	v_cndmask_b32_e64 v8, 0, 1, vcc_lo
	v_add_co_ci_u32_e32 v9, vcc_lo, 0, v7, vcc_lo
	v_cmp_eq_u32_e32 vcc_lo, 0, v9
	s_delay_alu instid0(VALU_DEP_3) | instskip(SKIP_1) | instid1(VALU_DEP_2)
	v_cndmask_b32_e32 v44, 0, v8, vcc_lo
	v_mad_u64_u32 v[7:8], null, 0xd2511f53, v17, 0
	v_add_nc_u32_e32 v16, v44, v18
	s_delay_alu instid0(VALU_DEP_2) | instskip(NEXT) | instid1(VALU_DEP_2)
	v_xor_b32_e32 v8, v8, v11
	v_cmp_eq_u32_e32 vcc_lo, 0, v16
	v_cndmask_b32_e32 v17, 0, v44, vcc_lo
	v_mad_u64_u32 v[44:45], null, 0xcd9e8d57, v16, 0
	s_delay_alu instid0(VALU_DEP_2) | instskip(NEXT) | instid1(VALU_DEP_2)
	v_add_nc_u32_e32 v17, v17, v19
	v_xor3_b32 v45, v45, v10, v9
	s_delay_alu instid0(VALU_DEP_2) | instskip(NEXT) | instid1(VALU_DEP_2)
	v_xor_b32_e32 v8, v17, v8
	v_mad_u64_u32 v[18:19], null, 0xd2511f53, v45, 0
	s_delay_alu instid0(VALU_DEP_2) | instskip(NEXT) | instid1(VALU_DEP_2)
	v_mad_u64_u32 v[45:46], null, 0xcd9e8d57, v8, 0
	v_xor3_b32 v19, v21, v19, v7
	s_delay_alu instid0(VALU_DEP_2) | instskip(NEXT) | instid1(VALU_DEP_2)
	v_xor3_b32 v44, v22, v46, v44
	v_mad_u64_u32 v[7:8], null, 0xcd9e8d57, v19, 0
	s_delay_alu instid0(VALU_DEP_2) | instskip(NEXT) | instid1(VALU_DEP_2)
	v_mad_u64_u32 v[46:47], null, 0xd2511f53, v44, 0
	v_xor3_b32 v8, v23, v8, v45
	s_delay_alu instid0(VALU_DEP_2) | instskip(NEXT) | instid1(VALU_DEP_2)
	v_xor3_b32 v47, v24, v47, v18
	;; [unrolled: 6-line block ×7, first 2 shown]
	v_mad_u64_u32 v[46:47], null, 0xcd9e8d57, v8, 0
	s_delay_alu instid0(VALU_DEP_2) | instskip(NEXT) | instid1(VALU_DEP_2)
	v_mad_u64_u32 v[48:49], null, 0xd2511f53, v7, 0
	v_xor3_b32 v19, v35, v47, v45
                                        ; implicit-def: $vgpr45
	s_delay_alu instid0(VALU_DEP_2) | instskip(NEXT) | instid1(VALU_DEP_2)
	v_xor3_b32 v44, v36, v49, v18
	v_mad_u64_u32 v[7:8], null, 0xd2511f53, v19, 0
	s_delay_alu instid0(VALU_DEP_2) | instskip(NEXT) | instid1(VALU_DEP_2)
	v_mad_u64_u32 v[18:19], null, 0xcd9e8d57, v44, 0
                                        ; implicit-def: $vgpr44
	v_xor3_b32 v47, v8, v48, v38
	s_delay_alu instid0(VALU_DEP_2)
	v_xor3_b32 v48, v19, v46, v37
                                        ; implicit-def: $vgpr46
	v_cmpx_lt_i32_e32 1, v39
	s_xor_b32 s0, exec_lo, s0
	s_cbranch_execz .LBB70_32
; %bb.27:                               ;   in Loop: Header=BB70_6 Depth=1
	s_mov_b32 s1, exec_lo
	v_cmpx_lt_i32_e32 2, v39
	s_xor_b32 s1, exec_lo, s1
; %bb.28:                               ;   in Loop: Header=BB70_6 Depth=1
                                        ; implicit-def: $vgpr6
; %bb.29:                               ;   in Loop: Header=BB70_6 Depth=1
	s_delay_alu instid0(SALU_CYCLE_1)
	s_or_saveexec_b32 s1, s1
	v_dual_mov_b32 v44, v47 :: v_dual_mov_b32 v45, v18
	v_mov_b32_e32 v46, v48
	s_xor_b32 exec_lo, exec_lo, s1
; %bb.30:                               ;   in Loop: Header=BB70_6 Depth=1
	v_dual_mov_b32 v44, v18 :: v_dual_mov_b32 v45, v48
	v_dual_mov_b32 v46, v15 :: v_dual_mov_b32 v15, v6
; %bb.31:                               ;   in Loop: Header=BB70_6 Depth=1
	s_or_b32 exec_lo, exec_lo, s1
                                        ; implicit-def: $vgpr6
                                        ; implicit-def: $vgpr4
                                        ; implicit-def: $vgpr5
.LBB70_32:                              ;   in Loop: Header=BB70_6 Depth=1
	s_and_not1_saveexec_b32 s0, s0
	s_cbranch_execz .LBB70_36
; %bb.33:                               ;   in Loop: Header=BB70_6 Depth=1
	s_delay_alu instid0(VALU_DEP_1)
	v_dual_mov_b32 v44, v15 :: v_dual_mov_b32 v45, v6
	v_mov_b32_e32 v46, v4
	s_mov_b32 s1, exec_lo
	v_cmpx_eq_u32_e32 1, v39
; %bb.34:                               ;   in Loop: Header=BB70_6 Depth=1
	v_dual_mov_b32 v44, v48 :: v_dual_mov_b32 v45, v15
	v_dual_mov_b32 v46, v6 :: v_dual_mov_b32 v5, v4
; %bb.35:                               ;   in Loop: Header=BB70_6 Depth=1
	s_or_b32 exec_lo, exec_lo, s1
	s_delay_alu instid0(VALU_DEP_1)
	v_mov_b32_e32 v15, v5
.LBB70_36:                              ;   in Loop: Header=BB70_6 Depth=1
	s_or_b32 exec_lo, exec_lo, s0
	v_add_nc_u32_e32 v20, 4, v20
	s_mov_b32 s0, exec_lo
	s_delay_alu instid0(VALU_DEP_1) | instskip(SKIP_2) | instid1(VALU_DEP_1)
	v_cmp_eq_u32_e32 vcc_lo, 0, v20
	v_cndmask_b32_e64 v4, 0, 1, vcc_lo
	v_add_co_ci_u32_e32 v9, vcc_lo, 0, v9, vcc_lo
	v_cmp_eq_u32_e32 vcc_lo, 0, v9
	s_delay_alu instid0(VALU_DEP_3) | instskip(NEXT) | instid1(VALU_DEP_1)
	v_cndmask_b32_e32 v4, 0, v4, vcc_lo
	v_add_nc_u32_e32 v8, v4, v16
	s_delay_alu instid0(VALU_DEP_1) | instskip(SKIP_1) | instid1(VALU_DEP_1)
	v_cmp_eq_u32_e32 vcc_lo, 0, v8
	v_cndmask_b32_e32 v4, 0, v4, vcc_lo
	v_add_nc_u32_e32 v19, v4, v17
	v_mad_u64_u32 v[4:5], null, 0xd2511f53, v20, 0
	v_mad_u64_u32 v[16:17], null, 0xcd9e8d57, v8, 0
	s_delay_alu instid0(VALU_DEP_2) | instskip(NEXT) | instid1(VALU_DEP_2)
	v_xor_b32_e32 v5, v5, v11
	v_xor3_b32 v17, v17, v10, v9
	s_delay_alu instid0(VALU_DEP_2) | instskip(NEXT) | instid1(VALU_DEP_1)
	v_xor_b32_e32 v49, v19, v5
	v_mad_u64_u32 v[5:6], null, 0xcd9e8d57, v49, 0
	s_delay_alu instid0(VALU_DEP_3) | instskip(NEXT) | instid1(VALU_DEP_2)
	v_mad_u64_u32 v[49:50], null, 0xd2511f53, v17, 0
	v_xor3_b32 v6, v22, v6, v16
	s_delay_alu instid0(VALU_DEP_2) | instskip(NEXT) | instid1(VALU_DEP_2)
	v_xor3_b32 v4, v21, v50, v4
	v_mad_u64_u32 v[16:17], null, 0xd2511f53, v6, 0
	s_delay_alu instid0(VALU_DEP_2) | instskip(NEXT) | instid1(VALU_DEP_2)
	v_mad_u64_u32 v[50:51], null, 0xcd9e8d57, v4, 0
	v_xor3_b32 v6, v24, v17, v49
	s_delay_alu instid0(VALU_DEP_2) | instskip(NEXT) | instid1(VALU_DEP_2)
	v_xor3_b32 v17, v23, v51, v5
	v_mad_u64_u32 v[4:5], null, 0xcd9e8d57, v6, 0
	s_delay_alu instid0(VALU_DEP_2) | instskip(NEXT) | instid1(VALU_DEP_2)
	;; [unrolled: 6-line block ×8, first 2 shown]
	v_mad_u64_u32 v[16:17], null, 0xd2511f53, v49, 0
                                        ; implicit-def: $vgpr49
	v_xor3_b32 v4, v6, v52, v37
	s_delay_alu instid0(VALU_DEP_2)
	v_xor3_b32 v6, v17, v50, v38
                                        ; implicit-def: $vgpr17
                                        ; implicit-def: $vgpr50
	v_cmpx_lt_i32_e32 1, v39
	s_xor_b32 s0, exec_lo, s0
	s_cbranch_execz .LBB70_42
; %bb.37:                               ;   in Loop: Header=BB70_6 Depth=1
	s_mov_b32 s1, exec_lo
	v_cmpx_lt_i32_e32 2, v39
	s_xor_b32 s1, exec_lo, s1
; %bb.38:                               ;   in Loop: Header=BB70_6 Depth=1
                                        ; implicit-def: $vgpr47
; %bb.39:                               ;   in Loop: Header=BB70_6 Depth=1
	s_delay_alu instid0(SALU_CYCLE_1)
	s_or_saveexec_b32 s1, s1
	v_dual_mov_b32 v17, v6 :: v_dual_mov_b32 v50, v4
	v_mov_b32_e32 v49, v5
	s_xor_b32 exec_lo, exec_lo, s1
; %bb.40:                               ;   in Loop: Header=BB70_6 Depth=1
	v_dual_mov_b32 v17, v5 :: v_dual_mov_b32 v50, v7
	v_mov_b32_e32 v49, v4
	v_mov_b32_e32 v7, v47
; %bb.41:                               ;   in Loop: Header=BB70_6 Depth=1
	s_or_b32 exec_lo, exec_lo, s1
                                        ; implicit-def: $vgpr47
                                        ; implicit-def: $vgpr18
                                        ; implicit-def: $vgpr48
.LBB70_42:                              ;   in Loop: Header=BB70_6 Depth=1
	s_and_not1_saveexec_b32 s0, s0
	s_cbranch_execz .LBB70_5
; %bb.43:                               ;   in Loop: Header=BB70_6 Depth=1
	s_delay_alu instid0(VALU_DEP_1)
	v_dual_mov_b32 v17, v7 :: v_dual_mov_b32 v50, v18
	v_mov_b32_e32 v49, v47
	s_mov_b32 s1, exec_lo
	v_cmpx_eq_u32_e32 1, v39
	s_cbranch_execz .LBB70_4
; %bb.44:                               ;   in Loop: Header=BB70_6 Depth=1
	v_dual_mov_b32 v17, v4 :: v_dual_mov_b32 v50, v47
	v_dual_mov_b32 v49, v7 :: v_dual_mov_b32 v48, v18
	s_branch .LBB70_4
.LBB70_45:
	s_endpgm
	.section	.rodata,"a",@progbits
	.p2align	6, 0x0
	.amdhsa_kernel _ZN2at6native12_GLOBAL__N_124fused_dropout_kernel_vecIN3c104HalfEfjLi1ELi16EhEEvNS_4cuda6detail10TensorInfoIKT_T1_EENS7_IS8_SA_EENS7_IT4_SA_EESA_T0_NS_15PhiloxCudaStateE
		.amdhsa_group_segment_fixed_size 0
		.amdhsa_private_segment_fixed_size 0
		.amdhsa_kernarg_size 944
		.amdhsa_user_sgpr_count 15
		.amdhsa_user_sgpr_dispatch_ptr 0
		.amdhsa_user_sgpr_queue_ptr 0
		.amdhsa_user_sgpr_kernarg_segment_ptr 1
		.amdhsa_user_sgpr_dispatch_id 0
		.amdhsa_user_sgpr_private_segment_size 0
		.amdhsa_wavefront_size32 1
		.amdhsa_uses_dynamic_stack 0
		.amdhsa_enable_private_segment 0
		.amdhsa_system_sgpr_workgroup_id_x 1
		.amdhsa_system_sgpr_workgroup_id_y 0
		.amdhsa_system_sgpr_workgroup_id_z 0
		.amdhsa_system_sgpr_workgroup_info 0
		.amdhsa_system_vgpr_workitem_id 0
		.amdhsa_next_free_vgpr 74
		.amdhsa_next_free_sgpr 25
		.amdhsa_reserve_vcc 1
		.amdhsa_float_round_mode_32 0
		.amdhsa_float_round_mode_16_64 0
		.amdhsa_float_denorm_mode_32 3
		.amdhsa_float_denorm_mode_16_64 3
		.amdhsa_dx10_clamp 1
		.amdhsa_ieee_mode 1
		.amdhsa_fp16_overflow 0
		.amdhsa_workgroup_processor_mode 1
		.amdhsa_memory_ordered 1
		.amdhsa_forward_progress 0
		.amdhsa_shared_vgpr_count 0
		.amdhsa_exception_fp_ieee_invalid_op 0
		.amdhsa_exception_fp_denorm_src 0
		.amdhsa_exception_fp_ieee_div_zero 0
		.amdhsa_exception_fp_ieee_overflow 0
		.amdhsa_exception_fp_ieee_underflow 0
		.amdhsa_exception_fp_ieee_inexact 0
		.amdhsa_exception_int_div_zero 0
	.end_amdhsa_kernel
	.section	.text._ZN2at6native12_GLOBAL__N_124fused_dropout_kernel_vecIN3c104HalfEfjLi1ELi16EhEEvNS_4cuda6detail10TensorInfoIKT_T1_EENS7_IS8_SA_EENS7_IT4_SA_EESA_T0_NS_15PhiloxCudaStateE,"axG",@progbits,_ZN2at6native12_GLOBAL__N_124fused_dropout_kernel_vecIN3c104HalfEfjLi1ELi16EhEEvNS_4cuda6detail10TensorInfoIKT_T1_EENS7_IS8_SA_EENS7_IT4_SA_EESA_T0_NS_15PhiloxCudaStateE,comdat
.Lfunc_end70:
	.size	_ZN2at6native12_GLOBAL__N_124fused_dropout_kernel_vecIN3c104HalfEfjLi1ELi16EhEEvNS_4cuda6detail10TensorInfoIKT_T1_EENS7_IS8_SA_EENS7_IT4_SA_EESA_T0_NS_15PhiloxCudaStateE, .Lfunc_end70-_ZN2at6native12_GLOBAL__N_124fused_dropout_kernel_vecIN3c104HalfEfjLi1ELi16EhEEvNS_4cuda6detail10TensorInfoIKT_T1_EENS7_IS8_SA_EENS7_IT4_SA_EESA_T0_NS_15PhiloxCudaStateE
                                        ; -- End function
	.section	.AMDGPU.csdata,"",@progbits
; Kernel info:
; codeLenInByte = 4872
; NumSgprs: 27
; NumVgprs: 74
; ScratchSize: 0
; MemoryBound: 0
; FloatMode: 240
; IeeeMode: 1
; LDSByteSize: 0 bytes/workgroup (compile time only)
; SGPRBlocks: 3
; VGPRBlocks: 9
; NumSGPRsForWavesPerEU: 27
; NumVGPRsForWavesPerEU: 74
; Occupancy: 16
; WaveLimiterHint : 1
; COMPUTE_PGM_RSRC2:SCRATCH_EN: 0
; COMPUTE_PGM_RSRC2:USER_SGPR: 15
; COMPUTE_PGM_RSRC2:TRAP_HANDLER: 0
; COMPUTE_PGM_RSRC2:TGID_X_EN: 1
; COMPUTE_PGM_RSRC2:TGID_Y_EN: 0
; COMPUTE_PGM_RSRC2:TGID_Z_EN: 0
; COMPUTE_PGM_RSRC2:TIDIG_COMP_CNT: 0
	.section	.text._ZN2at6native12_GLOBAL__N_124fused_dropout_kernel_vecIN3c104HalfEfjLi1ELi8EhEEvNS_4cuda6detail10TensorInfoIKT_T1_EENS7_IS8_SA_EENS7_IT4_SA_EESA_T0_NS_15PhiloxCudaStateE,"axG",@progbits,_ZN2at6native12_GLOBAL__N_124fused_dropout_kernel_vecIN3c104HalfEfjLi1ELi8EhEEvNS_4cuda6detail10TensorInfoIKT_T1_EENS7_IS8_SA_EENS7_IT4_SA_EESA_T0_NS_15PhiloxCudaStateE,comdat
	.globl	_ZN2at6native12_GLOBAL__N_124fused_dropout_kernel_vecIN3c104HalfEfjLi1ELi8EhEEvNS_4cuda6detail10TensorInfoIKT_T1_EENS7_IS8_SA_EENS7_IT4_SA_EESA_T0_NS_15PhiloxCudaStateE ; -- Begin function _ZN2at6native12_GLOBAL__N_124fused_dropout_kernel_vecIN3c104HalfEfjLi1ELi8EhEEvNS_4cuda6detail10TensorInfoIKT_T1_EENS7_IS8_SA_EENS7_IT4_SA_EESA_T0_NS_15PhiloxCudaStateE
	.p2align	8
	.type	_ZN2at6native12_GLOBAL__N_124fused_dropout_kernel_vecIN3c104HalfEfjLi1ELi8EhEEvNS_4cuda6detail10TensorInfoIKT_T1_EENS7_IS8_SA_EENS7_IT4_SA_EESA_T0_NS_15PhiloxCudaStateE,@function
_ZN2at6native12_GLOBAL__N_124fused_dropout_kernel_vecIN3c104HalfEfjLi1ELi8EhEEvNS_4cuda6detail10TensorInfoIKT_T1_EENS7_IS8_SA_EENS7_IT4_SA_EESA_T0_NS_15PhiloxCudaStateE: ; @_ZN2at6native12_GLOBAL__N_124fused_dropout_kernel_vecIN3c104HalfEfjLi1ELi8EhEEvNS_4cuda6detail10TensorInfoIKT_T1_EENS7_IS8_SA_EENS7_IT4_SA_EESA_T0_NS_15PhiloxCudaStateE
; %bb.0:
	s_clause 0x1
	s_load_b128 s[4:7], s[0:1], 0x290
	s_load_b32 s2, s[0:1], 0x2a8
	s_waitcnt lgkmcnt(0)
	v_dual_mov_b32 v3, s6 :: v_dual_mov_b32 v4, s7
	v_dual_mov_b32 v11, s5 :: v_dual_mov_b32 v10, s4
	s_bitcmp0_b32 s2, 0
	s_cbranch_scc1 .LBB71_2
; %bb.1:
	v_dual_mov_b32 v1, s6 :: v_dual_mov_b32 v2, s7
	v_dual_mov_b32 v3, s4 :: v_dual_mov_b32 v4, s5
	s_load_b64 s[2:3], s[0:1], 0x2a0
	flat_load_b64 v[1:2], v[1:2]
	flat_load_b64 v[10:11], v[3:4]
	s_waitcnt vmcnt(1) lgkmcnt(0)
	v_add_co_u32 v3, vcc_lo, v1, s2
	v_add_co_ci_u32_e32 v4, vcc_lo, s3, v2, vcc_lo
.LBB71_2:
	s_clause 0x1
	s_load_b32 s4, s[0:1], 0x2bc
	s_load_b64 s[8:9], s[0:1], 0x288
	s_add_u32 s2, s0, 0x2b0
	s_addc_u32 s3, s1, 0
	s_mov_b32 s5, exec_lo
	s_waitcnt lgkmcnt(0)
	s_and_b32 s4, s4, 0xffff
	s_delay_alu instid0(SALU_CYCLE_1) | instskip(NEXT) | instid1(VALU_DEP_1)
	v_mad_u64_u32 v[14:15], null, s15, s4, v[0:1]
	v_lshlrev_b32_e32 v12, 3, v14
	s_delay_alu instid0(VALU_DEP_1)
	v_cmpx_gt_u32_e64 s8, v12
	s_cbranch_execz .LBB71_25
; %bb.3:
	v_mad_u64_u32 v[0:1], null, 0xcd9e8d57, v14, 0
	v_alignbit_b32 v18, v4, v3, 2
	v_lshrrev_b32_e32 v39, 2, v4
	s_waitcnt vmcnt(0)
	v_mov_b32_e32 v13, v11
	v_add_co_u32 v20, null, 0x9e3779b9, v10
	v_mad_u64_u32 v[4:5], null, 0xd2511f53, v18, 0
	v_xor3_b32 v6, v10, v1, v39
	s_delay_alu instid0(VALU_DEP_4) | instskip(SKIP_1) | instid1(VALU_DEP_3)
	v_add_co_u32 v19, null, 0xbb67ae85, v13
	v_add_co_u32 v21, null, 0x3c6ef372, v10
	v_mad_u64_u32 v[1:2], null, 0xd2511f53, v6, 0
	v_xor_b32_e32 v7, v5, v11
	v_add_co_u32 v22, null, 0x76cf5d0a, v13
	v_add_co_u32 v23, null, 0x32370b8f, v13
	s_delay_alu instid0(VALU_DEP_3) | instskip(SKIP_3) | instid1(VALU_DEP_3)
	v_mad_u64_u32 v[5:6], null, 0xcd9e8d57, v7, 0
	v_xor3_b32 v2, v19, v2, v4
	v_add_co_u32 v24, null, 0xdaa66d2b, v10
	v_add_co_u32 v25, null, 0x78dde6e4, v10
	v_mad_u64_u32 v[7:8], null, 0xcd9e8d57, v2, 0
	v_xor3_b32 v0, v6, v20, v0
	v_add_co_u32 v26, null, 0xed9eba14, v13
	v_add_co_u32 v27, null, 0xa9066899, v13
	s_delay_alu instid0(VALU_DEP_3) | instskip(SKIP_3) | instid1(VALU_DEP_3)
	v_mad_u64_u32 v[15:16], null, 0xd2511f53, v0, 0
	v_xor3_b32 v0, v21, v8, v5
	v_div_scale_f32 v17, null, s9, s9, 1.0
	v_add_co_u32 v29, null, 0xb54cda56, v10
	v_mad_u64_u32 v[4:5], null, 0xd2511f53, v0, 0
	v_xor3_b32 v2, v16, v22, v1
	s_delay_alu instid0(VALU_DEP_4) | instskip(SKIP_2) | instid1(VALU_DEP_3)
	v_rcp_f32_e32 v35, v17
	v_add_co_u32 v28, null, 0x1715609d, v10
	v_add_co_u32 v32, null, 0x5384540f, v10
	v_mad_u64_u32 v[0:1], null, 0xcd9e8d57, v2, 0
	v_xor3_b32 v2, v23, v5, v15
	s_load_b32 s2, s[2:3], 0x0
	v_add_co_u32 v33, null, 0xf1bbcdc8, v10
	s_clause 0x2
	s_load_b64 s[10:11], s[0:1], 0x0
	s_load_b64 s[12:13], s[0:1], 0xd8
	;; [unrolled: 1-line block ×3, first 2 shown]
	v_mad_u64_u32 v[5:6], null, 0xcd9e8d57, v2, 0
	v_xor3_b32 v7, v1, v24, v7
	v_and_b32_e32 v37, 3, v3
	s_mov_b32 s7, 0
	s_delay_alu instid0(VALU_DEP_2) | instskip(NEXT) | instid1(VALU_DEP_4)
	v_mad_u64_u32 v[1:2], null, 0xd2511f53, v7, 0
	v_xor3_b32 v0, v25, v6, v0
	s_delay_alu instid0(VALU_DEP_1) | instskip(NEXT) | instid1(VALU_DEP_3)
	v_mad_u64_u32 v[6:7], null, 0xd2511f53, v0, 0
	v_xor3_b32 v0, v2, v26, v4
	s_waitcnt lgkmcnt(0)
	s_mul_i32 s2, s2, s4
	s_delay_alu instid0(SALU_CYCLE_1) | instskip(NEXT) | instid1(VALU_DEP_1)
	s_lshl_b32 s16, s2, 3
	v_mad_u64_u32 v[8:9], null, 0xcd9e8d57, v0, 0
	s_delay_alu instid0(VALU_DEP_3) | instskip(NEXT) | instid1(VALU_DEP_1)
	v_xor3_b32 v2, v27, v7, v1
	v_mad_u64_u32 v[0:1], null, 0xcd9e8d57, v2, 0
	s_delay_alu instid0(VALU_DEP_3) | instskip(SKIP_1) | instid1(VALU_DEP_2)
	v_xor3_b32 v2, v9, v28, v5
	v_div_scale_f32 v9, vcc_lo, 1.0, s9, 1.0
	v_mad_u64_u32 v[4:5], null, 0xd2511f53, v2, 0
	s_delay_alu instid0(VALU_DEP_4) | instskip(SKIP_1) | instid1(VALU_DEP_2)
	v_xor3_b32 v7, v29, v1, v8
	v_fma_f32 v8, -v17, v35, 1.0
	v_mad_u64_u32 v[1:2], null, 0xd2511f53, v7, 0
	s_delay_alu instid0(VALU_DEP_2) | instskip(NEXT) | instid1(VALU_DEP_1)
	v_fmac_f32_e32 v35, v8, v35
	v_mul_f32_e32 v36, v9, v35
	v_add_co_u32 v30, null, 0x646e171e, v13
	v_add_co_u32 v31, null, 0x1fd5c5a3, v13
	v_add_co_u32 v34, null, 0xdb3d7428, v13
	s_delay_alu instid0(VALU_DEP_3) | instskip(NEXT) | instid1(VALU_DEP_3)
	v_xor3_b32 v7, v5, v30, v6
	v_xor3_b32 v2, v31, v2, v4
	v_mov_b32_e32 v13, 0
	s_delay_alu instid0(VALU_DEP_3) | instskip(NEXT) | instid1(VALU_DEP_3)
	v_mad_u64_u32 v[5:6], null, 0xcd9e8d57, v7, 0
	v_mad_u64_u32 v[7:8], null, 0xcd9e8d57, v2, 0
	v_fma_f32 v2, -v17, v36, v9
	s_delay_alu instid0(VALU_DEP_4) | instskip(NEXT) | instid1(VALU_DEP_4)
	v_mov_b32_e32 v40, v13
	v_xor3_b32 v0, v6, v32, v0
	s_delay_alu instid0(VALU_DEP_3) | instskip(NEXT) | instid1(VALU_DEP_2)
	v_fmac_f32_e32 v36, v2, v35
	v_mad_u64_u32 v[15:16], null, 0xd2511f53, v0, 0
	v_xor3_b32 v0, v33, v8, v5
	s_delay_alu instid0(VALU_DEP_3) | instskip(NEXT) | instid1(VALU_DEP_2)
	v_fma_f32 v8, -v17, v36, v9
	v_mad_u64_u32 v[4:5], null, 0xd2511f53, v0, 0
	s_delay_alu instid0(VALU_DEP_4) | instskip(NEXT) | instid1(VALU_DEP_3)
	v_xor3_b32 v6, v16, v34, v1
	v_div_fmas_f32 v0, v8, v35, v36
	v_add_nc_u32_e32 v35, 0x8ff34781, v10
	v_add_nc_u32_e32 v36, 0x96a522ad, v11
	s_delay_alu instid0(VALU_DEP_4) | instskip(NEXT) | instid1(VALU_DEP_4)
	v_mad_u64_u32 v[1:2], null, 0xcd9e8d57, v6, 0
	v_div_fixup_f32 v38, v0, s9, 1.0
	v_mov_b32_e32 v3, v4
	s_delay_alu instid0(VALU_DEP_3)
	v_xor3_b32 v0, v7, v2, v35
	v_xor3_b32 v2, v5, v15, v36
	s_branch .LBB71_6
.LBB71_4:                               ;   in Loop: Header=BB71_6 Depth=1
	s_or_b32 exec_lo, exec_lo, s1
	s_delay_alu instid0(VALU_DEP_1)
	v_mov_b32_e32 v15, v41
.LBB71_5:                               ;   in Loop: Header=BB71_6 Depth=1
	s_or_b32 exec_lo, exec_lo, s0
	v_lshlrev_b64 v[8:9], 1, v[12:13]
	v_cvt_f32_u32_e32 v6, v6
	v_cvt_f32_u32_e32 v7, v7
	v_cvt_f32_u32_e32 v4, v4
	v_cvt_f32_u32_e32 v5, v5
	v_cvt_f32_u32_e32 v41, v42
	v_add_co_u32 v43, vcc_lo, s10, v8
	v_add_co_ci_u32_e32 v44, vcc_lo, s11, v9, vcc_lo
	v_dual_fmaak_f32 v6, 0x2f800000, v6, 0x2f800000 :: v_dual_fmaak_f32 v7, 0x2f800000, v7, 0x2f800000
	v_dual_fmaak_f32 v4, 0x2f800000, v4, 0x2f800000 :: v_dual_fmaak_f32 v5, 0x2f800000, v5, 0x2f800000
	global_load_b128 v[43:46], v[43:44], off
	v_cmp_gt_f32_e64 s1, s9, v6
	v_cmp_gt_f32_e64 s2, s9, v7
	v_cmp_gt_f32_e32 vcc_lo, s9, v4
	v_cvt_f32_u32_e32 v15, v15
	v_cvt_f32_u32_e32 v3, v3
	v_cndmask_b32_e64 v48, 0, 1, s1
	v_cndmask_b32_e64 v51, 0, 1, s2
	v_cndmask_b32_e64 v4, 0, 1.0, vcc_lo
	v_fmaak_f32 v41, 0x2f800000, v41, 0x2f800000
	v_cvt_f32_u32_e32 v17, v17
	v_cmp_gt_f32_e64 s0, s9, v5
	v_lshlrev_b16 v51, 8, v51
	v_cndmask_b32_e64 v5, 0, 1.0, s1
	v_cmp_gt_f32_e64 s4, s9, v41
	v_fmaak_f32 v17, 0x2f800000, v17, 0x2f800000
	v_cndmask_b32_e64 v7, 0, 1, s0
	v_or_b32_e32 v48, v48, v51
	v_fmaak_f32 v15, 0x2f800000, v15, 0x2f800000
	v_cndmask_b32_e64 v49, 0, 1, s4
	v_cmp_gt_f32_e64 s5, s9, v17
	v_lshlrev_b16 v7, 8, v7
	v_lshlrev_b32_e32 v48, 16, v48
	v_cmp_gt_f32_e64 s3, s9, v15
	v_lshlrev_b16 v49, 8, v49
	v_cndmask_b32_e64 v53, 0, 1, s5
	v_cndmask_b32_e64 v17, 0, 1.0, s5
	v_cndmask_b32_e64 v42, 0, 1.0, s0
	v_cndmask_b32_e64 v52, 0, 1, s3
	v_cndmask_b32_e64 v6, 0, 1.0, s3
	v_cndmask_b32_e64 v47, 0, 1.0, s2
	;; [unrolled: 1-line block ×3, first 2 shown]
	s_delay_alu instid0(VALU_DEP_4)
	v_or_b32_e32 v49, v52, v49
	s_waitcnt vmcnt(0)
	v_lshrrev_b32_e32 v52, 16, v45
	v_cvt_f32_f16_e32 v45, v45
	v_fmaak_f32 v3, 0x2f800000, v3, 0x2f800000
	v_lshrrev_b32_e32 v51, 16, v44
	v_cvt_f32_f16_e32 v44, v44
	s_delay_alu instid0(VALU_DEP_4) | instskip(NEXT) | instid1(VALU_DEP_4)
	v_mul_f32_e32 v6, v6, v45
	v_cmp_gt_f32_e64 s6, s9, v3
	v_cndmask_b32_e64 v3, 0, 1, vcc_lo
	v_cvt_f32_f16_e32 v45, v52
	v_mul_f32_e32 v5, v5, v44
	v_cvt_f32_f16_e32 v44, v51
	v_cndmask_b32_e64 v50, 0, 1, s6
	v_or_b32_e32 v3, v3, v7
	v_add_co_u32 v7, vcc_lo, s12, v8
	v_add_co_ci_u32_e32 v8, vcc_lo, s13, v9, vcc_lo
	s_delay_alu instid0(VALU_DEP_4) | instskip(SKIP_3) | instid1(VALU_DEP_4)
	v_lshlrev_b16 v50, 8, v50
	v_and_b32_e32 v9, 0xffff, v49
	v_cndmask_b32_e64 v41, 0, 1.0, s6
	v_mul_f32_e32 v15, v15, v45
	v_or_b32_e32 v50, v53, v50
	v_lshrrev_b32_e32 v53, 16, v46
	v_cvt_f32_f16_e32 v46, v46
	s_delay_alu instid0(VALU_DEP_3)
	v_lshlrev_b32_e32 v49, 16, v50
	v_and_b32_e32 v50, 0xffff, v3
	v_lshrrev_b32_e32 v3, 16, v43
	v_cvt_f32_f16_e32 v43, v43
	v_mul_f32_e32 v17, v17, v46
	v_cvt_f32_f16_e32 v46, v53
	s_delay_alu instid0(VALU_DEP_3) | instskip(SKIP_1) | instid1(VALU_DEP_2)
	v_mul_f32_e32 v4, v4, v43
	v_cvt_f32_f16_e32 v43, v3
	v_fma_mixlo_f16 v3, v38, v4, 0
	v_fma_mixlo_f16 v4, v38, v5, 0
	;; [unrolled: 1-line block ×4, first 2 shown]
	v_mul_f32_e32 v17, v41, v46
	v_mul_f32_e32 v41, v47, v44
	v_mul_f32_e32 v43, v42, v43
	v_fma_mixhi_f16 v5, v38, v15, 0
	v_or_b32_e32 v42, v9, v49
	v_fma_mixhi_f16 v6, v38, v17, 0
	v_fma_mixhi_f16 v4, v38, v41, 0
	;; [unrolled: 1-line block ×3, first 2 shown]
	v_or_b32_e32 v41, v50, v48
	global_store_b128 v[7:8], v[3:6], off
	global_store_b64 v12, v[41:42], s[14:15]
	v_dual_mov_b32 v3, v16 :: v_dual_add_nc_u32 v12, s16, v12
	s_waitcnt_vscnt null, 0x0
	s_barrier
	buffer_gl0_inv
	v_cmp_le_u32_e32 vcc_lo, s8, v12
	s_or_b32 s7, vcc_lo, s7
	s_delay_alu instid0(SALU_CYCLE_1)
	s_and_not1_b32 exec_lo, exec_lo, s7
	s_cbranch_execz .LBB71_25
.LBB71_6:                               ; =>This Inner Loop Header: Depth=1
	v_add_co_u32 v6, vcc_lo, v18, 1
	s_delay_alu instid0(VALU_DEP_1) | instskip(SKIP_2) | instid1(VALU_DEP_1)
	v_cndmask_b32_e64 v4, 0, 1, vcc_lo
	v_add_co_ci_u32_e32 v17, vcc_lo, 0, v39, vcc_lo
	s_mov_b32 s0, exec_lo
	v_cmp_eq_u32_e32 vcc_lo, 0, v17
	s_delay_alu instid0(VALU_DEP_3) | instskip(SKIP_1) | instid1(VALU_DEP_2)
	v_cndmask_b32_e32 v7, 0, v4, vcc_lo
	v_mad_u64_u32 v[4:5], null, 0xd2511f53, v6, 0
	v_add_nc_u32_e32 v14, v7, v14
	s_delay_alu instid0(VALU_DEP_2) | instskip(NEXT) | instid1(VALU_DEP_2)
	v_xor_b32_e32 v8, v5, v11
	v_cmp_eq_u32_e32 vcc_lo, 0, v14
	v_cndmask_b32_e32 v7, 0, v7, vcc_lo
	v_mad_u64_u32 v[5:6], null, 0xcd9e8d57, v14, 0
	s_delay_alu instid0(VALU_DEP_2) | instskip(NEXT) | instid1(VALU_DEP_2)
	v_add_nc_u32_e32 v40, v7, v40
	v_xor3_b32 v15, v6, v10, v17
	s_delay_alu instid0(VALU_DEP_2) | instskip(NEXT) | instid1(VALU_DEP_1)
	v_xor_b32_e32 v8, v40, v8
	v_mad_u64_u32 v[6:7], null, 0xcd9e8d57, v8, 0
	s_delay_alu instid0(VALU_DEP_3) | instskip(NEXT) | instid1(VALU_DEP_2)
	v_mad_u64_u32 v[8:9], null, 0xd2511f53, v15, 0
	v_xor3_b32 v7, v20, v7, v5
	s_delay_alu instid0(VALU_DEP_2) | instskip(NEXT) | instid1(VALU_DEP_2)
	v_xor3_b32 v9, v19, v9, v4
	v_mad_u64_u32 v[4:5], null, 0xd2511f53, v7, 0
	s_delay_alu instid0(VALU_DEP_2) | instskip(NEXT) | instid1(VALU_DEP_2)
	v_mad_u64_u32 v[15:16], null, 0xcd9e8d57, v9, 0
	v_xor3_b32 v7, v22, v5, v8
	s_delay_alu instid0(VALU_DEP_2) | instskip(NEXT) | instid1(VALU_DEP_2)
	v_xor3_b32 v9, v21, v16, v6
	v_mad_u64_u32 v[5:6], null, 0xcd9e8d57, v7, 0
	s_delay_alu instid0(VALU_DEP_2) | instskip(NEXT) | instid1(VALU_DEP_2)
	;; [unrolled: 6-line block ×8, first 2 shown]
	v_mad_u64_u32 v[15:16], null, 0xd2511f53, v4, 0
	v_xor3_b32 v41, v9, v41, v35
	s_delay_alu instid0(VALU_DEP_2)
	v_xor3_b32 v9, v16, v5, v36
                                        ; implicit-def: $vgpr4_vgpr5_vgpr6_vgpr7
	v_cmpx_lt_i32_e32 1, v37
	s_xor_b32 s0, exec_lo, s0
	s_cbranch_execz .LBB71_12
; %bb.7:                                ;   in Loop: Header=BB71_6 Depth=1
	s_mov_b32 s1, exec_lo
                                        ; implicit-def: $vgpr4_vgpr5_vgpr6_vgpr7
	v_cmpx_lt_i32_e32 2, v37
	s_xor_b32 s1, exec_lo, s1
; %bb.8:                                ;   in Loop: Header=BB71_6 Depth=1
	v_dual_mov_b32 v6, v3 :: v_dual_mov_b32 v7, v41
                                        ; implicit-def: $vgpr0_vgpr1_vgpr2_vgpr3
	s_delay_alu instid0(VALU_DEP_1) | instskip(NEXT) | instid1(VALU_DEP_2)
	v_mov_b32_e32 v4, v6
	v_dual_mov_b32 v5, v7 :: v_dual_mov_b32 v6, v8
	v_mov_b32_e32 v7, v9
; %bb.9:                                ;   in Loop: Header=BB71_6 Depth=1
	s_and_not1_saveexec_b32 s1, s1
; %bb.10:                               ;   in Loop: Header=BB71_6 Depth=1
	v_dual_mov_b32 v4, v2 :: v_dual_mov_b32 v5, v3
	v_dual_mov_b32 v6, v41 :: v_dual_mov_b32 v7, v8
; %bb.11:                               ;   in Loop: Header=BB71_6 Depth=1
	s_or_b32 exec_lo, exec_lo, s1
                                        ; implicit-def: $vgpr0_vgpr1_vgpr2_vgpr3
.LBB71_12:                              ;   in Loop: Header=BB71_6 Depth=1
	s_and_not1_saveexec_b32 s0, s0
	s_cbranch_execz .LBB71_16
; %bb.13:                               ;   in Loop: Header=BB71_6 Depth=1
	s_mov_b32 s1, exec_lo
	v_cmpx_eq_u32_e32 1, v37
; %bb.14:                               ;   in Loop: Header=BB71_6 Depth=1
	v_dual_mov_b32 v0, v1 :: v_dual_mov_b32 v1, v2
	v_dual_mov_b32 v2, v3 :: v_dual_mov_b32 v3, v41
; %bb.15:                               ;   in Loop: Header=BB71_6 Depth=1
	s_or_b32 exec_lo, exec_lo, s1
	s_delay_alu instid0(VALU_DEP_1) | instskip(NEXT) | instid1(VALU_DEP_3)
	v_dual_mov_b32 v7, v3 :: v_dual_mov_b32 v6, v2
	v_dual_mov_b32 v5, v1 :: v_dual_mov_b32 v4, v0
.LBB71_16:                              ;   in Loop: Header=BB71_6 Depth=1
	s_or_b32 exec_lo, exec_lo, s0
	v_add_nc_u32_e32 v18, 2, v18
	s_mov_b32 s0, exec_lo
	s_delay_alu instid0(VALU_DEP_1) | instskip(SKIP_2) | instid1(VALU_DEP_1)
	v_cmp_eq_u32_e32 vcc_lo, 0, v18
	v_cndmask_b32_e64 v0, 0, 1, vcc_lo
	v_add_co_ci_u32_e32 v39, vcc_lo, 0, v17, vcc_lo
	v_cmp_eq_u32_e32 vcc_lo, 0, v39
	s_delay_alu instid0(VALU_DEP_3) | instskip(NEXT) | instid1(VALU_DEP_1)
	v_cndmask_b32_e32 v0, 0, v0, vcc_lo
	v_add_nc_u32_e32 v14, v0, v14
	s_delay_alu instid0(VALU_DEP_1) | instskip(SKIP_2) | instid1(VALU_DEP_2)
	v_cmp_eq_u32_e32 vcc_lo, 0, v14
	v_mad_u64_u32 v[2:3], null, 0xcd9e8d57, v14, 0
	v_cndmask_b32_e32 v0, 0, v0, vcc_lo
	v_xor3_b32 v3, v3, v10, v39
	s_delay_alu instid0(VALU_DEP_2) | instskip(SKIP_1) | instid1(VALU_DEP_3)
	v_add_nc_u32_e32 v40, v0, v40
	v_mad_u64_u32 v[0:1], null, 0xd2511f53, v18, 0
	v_mad_u64_u32 v[42:43], null, 0xd2511f53, v3, 0
	s_delay_alu instid0(VALU_DEP_2) | instskip(NEXT) | instid1(VALU_DEP_1)
	v_xor_b32_e32 v1, v1, v11
	v_xor_b32_e32 v1, v40, v1
	s_delay_alu instid0(VALU_DEP_1) | instskip(NEXT) | instid1(VALU_DEP_1)
	v_mad_u64_u32 v[16:17], null, 0xcd9e8d57, v1, 0
	v_xor3_b32 v2, v20, v17, v2
	v_xor3_b32 v17, v19, v43, v0
	s_delay_alu instid0(VALU_DEP_2) | instskip(NEXT) | instid1(VALU_DEP_2)
	v_mad_u64_u32 v[0:1], null, 0xd2511f53, v2, 0
	v_mad_u64_u32 v[2:3], null, 0xcd9e8d57, v17, 0
	s_delay_alu instid0(VALU_DEP_2) | instskip(NEXT) | instid1(VALU_DEP_2)
	v_xor3_b32 v1, v22, v1, v42
	v_xor3_b32 v3, v21, v3, v16
	s_delay_alu instid0(VALU_DEP_2) | instskip(NEXT) | instid1(VALU_DEP_2)
	v_mad_u64_u32 v[16:17], null, 0xcd9e8d57, v1, 0
	v_mad_u64_u32 v[42:43], null, 0xd2511f53, v3, 0
	s_delay_alu instid0(VALU_DEP_2) | instskip(NEXT) | instid1(VALU_DEP_2)
	v_xor3_b32 v2, v24, v17, v2
	v_xor3_b32 v17, v23, v43, v0
	s_delay_alu instid0(VALU_DEP_2) | instskip(NEXT) | instid1(VALU_DEP_2)
	v_mad_u64_u32 v[0:1], null, 0xd2511f53, v2, 0
	v_mad_u64_u32 v[2:3], null, 0xcd9e8d57, v17, 0
	s_delay_alu instid0(VALU_DEP_2) | instskip(NEXT) | instid1(VALU_DEP_2)
	v_xor3_b32 v1, v26, v1, v42
	v_xor3_b32 v3, v25, v3, v16
	s_delay_alu instid0(VALU_DEP_2) | instskip(NEXT) | instid1(VALU_DEP_2)
	v_mad_u64_u32 v[16:17], null, 0xcd9e8d57, v1, 0
	v_mad_u64_u32 v[42:43], null, 0xd2511f53, v3, 0
	s_delay_alu instid0(VALU_DEP_2) | instskip(NEXT) | instid1(VALU_DEP_2)
	v_xor3_b32 v2, v28, v17, v2
	v_xor3_b32 v17, v27, v43, v0
	s_delay_alu instid0(VALU_DEP_2) | instskip(NEXT) | instid1(VALU_DEP_2)
	v_mad_u64_u32 v[0:1], null, 0xd2511f53, v2, 0
	v_mad_u64_u32 v[2:3], null, 0xcd9e8d57, v17, 0
	s_delay_alu instid0(VALU_DEP_2) | instskip(NEXT) | instid1(VALU_DEP_2)
	v_xor3_b32 v1, v30, v1, v42
	v_xor3_b32 v3, v29, v3, v16
	s_delay_alu instid0(VALU_DEP_2) | instskip(NEXT) | instid1(VALU_DEP_2)
	v_mad_u64_u32 v[16:17], null, 0xcd9e8d57, v1, 0
	v_mad_u64_u32 v[42:43], null, 0xd2511f53, v3, 0
	s_delay_alu instid0(VALU_DEP_2) | instskip(NEXT) | instid1(VALU_DEP_2)
	v_xor3_b32 v1, v32, v17, v2
	v_xor3_b32 v2, v31, v43, v0
	s_delay_alu instid0(VALU_DEP_2) | instskip(NEXT) | instid1(VALU_DEP_2)
	v_mad_u64_u32 v[43:44], null, 0xd2511f53, v1, 0
	v_mad_u64_u32 v[0:1], null, 0xcd9e8d57, v2, 0
	s_delay_alu instid0(VALU_DEP_2) | instskip(NEXT) | instid1(VALU_DEP_2)
	v_xor3_b32 v3, v34, v44, v42
	v_xor3_b32 v42, v33, v1, v16
	s_delay_alu instid0(VALU_DEP_2) | instskip(NEXT) | instid1(VALU_DEP_2)
	v_mad_u64_u32 v[1:2], null, 0xcd9e8d57, v3, 0
	v_mad_u64_u32 v[16:17], null, 0xd2511f53, v42, 0
                                        ; implicit-def: $vgpr3
                                        ; implicit-def: $vgpr42
	s_delay_alu instid0(VALU_DEP_2) | instskip(NEXT) | instid1(VALU_DEP_2)
	v_xor3_b32 v0, v2, v0, v35
	v_xor3_b32 v2, v17, v43, v36
                                        ; implicit-def: $vgpr17
	v_cmpx_lt_i32_e32 1, v37
	s_xor_b32 s0, exec_lo, s0
	s_cbranch_execz .LBB71_22
; %bb.17:                               ;   in Loop: Header=BB71_6 Depth=1
	s_mov_b32 s1, exec_lo
	v_cmpx_lt_i32_e32 2, v37
	s_xor_b32 s1, exec_lo, s1
; %bb.18:                               ;   in Loop: Header=BB71_6 Depth=1
                                        ; implicit-def: $vgpr9
; %bb.19:                               ;   in Loop: Header=BB71_6 Depth=1
	s_delay_alu instid0(SALU_CYCLE_1)
	s_or_saveexec_b32 s1, s1
	v_dual_mov_b32 v3, v2 :: v_dual_mov_b32 v42, v0
	v_mov_b32_e32 v17, v1
	s_xor_b32 exec_lo, exec_lo, s1
; %bb.20:                               ;   in Loop: Header=BB71_6 Depth=1
	v_dual_mov_b32 v3, v1 :: v_dual_mov_b32 v42, v15
	v_mov_b32_e32 v17, v0
	v_mov_b32_e32 v15, v9
; %bb.21:                               ;   in Loop: Header=BB71_6 Depth=1
	s_or_b32 exec_lo, exec_lo, s1
                                        ; implicit-def: $vgpr9
                                        ; implicit-def: $vgpr41
.LBB71_22:                              ;   in Loop: Header=BB71_6 Depth=1
	s_and_not1_saveexec_b32 s0, s0
	s_cbranch_execz .LBB71_5
; %bb.23:                               ;   in Loop: Header=BB71_6 Depth=1
	s_delay_alu instid0(VALU_DEP_1)
	v_dual_mov_b32 v3, v15 :: v_dual_mov_b32 v42, v8
	v_mov_b32_e32 v17, v9
	s_mov_b32 s1, exec_lo
	v_cmpx_eq_u32_e32 1, v37
	s_cbranch_execz .LBB71_4
; %bb.24:                               ;   in Loop: Header=BB71_6 Depth=1
	v_dual_mov_b32 v3, v0 :: v_dual_mov_b32 v42, v9
	v_mov_b32_e32 v17, v15
	v_mov_b32_e32 v41, v8
	s_branch .LBB71_4
.LBB71_25:
	s_endpgm
	.section	.rodata,"a",@progbits
	.p2align	6, 0x0
	.amdhsa_kernel _ZN2at6native12_GLOBAL__N_124fused_dropout_kernel_vecIN3c104HalfEfjLi1ELi8EhEEvNS_4cuda6detail10TensorInfoIKT_T1_EENS7_IS8_SA_EENS7_IT4_SA_EESA_T0_NS_15PhiloxCudaStateE
		.amdhsa_group_segment_fixed_size 0
		.amdhsa_private_segment_fixed_size 0
		.amdhsa_kernarg_size 944
		.amdhsa_user_sgpr_count 15
		.amdhsa_user_sgpr_dispatch_ptr 0
		.amdhsa_user_sgpr_queue_ptr 0
		.amdhsa_user_sgpr_kernarg_segment_ptr 1
		.amdhsa_user_sgpr_dispatch_id 0
		.amdhsa_user_sgpr_private_segment_size 0
		.amdhsa_wavefront_size32 1
		.amdhsa_uses_dynamic_stack 0
		.amdhsa_enable_private_segment 0
		.amdhsa_system_sgpr_workgroup_id_x 1
		.amdhsa_system_sgpr_workgroup_id_y 0
		.amdhsa_system_sgpr_workgroup_id_z 0
		.amdhsa_system_sgpr_workgroup_info 0
		.amdhsa_system_vgpr_workitem_id 0
		.amdhsa_next_free_vgpr 54
		.amdhsa_next_free_sgpr 17
		.amdhsa_reserve_vcc 1
		.amdhsa_float_round_mode_32 0
		.amdhsa_float_round_mode_16_64 0
		.amdhsa_float_denorm_mode_32 3
		.amdhsa_float_denorm_mode_16_64 3
		.amdhsa_dx10_clamp 1
		.amdhsa_ieee_mode 1
		.amdhsa_fp16_overflow 0
		.amdhsa_workgroup_processor_mode 1
		.amdhsa_memory_ordered 1
		.amdhsa_forward_progress 0
		.amdhsa_shared_vgpr_count 0
		.amdhsa_exception_fp_ieee_invalid_op 0
		.amdhsa_exception_fp_denorm_src 0
		.amdhsa_exception_fp_ieee_div_zero 0
		.amdhsa_exception_fp_ieee_overflow 0
		.amdhsa_exception_fp_ieee_underflow 0
		.amdhsa_exception_fp_ieee_inexact 0
		.amdhsa_exception_int_div_zero 0
	.end_amdhsa_kernel
	.section	.text._ZN2at6native12_GLOBAL__N_124fused_dropout_kernel_vecIN3c104HalfEfjLi1ELi8EhEEvNS_4cuda6detail10TensorInfoIKT_T1_EENS7_IS8_SA_EENS7_IT4_SA_EESA_T0_NS_15PhiloxCudaStateE,"axG",@progbits,_ZN2at6native12_GLOBAL__N_124fused_dropout_kernel_vecIN3c104HalfEfjLi1ELi8EhEEvNS_4cuda6detail10TensorInfoIKT_T1_EENS7_IS8_SA_EENS7_IT4_SA_EESA_T0_NS_15PhiloxCudaStateE,comdat
.Lfunc_end71:
	.size	_ZN2at6native12_GLOBAL__N_124fused_dropout_kernel_vecIN3c104HalfEfjLi1ELi8EhEEvNS_4cuda6detail10TensorInfoIKT_T1_EENS7_IS8_SA_EENS7_IT4_SA_EESA_T0_NS_15PhiloxCudaStateE, .Lfunc_end71-_ZN2at6native12_GLOBAL__N_124fused_dropout_kernel_vecIN3c104HalfEfjLi1ELi8EhEEvNS_4cuda6detail10TensorInfoIKT_T1_EENS7_IS8_SA_EENS7_IT4_SA_EESA_T0_NS_15PhiloxCudaStateE
                                        ; -- End function
	.section	.AMDGPU.csdata,"",@progbits
; Kernel info:
; codeLenInByte = 3008
; NumSgprs: 19
; NumVgprs: 54
; ScratchSize: 0
; MemoryBound: 0
; FloatMode: 240
; IeeeMode: 1
; LDSByteSize: 0 bytes/workgroup (compile time only)
; SGPRBlocks: 2
; VGPRBlocks: 6
; NumSGPRsForWavesPerEU: 19
; NumVGPRsForWavesPerEU: 54
; Occupancy: 16
; WaveLimiterHint : 1
; COMPUTE_PGM_RSRC2:SCRATCH_EN: 0
; COMPUTE_PGM_RSRC2:USER_SGPR: 15
; COMPUTE_PGM_RSRC2:TRAP_HANDLER: 0
; COMPUTE_PGM_RSRC2:TGID_X_EN: 1
; COMPUTE_PGM_RSRC2:TGID_Y_EN: 0
; COMPUTE_PGM_RSRC2:TGID_Z_EN: 0
; COMPUTE_PGM_RSRC2:TIDIG_COMP_CNT: 0
	.section	.text._ZN2at6native12_GLOBAL__N_124fused_dropout_kernel_vecIN3c104HalfEfjLi1ELi4EhEEvNS_4cuda6detail10TensorInfoIKT_T1_EENS7_IS8_SA_EENS7_IT4_SA_EESA_T0_NS_15PhiloxCudaStateE,"axG",@progbits,_ZN2at6native12_GLOBAL__N_124fused_dropout_kernel_vecIN3c104HalfEfjLi1ELi4EhEEvNS_4cuda6detail10TensorInfoIKT_T1_EENS7_IS8_SA_EENS7_IT4_SA_EESA_T0_NS_15PhiloxCudaStateE,comdat
	.globl	_ZN2at6native12_GLOBAL__N_124fused_dropout_kernel_vecIN3c104HalfEfjLi1ELi4EhEEvNS_4cuda6detail10TensorInfoIKT_T1_EENS7_IS8_SA_EENS7_IT4_SA_EESA_T0_NS_15PhiloxCudaStateE ; -- Begin function _ZN2at6native12_GLOBAL__N_124fused_dropout_kernel_vecIN3c104HalfEfjLi1ELi4EhEEvNS_4cuda6detail10TensorInfoIKT_T1_EENS7_IS8_SA_EENS7_IT4_SA_EESA_T0_NS_15PhiloxCudaStateE
	.p2align	8
	.type	_ZN2at6native12_GLOBAL__N_124fused_dropout_kernel_vecIN3c104HalfEfjLi1ELi4EhEEvNS_4cuda6detail10TensorInfoIKT_T1_EENS7_IS8_SA_EENS7_IT4_SA_EESA_T0_NS_15PhiloxCudaStateE,@function
_ZN2at6native12_GLOBAL__N_124fused_dropout_kernel_vecIN3c104HalfEfjLi1ELi4EhEEvNS_4cuda6detail10TensorInfoIKT_T1_EENS7_IS8_SA_EENS7_IT4_SA_EESA_T0_NS_15PhiloxCudaStateE: ; @_ZN2at6native12_GLOBAL__N_124fused_dropout_kernel_vecIN3c104HalfEfjLi1ELi4EhEEvNS_4cuda6detail10TensorInfoIKT_T1_EENS7_IS8_SA_EENS7_IT4_SA_EESA_T0_NS_15PhiloxCudaStateE
; %bb.0:
	s_clause 0x1
	s_load_b128 s[4:7], s[0:1], 0x290
	s_load_b32 s2, s[0:1], 0x2a8
	s_waitcnt lgkmcnt(0)
	v_dual_mov_b32 v3, s6 :: v_dual_mov_b32 v4, s7
	v_dual_mov_b32 v12, s5 :: v_dual_mov_b32 v11, s4
	s_bitcmp0_b32 s2, 0
	s_cbranch_scc1 .LBB72_2
; %bb.1:
	v_dual_mov_b32 v1, s6 :: v_dual_mov_b32 v2, s7
	v_dual_mov_b32 v3, s4 :: v_dual_mov_b32 v4, s5
	s_load_b64 s[2:3], s[0:1], 0x2a0
	flat_load_b64 v[1:2], v[1:2]
	flat_load_b64 v[11:12], v[3:4]
	s_waitcnt vmcnt(1) lgkmcnt(0)
	v_add_co_u32 v3, vcc_lo, v1, s2
	v_add_co_ci_u32_e32 v4, vcc_lo, s3, v2, vcc_lo
.LBB72_2:
	s_clause 0x1
	s_load_b32 s6, s[0:1], 0x2bc
	s_load_b64 s[4:5], s[0:1], 0x288
	s_add_u32 s2, s0, 0x2b0
	s_addc_u32 s3, s1, 0
	s_waitcnt lgkmcnt(0)
	s_and_b32 s12, s6, 0xffff
	s_mov_b32 s6, exec_lo
	v_mad_u64_u32 v[13:14], null, s15, s12, v[0:1]
	s_delay_alu instid0(VALU_DEP_1) | instskip(NEXT) | instid1(VALU_DEP_1)
	v_lshlrev_b32_e32 v14, 2, v13
	v_cmpx_gt_u32_e64 s4, v14
	s_cbranch_execz .LBB72_15
; %bb.3:
	v_mad_u64_u32 v[0:1], null, 0xcd9e8d57, v13, 0
	v_alignbit_b32 v18, v4, v3, 2
	v_lshrrev_b32_e32 v19, 2, v4
	s_waitcnt vmcnt(0)
	v_mov_b32_e32 v15, v12
	v_add_co_u32 v21, null, 0x9e3779b9, v11
	v_mad_u64_u32 v[4:5], null, 0xd2511f53, v18, 0
	v_xor3_b32 v6, v11, v1, v19
	s_delay_alu instid0(VALU_DEP_4) | instskip(SKIP_1) | instid1(VALU_DEP_3)
	v_add_co_u32 v20, null, 0xbb67ae85, v15
	v_add_co_u32 v22, null, 0x3c6ef372, v11
	v_mad_u64_u32 v[1:2], null, 0xd2511f53, v6, 0
	v_xor_b32_e32 v7, v5, v12
	v_add_co_u32 v23, null, 0x76cf5d0a, v15
	v_add_co_u32 v24, null, 0x32370b8f, v15
	s_delay_alu instid0(VALU_DEP_3) | instskip(SKIP_3) | instid1(VALU_DEP_3)
	v_mad_u64_u32 v[5:6], null, 0xcd9e8d57, v7, 0
	v_xor3_b32 v2, v20, v2, v4
	v_add_co_u32 v25, null, 0xdaa66d2b, v11
	v_add_co_u32 v26, null, 0x78dde6e4, v11
	v_mad_u64_u32 v[7:8], null, 0xcd9e8d57, v2, 0
	v_xor3_b32 v0, v6, v21, v0
	v_add_co_u32 v27, null, 0xed9eba14, v15
	v_add_co_u32 v28, null, 0xa9066899, v15
	s_delay_alu instid0(VALU_DEP_3) | instskip(SKIP_3) | instid1(VALU_DEP_3)
	v_mad_u64_u32 v[9:10], null, 0xd2511f53, v0, 0
	v_xor3_b32 v0, v22, v8, v5
	v_div_scale_f32 v16, null, s5, s5, 1.0
	v_add_co_u32 v29, null, 0x1715609d, v11
	v_mad_u64_u32 v[4:5], null, 0xd2511f53, v0, 0
	v_xor3_b32 v2, v10, v23, v1
	s_delay_alu instid0(VALU_DEP_4) | instskip(SKIP_2) | instid1(VALU_DEP_3)
	v_rcp_f32_e32 v17, v16
	v_add_co_u32 v30, null, 0xb54cda56, v11
	v_add_co_u32 v31, null, 0x646e171e, v15
	v_mad_u64_u32 v[0:1], null, 0xcd9e8d57, v2, 0
	v_xor3_b32 v2, v24, v5, v9
	v_add_co_u32 v32, null, 0x1fd5c5a3, v15
	v_div_scale_f32 v36, vcc_lo, 1.0, s5, 1.0
	s_delay_alu instid0(VALU_DEP_3) | instskip(SKIP_3) | instid1(VALU_DEP_3)
	v_mad_u64_u32 v[5:6], null, 0xcd9e8d57, v2, 0
	v_xor3_b32 v7, v1, v25, v7
	v_add_co_u32 v33, null, 0x5384540f, v11
	v_add_co_u32 v34, null, 0xf1bbcdc8, v11
	v_mad_u64_u32 v[1:2], null, 0xd2511f53, v7, 0
	v_xor3_b32 v0, v26, v6, v0
	s_load_b32 s2, s[2:3], 0x0
	s_clause 0x2
	s_load_b64 s[6:7], s[0:1], 0x0
	s_load_b64 s[8:9], s[0:1], 0xd8
	;; [unrolled: 1-line block ×3, first 2 shown]
	s_mov_b32 s3, 0
	v_and_b32_e32 v38, 3, v3
	v_mad_u64_u32 v[6:7], null, 0xd2511f53, v0, 0
	v_xor3_b32 v0, v2, v27, v4
	s_delay_alu instid0(VALU_DEP_1) | instskip(NEXT) | instid1(VALU_DEP_3)
	v_mad_u64_u32 v[8:9], null, 0xcd9e8d57, v0, 0
	v_xor3_b32 v2, v28, v7, v1
	s_delay_alu instid0(VALU_DEP_1) | instskip(NEXT) | instid1(VALU_DEP_3)
	v_mad_u64_u32 v[0:1], null, 0xcd9e8d57, v2, 0
	v_xor3_b32 v2, v9, v29, v5
	s_waitcnt lgkmcnt(0)
	s_mul_i32 s2, s2, s12
	s_delay_alu instid0(SALU_CYCLE_1) | instskip(NEXT) | instid1(VALU_DEP_1)
	s_lshl_b32 s12, s2, 2
	v_mad_u64_u32 v[4:5], null, 0xd2511f53, v2, 0
	s_delay_alu instid0(VALU_DEP_3) | instskip(SKIP_1) | instid1(VALU_DEP_2)
	v_xor3_b32 v7, v30, v1, v8
	v_fma_f32 v8, -v16, v17, 1.0
	v_mad_u64_u32 v[1:2], null, 0xd2511f53, v7, 0
	s_delay_alu instid0(VALU_DEP_4) | instskip(NEXT) | instid1(VALU_DEP_3)
	v_xor3_b32 v7, v5, v31, v6
	v_fmac_f32_e32 v17, v8, v17
	s_delay_alu instid0(VALU_DEP_2) | instskip(NEXT) | instid1(VALU_DEP_4)
	v_mad_u64_u32 v[5:6], null, 0xcd9e8d57, v7, 0
	v_xor3_b32 v2, v32, v2, v4
	s_delay_alu instid0(VALU_DEP_3) | instskip(NEXT) | instid1(VALU_DEP_2)
	v_mul_f32_e32 v37, v36, v17
	v_mad_u64_u32 v[7:8], null, 0xcd9e8d57, v2, 0
	s_delay_alu instid0(VALU_DEP_2) | instskip(SKIP_1) | instid1(VALU_DEP_2)
	v_fma_f32 v2, -v16, v37, v36
	v_xor3_b32 v0, v6, v33, v0
	v_fmac_f32_e32 v37, v2, v17
	s_delay_alu instid0(VALU_DEP_2) | instskip(SKIP_1) | instid1(VALU_DEP_3)
	v_mad_u64_u32 v[9:10], null, 0xd2511f53, v0, 0
	v_xor3_b32 v0, v34, v8, v5
	v_fma_f32 v8, -v16, v37, v36
	v_add_nc_u32_e32 v36, 0x8ff34781, v11
	v_add_co_u32 v35, null, 0xdb3d7428, v15
	s_delay_alu instid0(VALU_DEP_4) | instskip(NEXT) | instid1(VALU_DEP_4)
	v_mad_u64_u32 v[4:5], null, 0xd2511f53, v0, 0
	v_div_fmas_f32 v0, v8, v17, v37
	s_delay_alu instid0(VALU_DEP_3) | instskip(SKIP_2) | instid1(VALU_DEP_4)
	v_xor3_b32 v6, v10, v35, v1
	v_mov_b32_e32 v15, 0
	v_add_nc_u32_e32 v37, 0x96a522ad, v12
	v_div_fixup_f32 v39, v0, s5, 1.0
	s_delay_alu instid0(VALU_DEP_4) | instskip(NEXT) | instid1(VALU_DEP_4)
	v_mad_u64_u32 v[1:2], null, 0xcd9e8d57, v6, 0
	v_dual_mov_b32 v40, v15 :: v_dual_mov_b32 v3, v4
	s_delay_alu instid0(VALU_DEP_2)
	v_xor3_b32 v0, v7, v2, v36
	v_xor3_b32 v2, v5, v9, v37
	s_branch .LBB72_6
.LBB72_4:                               ;   in Loop: Header=BB72_6 Depth=1
	s_or_b32 exec_lo, exec_lo, s1
.LBB72_5:                               ;   in Loop: Header=BB72_6 Depth=1
	s_delay_alu instid0(SALU_CYCLE_1)
	s_or_b32 exec_lo, exec_lo, s0
	v_lshlrev_b64 v[7:8], 1, v[14:15]
	v_cvt_f32_u32_e32 v0, v0
	v_cvt_f32_u32_e32 v1, v1
	;; [unrolled: 1-line block ×4, first 2 shown]
	s_delay_alu instid0(VALU_DEP_3) | instskip(SKIP_2) | instid1(VALU_DEP_4)
	v_dual_fmaak_f32 v0, 0x2f800000, v0, 0x2f800000 :: v_dual_fmaak_f32 v1, 0x2f800000, v1, 0x2f800000
	v_add_co_u32 v9, vcc_lo, s6, v7
	v_add_co_ci_u32_e32 v10, vcc_lo, s7, v8, vcc_lo
	v_dual_fmaak_f32 v3, 0x2f800000, v3, 0x2f800000 :: v_dual_fmaak_f32 v2, 0x2f800000, v2, 0x2f800000
	s_delay_alu instid0(VALU_DEP_4)
	v_cmp_gt_f32_e64 s0, s5, v1
	global_load_b64 v[9:10], v[9:10], off
	v_cmp_gt_f32_e32 vcc_lo, s5, v0
	v_cmp_gt_f32_e64 s1, s5, v3
	v_cmp_gt_f32_e64 s2, s5, v2
	v_cndmask_b32_e64 v2, 0, 1, s0
	v_cndmask_b32_e64 v1, 0, 1.0, s0
	v_cndmask_b32_e64 v42, 0, 1, vcc_lo
	v_cndmask_b32_e64 v17, 0, 1, s1
	v_cndmask_b32_e64 v43, 0, 1, s2
	v_lshlrev_b16 v2, 8, v2
	v_cndmask_b32_e64 v0, 0, 1.0, vcc_lo
	v_cndmask_b32_e64 v41, 0, 1.0, s2
	v_lshlrev_b16 v17, 8, v17
	v_cndmask_b32_e64 v3, 0, 1.0, s1
	v_or_b32_e32 v2, v42, v2
	s_delay_alu instid0(VALU_DEP_3) | instskip(NEXT) | instid1(VALU_DEP_1)
	v_or_b32_e32 v17, v43, v17
	v_lshlrev_b32_e32 v17, 16, v17
	s_waitcnt vmcnt(0)
	v_cvt_f32_f16_e32 v42, v9
	v_lshrrev_b32_e32 v9, 16, v9
	v_cvt_f32_f16_e32 v43, v10
	v_lshrrev_b32_e32 v10, 16, v10
	v_and_b32_e32 v44, 0xffff, v2
	v_mul_f32_e32 v0, v0, v42
	v_cvt_f32_f16_e32 v2, v9
	v_mul_f32_e32 v9, v41, v43
	v_cvt_f32_f16_e32 v10, v10
	s_delay_alu instid0(VALU_DEP_4) | instskip(NEXT) | instid1(VALU_DEP_4)
	v_fma_mixlo_f16 v0, v39, v0, 0
	v_mul_f32_e32 v41, v1, v2
	s_delay_alu instid0(VALU_DEP_4) | instskip(NEXT) | instid1(VALU_DEP_4)
	v_fma_mixlo_f16 v1, v39, v9, 0
	v_mul_f32_e32 v9, v3, v10
	v_add_co_u32 v2, vcc_lo, s8, v7
	v_add_co_ci_u32_e32 v3, vcc_lo, s9, v8, vcc_lo
	s_delay_alu instid0(VALU_DEP_3)
	v_fma_mixhi_f16 v1, v39, v9, 0
	v_fma_mixhi_f16 v0, v39, v41, 0
	v_or_b32_e32 v7, v44, v17
	global_store_b64 v[2:3], v[0:1], off
	global_store_b32 v14, v7, s[10:11]
	v_dual_mov_b32 v7, v16 :: v_dual_add_nc_u32 v14, s12, v14
	v_dual_mov_b32 v0, v4 :: v_dual_mov_b32 v1, v5
	v_mov_b32_e32 v2, v6
	s_delay_alu instid0(VALU_DEP_3) | instskip(NEXT) | instid1(VALU_DEP_4)
	v_cmp_le_u32_e32 vcc_lo, s4, v14
	v_mov_b32_e32 v3, v7
	s_waitcnt_vscnt null, 0x0
	s_barrier
	buffer_gl0_inv
	s_or_b32 s3, vcc_lo, s3
	s_delay_alu instid0(SALU_CYCLE_1)
	s_and_not1_b32 exec_lo, exec_lo, s3
	s_cbranch_execz .LBB72_15
.LBB72_6:                               ; =>This Inner Loop Header: Depth=1
	v_add_co_u32 v18, vcc_lo, v18, 1
	s_delay_alu instid0(VALU_DEP_1) | instskip(SKIP_2) | instid1(VALU_DEP_1)
	v_cndmask_b32_e64 v4, 0, 1, vcc_lo
	v_add_co_ci_u32_e32 v19, vcc_lo, 0, v19, vcc_lo
	s_mov_b32 s0, exec_lo
	v_cmp_eq_u32_e32 vcc_lo, 0, v19
	s_delay_alu instid0(VALU_DEP_3) | instskip(NEXT) | instid1(VALU_DEP_1)
	v_cndmask_b32_e32 v4, 0, v4, vcc_lo
	v_add_nc_u32_e32 v13, v4, v13
	s_delay_alu instid0(VALU_DEP_1) | instskip(SKIP_2) | instid1(VALU_DEP_2)
	v_cmp_eq_u32_e32 vcc_lo, 0, v13
	v_cndmask_b32_e32 v4, 0, v4, vcc_lo
	v_mad_u64_u32 v[6:7], null, 0xcd9e8d57, v13, 0
	v_add_nc_u32_e32 v40, v4, v40
	v_mad_u64_u32 v[4:5], null, 0xd2511f53, v18, 0
	s_delay_alu instid0(VALU_DEP_3) | instskip(NEXT) | instid1(VALU_DEP_2)
	v_xor3_b32 v9, v7, v11, v19
	v_xor_b32_e32 v5, v5, v12
	s_delay_alu instid0(VALU_DEP_2) | instskip(NEXT) | instid1(VALU_DEP_2)
	v_mad_u64_u32 v[7:8], null, 0xd2511f53, v9, 0
	v_xor_b32_e32 v5, v40, v5
	s_delay_alu instid0(VALU_DEP_2) | instskip(NEXT) | instid1(VALU_DEP_2)
	v_xor3_b32 v8, v20, v8, v4
	v_mad_u64_u32 v[9:10], null, 0xcd9e8d57, v5, 0
	s_delay_alu instid0(VALU_DEP_2) | instskip(NEXT) | instid1(VALU_DEP_2)
	v_mad_u64_u32 v[4:5], null, 0xcd9e8d57, v8, 0
	v_xor3_b32 v6, v21, v10, v6
	s_delay_alu instid0(VALU_DEP_2) | instskip(NEXT) | instid1(VALU_DEP_2)
	v_xor3_b32 v8, v22, v5, v9
	v_mad_u64_u32 v[16:17], null, 0xd2511f53, v6, 0
	s_delay_alu instid0(VALU_DEP_2) | instskip(NEXT) | instid1(VALU_DEP_2)
	v_mad_u64_u32 v[5:6], null, 0xd2511f53, v8, 0
	v_xor3_b32 v9, v23, v17, v7
	s_delay_alu instid0(VALU_DEP_2) | instskip(NEXT) | instid1(VALU_DEP_2)
	v_xor3_b32 v6, v24, v6, v16
	v_mad_u64_u32 v[7:8], null, 0xcd9e8d57, v9, 0
	s_delay_alu instid0(VALU_DEP_1) | instskip(NEXT) | instid1(VALU_DEP_3)
	v_xor3_b32 v4, v25, v8, v4
	v_mad_u64_u32 v[8:9], null, 0xcd9e8d57, v6, 0
	s_delay_alu instid0(VALU_DEP_2) | instskip(NEXT) | instid1(VALU_DEP_2)
	v_mad_u64_u32 v[16:17], null, 0xd2511f53, v4, 0
	v_xor3_b32 v6, v26, v9, v7
	s_delay_alu instid0(VALU_DEP_2) | instskip(NEXT) | instid1(VALU_DEP_2)
	v_xor3_b32 v9, v27, v17, v5
	v_mad_u64_u32 v[4:5], null, 0xd2511f53, v6, 0
	s_delay_alu instid0(VALU_DEP_2) | instskip(NEXT) | instid1(VALU_DEP_2)
	v_mad_u64_u32 v[6:7], null, 0xcd9e8d57, v9, 0
	v_xor3_b32 v5, v28, v5, v16
	s_delay_alu instid0(VALU_DEP_2) | instskip(NEXT) | instid1(VALU_DEP_2)
	;; [unrolled: 6-line block ×6, first 2 shown]
	v_xor3_b32 v4, v6, v7, v36
	v_mov_b32_e32 v6, v10
	v_cmpx_lt_i32_e32 1, v38
	s_xor_b32 s0, exec_lo, s0
	s_cbranch_execz .LBB72_12
; %bb.7:                                ;   in Loop: Header=BB72_6 Depth=1
	s_mov_b32 s1, exec_lo
	v_cmpx_lt_i32_e32 2, v38
	s_xor_b32 s1, exec_lo, s1
; %bb.8:                                ;   in Loop: Header=BB72_6 Depth=1
	v_dual_mov_b32 v7, v3 :: v_dual_mov_b32 v8, v4
	v_mov_b32_e32 v9, v5
	s_delay_alu instid0(VALU_DEP_2) | instskip(NEXT) | instid1(VALU_DEP_2)
	v_dual_mov_b32 v0, v7 :: v_dual_mov_b32 v1, v8
	v_dual_mov_b32 v2, v9 :: v_dual_mov_b32 v3, v10
; %bb.9:                                ;   in Loop: Header=BB72_6 Depth=1
	s_and_not1_saveexec_b32 s1, s1
; %bb.10:                               ;   in Loop: Header=BB72_6 Depth=1
	s_delay_alu instid0(VALU_DEP_1)
	v_dual_mov_b32 v0, v2 :: v_dual_mov_b32 v1, v3
	v_dual_mov_b32 v2, v4 :: v_dual_mov_b32 v3, v5
; %bb.11:                               ;   in Loop: Header=BB72_6 Depth=1
	s_or_b32 exec_lo, exec_lo, s1
.LBB72_12:                              ;   in Loop: Header=BB72_6 Depth=1
	s_and_not1_saveexec_b32 s0, s0
	s_cbranch_execz .LBB72_5
; %bb.13:                               ;   in Loop: Header=BB72_6 Depth=1
	s_mov_b32 s1, exec_lo
	v_cmpx_eq_u32_e32 1, v38
	s_cbranch_execz .LBB72_4
; %bb.14:                               ;   in Loop: Header=BB72_6 Depth=1
	v_dual_mov_b32 v0, v1 :: v_dual_mov_b32 v1, v2
	v_dual_mov_b32 v2, v3 :: v_dual_mov_b32 v3, v4
	s_branch .LBB72_4
.LBB72_15:
	s_endpgm
	.section	.rodata,"a",@progbits
	.p2align	6, 0x0
	.amdhsa_kernel _ZN2at6native12_GLOBAL__N_124fused_dropout_kernel_vecIN3c104HalfEfjLi1ELi4EhEEvNS_4cuda6detail10TensorInfoIKT_T1_EENS7_IS8_SA_EENS7_IT4_SA_EESA_T0_NS_15PhiloxCudaStateE
		.amdhsa_group_segment_fixed_size 0
		.amdhsa_private_segment_fixed_size 0
		.amdhsa_kernarg_size 944
		.amdhsa_user_sgpr_count 15
		.amdhsa_user_sgpr_dispatch_ptr 0
		.amdhsa_user_sgpr_queue_ptr 0
		.amdhsa_user_sgpr_kernarg_segment_ptr 1
		.amdhsa_user_sgpr_dispatch_id 0
		.amdhsa_user_sgpr_private_segment_size 0
		.amdhsa_wavefront_size32 1
		.amdhsa_uses_dynamic_stack 0
		.amdhsa_enable_private_segment 0
		.amdhsa_system_sgpr_workgroup_id_x 1
		.amdhsa_system_sgpr_workgroup_id_y 0
		.amdhsa_system_sgpr_workgroup_id_z 0
		.amdhsa_system_sgpr_workgroup_info 0
		.amdhsa_system_vgpr_workitem_id 0
		.amdhsa_next_free_vgpr 45
		.amdhsa_next_free_sgpr 16
		.amdhsa_reserve_vcc 1
		.amdhsa_float_round_mode_32 0
		.amdhsa_float_round_mode_16_64 0
		.amdhsa_float_denorm_mode_32 3
		.amdhsa_float_denorm_mode_16_64 3
		.amdhsa_dx10_clamp 1
		.amdhsa_ieee_mode 1
		.amdhsa_fp16_overflow 0
		.amdhsa_workgroup_processor_mode 1
		.amdhsa_memory_ordered 1
		.amdhsa_forward_progress 0
		.amdhsa_shared_vgpr_count 0
		.amdhsa_exception_fp_ieee_invalid_op 0
		.amdhsa_exception_fp_denorm_src 0
		.amdhsa_exception_fp_ieee_div_zero 0
		.amdhsa_exception_fp_ieee_overflow 0
		.amdhsa_exception_fp_ieee_underflow 0
		.amdhsa_exception_fp_ieee_inexact 0
		.amdhsa_exception_int_div_zero 0
	.end_amdhsa_kernel
	.section	.text._ZN2at6native12_GLOBAL__N_124fused_dropout_kernel_vecIN3c104HalfEfjLi1ELi4EhEEvNS_4cuda6detail10TensorInfoIKT_T1_EENS7_IS8_SA_EENS7_IT4_SA_EESA_T0_NS_15PhiloxCudaStateE,"axG",@progbits,_ZN2at6native12_GLOBAL__N_124fused_dropout_kernel_vecIN3c104HalfEfjLi1ELi4EhEEvNS_4cuda6detail10TensorInfoIKT_T1_EENS7_IS8_SA_EENS7_IT4_SA_EESA_T0_NS_15PhiloxCudaStateE,comdat
.Lfunc_end72:
	.size	_ZN2at6native12_GLOBAL__N_124fused_dropout_kernel_vecIN3c104HalfEfjLi1ELi4EhEEvNS_4cuda6detail10TensorInfoIKT_T1_EENS7_IS8_SA_EENS7_IT4_SA_EESA_T0_NS_15PhiloxCudaStateE, .Lfunc_end72-_ZN2at6native12_GLOBAL__N_124fused_dropout_kernel_vecIN3c104HalfEfjLi1ELi4EhEEvNS_4cuda6detail10TensorInfoIKT_T1_EENS7_IS8_SA_EENS7_IT4_SA_EESA_T0_NS_15PhiloxCudaStateE
                                        ; -- End function
	.section	.AMDGPU.csdata,"",@progbits
; Kernel info:
; codeLenInByte = 2096
; NumSgprs: 18
; NumVgprs: 45
; ScratchSize: 0
; MemoryBound: 0
; FloatMode: 240
; IeeeMode: 1
; LDSByteSize: 0 bytes/workgroup (compile time only)
; SGPRBlocks: 2
; VGPRBlocks: 5
; NumSGPRsForWavesPerEU: 18
; NumVGPRsForWavesPerEU: 45
; Occupancy: 16
; WaveLimiterHint : 1
; COMPUTE_PGM_RSRC2:SCRATCH_EN: 0
; COMPUTE_PGM_RSRC2:USER_SGPR: 15
; COMPUTE_PGM_RSRC2:TRAP_HANDLER: 0
; COMPUTE_PGM_RSRC2:TGID_X_EN: 1
; COMPUTE_PGM_RSRC2:TGID_Y_EN: 0
; COMPUTE_PGM_RSRC2:TGID_Z_EN: 0
; COMPUTE_PGM_RSRC2:TIDIG_COMP_CNT: 0
	.section	.text._ZN2at6native12_GLOBAL__N_124fused_dropout_kernel_vecIN3c104HalfEfjLi1ELi2EhEEvNS_4cuda6detail10TensorInfoIKT_T1_EENS7_IS8_SA_EENS7_IT4_SA_EESA_T0_NS_15PhiloxCudaStateE,"axG",@progbits,_ZN2at6native12_GLOBAL__N_124fused_dropout_kernel_vecIN3c104HalfEfjLi1ELi2EhEEvNS_4cuda6detail10TensorInfoIKT_T1_EENS7_IS8_SA_EENS7_IT4_SA_EESA_T0_NS_15PhiloxCudaStateE,comdat
	.globl	_ZN2at6native12_GLOBAL__N_124fused_dropout_kernel_vecIN3c104HalfEfjLi1ELi2EhEEvNS_4cuda6detail10TensorInfoIKT_T1_EENS7_IS8_SA_EENS7_IT4_SA_EESA_T0_NS_15PhiloxCudaStateE ; -- Begin function _ZN2at6native12_GLOBAL__N_124fused_dropout_kernel_vecIN3c104HalfEfjLi1ELi2EhEEvNS_4cuda6detail10TensorInfoIKT_T1_EENS7_IS8_SA_EENS7_IT4_SA_EESA_T0_NS_15PhiloxCudaStateE
	.p2align	8
	.type	_ZN2at6native12_GLOBAL__N_124fused_dropout_kernel_vecIN3c104HalfEfjLi1ELi2EhEEvNS_4cuda6detail10TensorInfoIKT_T1_EENS7_IS8_SA_EENS7_IT4_SA_EESA_T0_NS_15PhiloxCudaStateE,@function
_ZN2at6native12_GLOBAL__N_124fused_dropout_kernel_vecIN3c104HalfEfjLi1ELi2EhEEvNS_4cuda6detail10TensorInfoIKT_T1_EENS7_IS8_SA_EENS7_IT4_SA_EESA_T0_NS_15PhiloxCudaStateE: ; @_ZN2at6native12_GLOBAL__N_124fused_dropout_kernel_vecIN3c104HalfEfjLi1ELi2EhEEvNS_4cuda6detail10TensorInfoIKT_T1_EENS7_IS8_SA_EENS7_IT4_SA_EESA_T0_NS_15PhiloxCudaStateE
; %bb.0:
	s_clause 0x1
	s_load_b128 s[4:7], s[0:1], 0x290
	s_load_b32 s2, s[0:1], 0x2a8
	s_waitcnt lgkmcnt(0)
	v_dual_mov_b32 v3, s6 :: v_dual_mov_b32 v4, s7
	v_dual_mov_b32 v9, s5 :: v_dual_mov_b32 v8, s4
	s_bitcmp0_b32 s2, 0
	s_cbranch_scc1 .LBB73_2
; %bb.1:
	v_dual_mov_b32 v1, s6 :: v_dual_mov_b32 v2, s7
	v_dual_mov_b32 v3, s4 :: v_dual_mov_b32 v4, s5
	s_load_b64 s[2:3], s[0:1], 0x2a0
	flat_load_b64 v[1:2], v[1:2]
	flat_load_b64 v[8:9], v[3:4]
	s_waitcnt vmcnt(1) lgkmcnt(0)
	v_add_co_u32 v3, vcc_lo, v1, s2
	v_add_co_ci_u32_e32 v4, vcc_lo, s3, v2, vcc_lo
.LBB73_2:
	s_clause 0x1
	s_load_b32 s6, s[0:1], 0x2bc
	s_load_b64 s[2:3], s[0:1], 0x288
	s_add_u32 s4, s0, 0x2b0
	s_addc_u32 s5, s1, 0
	s_waitcnt lgkmcnt(0)
	s_and_b32 s10, s6, 0xffff
	s_mov_b32 s6, exec_lo
	v_mad_u64_u32 v[10:11], null, s15, s10, v[0:1]
	s_delay_alu instid0(VALU_DEP_1) | instskip(NEXT) | instid1(VALU_DEP_1)
	v_lshlrev_b32_e32 v11, 1, v10
	v_cmpx_gt_u32_e64 s2, v11
	s_cbranch_execz .LBB73_15
; %bb.3:
	v_mad_u64_u32 v[0:1], null, 0xcd9e8d57, v10, 0
	v_alignbit_b32 v15, v4, v3, 2
	v_lshrrev_b32_e32 v16, 2, v4
	s_waitcnt vmcnt(0)
	v_mov_b32_e32 v32, v9
	v_add_co_u32 v18, null, 0x9e3779b9, v8
	v_mad_u64_u32 v[4:5], null, 0xd2511f53, v15, 0
	v_xor3_b32 v6, v8, v1, v16
	s_delay_alu instid0(VALU_DEP_4) | instskip(SKIP_1) | instid1(VALU_DEP_3)
	v_add_co_u32 v17, null, 0xbb67ae85, v32
	v_add_co_u32 v19, null, 0x3c6ef372, v8
	v_mad_u64_u32 v[1:2], null, 0xd2511f53, v6, 0
	v_xor_b32_e32 v7, v5, v9
	v_add_co_u32 v20, null, 0x76cf5d0a, v32
	v_add_co_u32 v21, null, 0x32370b8f, v32
	s_delay_alu instid0(VALU_DEP_3) | instskip(SKIP_3) | instid1(VALU_DEP_3)
	v_mad_u64_u32 v[5:6], null, 0xcd9e8d57, v7, 0
	v_xor3_b32 v2, v17, v2, v4
	v_add_co_u32 v22, null, 0xdaa66d2b, v8
	v_add_co_u32 v23, null, 0x78dde6e4, v8
	v_mad_u64_u32 v[12:13], null, 0xcd9e8d57, v2, 0
	v_xor3_b32 v0, v6, v18, v0
	v_add_co_u32 v24, null, 0xed9eba14, v32
	v_add_co_u32 v25, null, 0xa9066899, v32
	s_delay_alu instid0(VALU_DEP_3) | instskip(SKIP_3) | instid1(VALU_DEP_3)
	v_mad_u64_u32 v[6:7], null, 0xd2511f53, v0, 0
	v_xor3_b32 v0, v19, v13, v5
	v_add_co_u32 v26, null, 0x1715609d, v8
	v_add_co_u32 v27, null, 0xb54cda56, v8
	v_mad_u64_u32 v[4:5], null, 0xd2511f53, v0, 0
	v_xor3_b32 v2, v7, v20, v1
	v_add_co_u32 v28, null, 0x646e171e, v32
	v_div_scale_f32 v33, null, s3, s3, 1.0
	s_delay_alu instid0(VALU_DEP_3) | instskip(SKIP_2) | instid1(VALU_DEP_4)
	v_mad_u64_u32 v[0:1], null, 0xcd9e8d57, v2, 0
	v_xor3_b32 v2, v21, v5, v6
	v_add_co_u32 v29, null, 0x1fd5c5a3, v32
	v_rcp_f32_e32 v34, v33
	v_add_co_u32 v30, null, 0x5384540f, v8
	s_delay_alu instid0(VALU_DEP_3) | instskip(SKIP_3) | instid1(VALU_DEP_3)
	v_mad_u64_u32 v[5:6], null, 0xcd9e8d57, v2, 0
	v_xor3_b32 v7, v1, v22, v12
	v_add_co_u32 v31, null, 0xf1bbcdc8, v8
	v_div_scale_f32 v35, vcc_lo, 1.0, s3, 1.0
	v_mad_u64_u32 v[1:2], null, 0xd2511f53, v7, 0
	v_xor3_b32 v0, v23, v6, v0
	s_load_b32 s11, s[4:5], 0x0
	s_clause 0x2
	s_load_b64 s[4:5], s[0:1], 0x0
	s_load_b64 s[6:7], s[0:1], 0xd8
	;; [unrolled: 1-line block ×3, first 2 shown]
	s_mov_b32 s1, 0
	v_mad_u64_u32 v[6:7], null, 0xd2511f53, v0, 0
	v_xor3_b32 v0, v2, v24, v4
	s_delay_alu instid0(VALU_DEP_1) | instskip(NEXT) | instid1(VALU_DEP_3)
	v_mad_u64_u32 v[12:13], null, 0xcd9e8d57, v0, 0
	v_xor3_b32 v2, v25, v7, v1
	s_delay_alu instid0(VALU_DEP_1) | instskip(NEXT) | instid1(VALU_DEP_3)
	v_mad_u64_u32 v[0:1], null, 0xcd9e8d57, v2, 0
	v_xor3_b32 v2, v13, v26, v5
	s_waitcnt lgkmcnt(0)
	s_mul_i32 s11, s11, s10
	s_delay_alu instid0(SALU_CYCLE_1) | instskip(NEXT) | instid1(VALU_DEP_1)
	s_lshl_b32 s10, s11, 1
	v_mad_u64_u32 v[4:5], null, 0xd2511f53, v2, 0
	s_delay_alu instid0(VALU_DEP_3) | instskip(SKIP_1) | instid1(VALU_DEP_2)
	v_xor3_b32 v7, v27, v1, v12
	v_fma_f32 v12, -v33, v34, 1.0
	v_mad_u64_u32 v[1:2], null, 0xd2511f53, v7, 0
	s_delay_alu instid0(VALU_DEP_4) | instskip(NEXT) | instid1(VALU_DEP_3)
	v_xor3_b32 v7, v5, v28, v6
	v_fmac_f32_e32 v34, v12, v34
	s_delay_alu instid0(VALU_DEP_2) | instskip(NEXT) | instid1(VALU_DEP_4)
	v_mad_u64_u32 v[5:6], null, 0xcd9e8d57, v7, 0
	v_xor3_b32 v2, v29, v2, v4
	s_delay_alu instid0(VALU_DEP_1) | instskip(NEXT) | instid1(VALU_DEP_3)
	v_mad_u64_u32 v[13:14], null, 0xcd9e8d57, v2, 0
	v_xor3_b32 v0, v6, v30, v0
	s_delay_alu instid0(VALU_DEP_1) | instskip(NEXT) | instid1(VALU_DEP_3)
	v_mad_u64_u32 v[6:7], null, 0xd2511f53, v0, 0
	v_xor3_b32 v0, v31, v14, v5
	s_delay_alu instid0(VALU_DEP_1) | instskip(SKIP_1) | instid1(VALU_DEP_1)
	v_mad_u64_u32 v[4:5], null, 0xd2511f53, v0, 0
	v_mul_f32_e32 v12, v35, v34
	v_fma_f32 v2, -v33, v12, v35
	s_delay_alu instid0(VALU_DEP_1) | instskip(NEXT) | instid1(VALU_DEP_1)
	v_fmac_f32_e32 v12, v2, v34
	v_fma_f32 v14, -v33, v12, v35
	v_add_nc_u32_e32 v33, 0x8ff34781, v8
	v_add_co_u32 v32, null, 0xdb3d7428, v32
	v_and_b32_e32 v35, 3, v3
	v_mov_b32_e32 v3, v4
	v_div_fmas_f32 v0, v14, v34, v12
	s_delay_alu instid0(VALU_DEP_4) | instskip(SKIP_2) | instid1(VALU_DEP_4)
	v_xor3_b32 v7, v7, v32, v1
	v_mov_b32_e32 v12, 0
	v_add_nc_u32_e32 v34, 0x96a522ad, v9
	v_div_fixup_f32 v36, v0, s3, 1.0
	s_delay_alu instid0(VALU_DEP_4) | instskip(NEXT) | instid1(VALU_DEP_4)
	v_mad_u64_u32 v[1:2], null, 0xcd9e8d57, v7, 0
	v_mov_b32_e32 v37, v12
	s_delay_alu instid0(VALU_DEP_2)
	v_xor3_b32 v0, v13, v2, v33
	v_xor3_b32 v2, v5, v6, v34
	s_branch .LBB73_6
.LBB73_4:                               ;   in Loop: Header=BB73_6 Depth=1
	s_or_b32 exec_lo, exec_lo, s11
.LBB73_5:                               ;   in Loop: Header=BB73_6 Depth=1
	s_delay_alu instid0(SALU_CYCLE_1) | instskip(SKIP_3) | instid1(VALU_DEP_1)
	s_or_b32 exec_lo, exec_lo, s0
	v_lshlrev_b64 v[2:3], 1, v[11:12]
	v_cvt_f32_u32_e32 v0, v0
	v_cvt_f32_u32_e32 v1, v1
	v_dual_fmaak_f32 v0, 0x2f800000, v0, 0x2f800000 :: v_dual_fmaak_f32 v1, 0x2f800000, v1, 0x2f800000
	s_delay_alu instid0(VALU_DEP_4) | instskip(SKIP_1) | instid1(VALU_DEP_3)
	v_add_co_u32 v38, vcc_lo, s4, v2
	v_add_co_ci_u32_e32 v39, vcc_lo, s5, v3, vcc_lo
	v_cmp_gt_f32_e32 vcc_lo, s3, v0
	s_delay_alu instid0(VALU_DEP_4) | instskip(SKIP_4) | instid1(VALU_DEP_1)
	v_cmp_gt_f32_e64 s0, s3, v1
	global_load_b32 v7, v[38:39], off
	v_cndmask_b32_e64 v0, 0, 1.0, vcc_lo
	v_cndmask_b32_e64 v14, 0, 1.0, s0
	v_cndmask_b32_e64 v38, 0, 1, s0
	v_lshlrev_b16 v38, 8, v38
	s_waitcnt vmcnt(0)
	v_cvt_f32_f16_e32 v1, v7
	v_lshrrev_b32_e32 v7, 16, v7
	s_delay_alu instid0(VALU_DEP_2) | instskip(NEXT) | instid1(VALU_DEP_2)
	v_mul_f32_e32 v0, v0, v1
	v_cvt_f32_f16_e32 v1, v7
	v_cndmask_b32_e64 v7, 0, 1, vcc_lo
	s_delay_alu instid0(VALU_DEP_3) | instskip(NEXT) | instid1(VALU_DEP_3)
	v_fma_mixlo_f16 v39, v36, v0, 0
	v_mul_f32_e32 v14, v14, v1
	v_add_co_u32 v0, vcc_lo, s6, v2
	v_add_co_ci_u32_e32 v1, vcc_lo, s7, v3, vcc_lo
	v_or_b32_e32 v2, v7, v38
	v_mov_b32_e32 v7, v13
	v_fma_mixhi_f16 v39, v36, v14, 0
	global_store_b32 v[0:1], v39, off
	global_store_b16 v11, v2, s[8:9]
	v_dual_mov_b32 v0, v4 :: v_dual_add_nc_u32 v11, s10, v11
	v_dual_mov_b32 v1, v5 :: v_dual_mov_b32 v2, v6
	v_mov_b32_e32 v3, v7
	s_delay_alu instid0(VALU_DEP_3) | instskip(SKIP_4) | instid1(SALU_CYCLE_1)
	v_cmp_le_u32_e32 vcc_lo, s2, v11
	s_waitcnt_vscnt null, 0x0
	s_barrier
	buffer_gl0_inv
	s_or_b32 s1, vcc_lo, s1
	s_and_not1_b32 exec_lo, exec_lo, s1
	s_cbranch_execz .LBB73_15
.LBB73_6:                               ; =>This Inner Loop Header: Depth=1
	v_add_co_u32 v15, vcc_lo, v15, 1
	s_delay_alu instid0(VALU_DEP_1) | instskip(SKIP_2) | instid1(VALU_DEP_1)
	v_cndmask_b32_e64 v4, 0, 1, vcc_lo
	v_add_co_ci_u32_e32 v16, vcc_lo, 0, v16, vcc_lo
	s_mov_b32 s0, exec_lo
	v_cmp_eq_u32_e32 vcc_lo, 0, v16
	s_delay_alu instid0(VALU_DEP_3) | instskip(NEXT) | instid1(VALU_DEP_1)
	v_cndmask_b32_e32 v4, 0, v4, vcc_lo
	v_add_nc_u32_e32 v10, v4, v10
	s_delay_alu instid0(VALU_DEP_1) | instskip(SKIP_2) | instid1(VALU_DEP_2)
	v_cmp_eq_u32_e32 vcc_lo, 0, v10
	v_mad_u64_u32 v[6:7], null, 0xcd9e8d57, v10, 0
	v_cndmask_b32_e32 v4, 0, v4, vcc_lo
	v_xor3_b32 v7, v7, v8, v16
	s_delay_alu instid0(VALU_DEP_2) | instskip(SKIP_1) | instid1(VALU_DEP_3)
	v_add_nc_u32_e32 v37, v4, v37
	v_mad_u64_u32 v[4:5], null, 0xd2511f53, v15, 0
	v_mad_u64_u32 v[38:39], null, 0xd2511f53, v7, 0
	s_delay_alu instid0(VALU_DEP_2) | instskip(NEXT) | instid1(VALU_DEP_1)
	v_xor_b32_e32 v5, v5, v9
	v_xor_b32_e32 v5, v37, v5
	s_delay_alu instid0(VALU_DEP_1) | instskip(NEXT) | instid1(VALU_DEP_1)
	v_mad_u64_u32 v[13:14], null, 0xcd9e8d57, v5, 0
	v_xor3_b32 v6, v18, v14, v6
	v_xor3_b32 v14, v17, v39, v4
	s_delay_alu instid0(VALU_DEP_2) | instskip(NEXT) | instid1(VALU_DEP_2)
	v_mad_u64_u32 v[4:5], null, 0xd2511f53, v6, 0
	v_mad_u64_u32 v[6:7], null, 0xcd9e8d57, v14, 0
	s_delay_alu instid0(VALU_DEP_2) | instskip(NEXT) | instid1(VALU_DEP_2)
	v_xor3_b32 v5, v20, v5, v38
	v_xor3_b32 v7, v19, v7, v13
	s_delay_alu instid0(VALU_DEP_2) | instskip(NEXT) | instid1(VALU_DEP_2)
	v_mad_u64_u32 v[13:14], null, 0xcd9e8d57, v5, 0
	v_mad_u64_u32 v[38:39], null, 0xd2511f53, v7, 0
	s_delay_alu instid0(VALU_DEP_2) | instskip(NEXT) | instid1(VALU_DEP_2)
	;; [unrolled: 6-line block ×8, first 2 shown]
	v_xor3_b32 v4, v6, v4, v33
	v_xor3_b32 v6, v14, v39, v34
	v_cmpx_lt_i32_e32 1, v35
	s_xor_b32 s0, exec_lo, s0
	s_cbranch_execz .LBB73_12
; %bb.7:                                ;   in Loop: Header=BB73_6 Depth=1
	s_mov_b32 s11, exec_lo
	v_cmpx_lt_i32_e32 2, v35
	s_xor_b32 s11, exec_lo, s11
; %bb.8:                                ;   in Loop: Header=BB73_6 Depth=1
	v_dual_mov_b32 v0, v3 :: v_dual_mov_b32 v1, v4
; %bb.9:                                ;   in Loop: Header=BB73_6 Depth=1
	s_and_not1_saveexec_b32 s11, s11
; %bb.10:                               ;   in Loop: Header=BB73_6 Depth=1
	v_dual_mov_b32 v0, v2 :: v_dual_mov_b32 v1, v3
; %bb.11:                               ;   in Loop: Header=BB73_6 Depth=1
	s_or_b32 exec_lo, exec_lo, s11
.LBB73_12:                              ;   in Loop: Header=BB73_6 Depth=1
	s_and_not1_saveexec_b32 s0, s0
	s_cbranch_execz .LBB73_5
; %bb.13:                               ;   in Loop: Header=BB73_6 Depth=1
	s_mov_b32 s11, exec_lo
	v_cmpx_eq_u32_e32 1, v35
	s_cbranch_execz .LBB73_4
; %bb.14:                               ;   in Loop: Header=BB73_6 Depth=1
	v_dual_mov_b32 v0, v1 :: v_dual_mov_b32 v1, v2
	s_branch .LBB73_4
.LBB73_15:
	s_endpgm
	.section	.rodata,"a",@progbits
	.p2align	6, 0x0
	.amdhsa_kernel _ZN2at6native12_GLOBAL__N_124fused_dropout_kernel_vecIN3c104HalfEfjLi1ELi2EhEEvNS_4cuda6detail10TensorInfoIKT_T1_EENS7_IS8_SA_EENS7_IT4_SA_EESA_T0_NS_15PhiloxCudaStateE
		.amdhsa_group_segment_fixed_size 0
		.amdhsa_private_segment_fixed_size 0
		.amdhsa_kernarg_size 944
		.amdhsa_user_sgpr_count 15
		.amdhsa_user_sgpr_dispatch_ptr 0
		.amdhsa_user_sgpr_queue_ptr 0
		.amdhsa_user_sgpr_kernarg_segment_ptr 1
		.amdhsa_user_sgpr_dispatch_id 0
		.amdhsa_user_sgpr_private_segment_size 0
		.amdhsa_wavefront_size32 1
		.amdhsa_uses_dynamic_stack 0
		.amdhsa_enable_private_segment 0
		.amdhsa_system_sgpr_workgroup_id_x 1
		.amdhsa_system_sgpr_workgroup_id_y 0
		.amdhsa_system_sgpr_workgroup_id_z 0
		.amdhsa_system_sgpr_workgroup_info 0
		.amdhsa_system_vgpr_workitem_id 0
		.amdhsa_next_free_vgpr 41
		.amdhsa_next_free_sgpr 16
		.amdhsa_reserve_vcc 1
		.amdhsa_float_round_mode_32 0
		.amdhsa_float_round_mode_16_64 0
		.amdhsa_float_denorm_mode_32 3
		.amdhsa_float_denorm_mode_16_64 3
		.amdhsa_dx10_clamp 1
		.amdhsa_ieee_mode 1
		.amdhsa_fp16_overflow 0
		.amdhsa_workgroup_processor_mode 1
		.amdhsa_memory_ordered 1
		.amdhsa_forward_progress 0
		.amdhsa_shared_vgpr_count 0
		.amdhsa_exception_fp_ieee_invalid_op 0
		.amdhsa_exception_fp_denorm_src 0
		.amdhsa_exception_fp_ieee_div_zero 0
		.amdhsa_exception_fp_ieee_overflow 0
		.amdhsa_exception_fp_ieee_underflow 0
		.amdhsa_exception_fp_ieee_inexact 0
		.amdhsa_exception_int_div_zero 0
	.end_amdhsa_kernel
	.section	.text._ZN2at6native12_GLOBAL__N_124fused_dropout_kernel_vecIN3c104HalfEfjLi1ELi2EhEEvNS_4cuda6detail10TensorInfoIKT_T1_EENS7_IS8_SA_EENS7_IT4_SA_EESA_T0_NS_15PhiloxCudaStateE,"axG",@progbits,_ZN2at6native12_GLOBAL__N_124fused_dropout_kernel_vecIN3c104HalfEfjLi1ELi2EhEEvNS_4cuda6detail10TensorInfoIKT_T1_EENS7_IS8_SA_EENS7_IT4_SA_EESA_T0_NS_15PhiloxCudaStateE,comdat
.Lfunc_end73:
	.size	_ZN2at6native12_GLOBAL__N_124fused_dropout_kernel_vecIN3c104HalfEfjLi1ELi2EhEEvNS_4cuda6detail10TensorInfoIKT_T1_EENS7_IS8_SA_EENS7_IT4_SA_EESA_T0_NS_15PhiloxCudaStateE, .Lfunc_end73-_ZN2at6native12_GLOBAL__N_124fused_dropout_kernel_vecIN3c104HalfEfjLi1ELi2EhEEvNS_4cuda6detail10TensorInfoIKT_T1_EENS7_IS8_SA_EENS7_IT4_SA_EESA_T0_NS_15PhiloxCudaStateE
                                        ; -- End function
	.section	.AMDGPU.csdata,"",@progbits
; Kernel info:
; codeLenInByte = 1900
; NumSgprs: 18
; NumVgprs: 41
; ScratchSize: 0
; MemoryBound: 0
; FloatMode: 240
; IeeeMode: 1
; LDSByteSize: 0 bytes/workgroup (compile time only)
; SGPRBlocks: 2
; VGPRBlocks: 5
; NumSGPRsForWavesPerEU: 18
; NumVGPRsForWavesPerEU: 41
; Occupancy: 16
; WaveLimiterHint : 1
; COMPUTE_PGM_RSRC2:SCRATCH_EN: 0
; COMPUTE_PGM_RSRC2:USER_SGPR: 15
; COMPUTE_PGM_RSRC2:TRAP_HANDLER: 0
; COMPUTE_PGM_RSRC2:TGID_X_EN: 1
; COMPUTE_PGM_RSRC2:TGID_Y_EN: 0
; COMPUTE_PGM_RSRC2:TGID_Z_EN: 0
; COMPUTE_PGM_RSRC2:TIDIG_COMP_CNT: 0
	.section	.text._ZN2at6native12_GLOBAL__N_120fused_dropout_kernelIN3c104HalfEfjLi1ELi1EhEEvNS_4cuda6detail10TensorInfoIKT_T1_EENS7_IS8_SA_EENS7_IT4_SA_EESA_T0_NS_15PhiloxCudaStateE,"axG",@progbits,_ZN2at6native12_GLOBAL__N_120fused_dropout_kernelIN3c104HalfEfjLi1ELi1EhEEvNS_4cuda6detail10TensorInfoIKT_T1_EENS7_IS8_SA_EENS7_IT4_SA_EESA_T0_NS_15PhiloxCudaStateE,comdat
	.globl	_ZN2at6native12_GLOBAL__N_120fused_dropout_kernelIN3c104HalfEfjLi1ELi1EhEEvNS_4cuda6detail10TensorInfoIKT_T1_EENS7_IS8_SA_EENS7_IT4_SA_EESA_T0_NS_15PhiloxCudaStateE ; -- Begin function _ZN2at6native12_GLOBAL__N_120fused_dropout_kernelIN3c104HalfEfjLi1ELi1EhEEvNS_4cuda6detail10TensorInfoIKT_T1_EENS7_IS8_SA_EENS7_IT4_SA_EESA_T0_NS_15PhiloxCudaStateE
	.p2align	8
	.type	_ZN2at6native12_GLOBAL__N_120fused_dropout_kernelIN3c104HalfEfjLi1ELi1EhEEvNS_4cuda6detail10TensorInfoIKT_T1_EENS7_IS8_SA_EENS7_IT4_SA_EESA_T0_NS_15PhiloxCudaStateE,@function
_ZN2at6native12_GLOBAL__N_120fused_dropout_kernelIN3c104HalfEfjLi1ELi1EhEEvNS_4cuda6detail10TensorInfoIKT_T1_EENS7_IS8_SA_EENS7_IT4_SA_EESA_T0_NS_15PhiloxCudaStateE: ; @_ZN2at6native12_GLOBAL__N_120fused_dropout_kernelIN3c104HalfEfjLi1ELi1EhEEvNS_4cuda6detail10TensorInfoIKT_T1_EENS7_IS8_SA_EENS7_IT4_SA_EESA_T0_NS_15PhiloxCudaStateE
; %bb.0:
	s_clause 0x1
	s_load_b128 s[4:7], s[0:1], 0x290
	s_load_b32 s2, s[0:1], 0x2a8
	s_waitcnt lgkmcnt(0)
	v_dual_mov_b32 v1, s6 :: v_dual_mov_b32 v2, s7
	v_dual_mov_b32 v13, s5 :: v_dual_mov_b32 v12, s4
	s_bitcmp0_b32 s2, 0
	s_cbranch_scc1 .LBB74_2
; %bb.1:
	v_dual_mov_b32 v1, s6 :: v_dual_mov_b32 v2, s7
	v_dual_mov_b32 v3, s4 :: v_dual_mov_b32 v4, s5
	s_load_b64 s[2:3], s[0:1], 0x2a0
	flat_load_b64 v[1:2], v[1:2]
	flat_load_b64 v[12:13], v[3:4]
	s_waitcnt vmcnt(1) lgkmcnt(0)
	v_add_co_u32 v1, vcc_lo, v1, s2
	v_add_co_ci_u32_e32 v2, vcc_lo, s3, v2, vcc_lo
.LBB74_2:
	s_clause 0x1
	s_load_b32 s2, s[0:1], 0x2bc
	s_load_b32 s3, s[0:1], 0x2b0
	s_waitcnt lgkmcnt(0)
	s_and_b32 s2, s2, 0xffff
	s_delay_alu instid0(SALU_CYCLE_1)
	s_mul_i32 s4, s3, s2
	s_mul_i32 s13, s15, s2
	s_lshl_b32 s12, s4, 2
	s_load_b64 s[4:5], s[0:1], 0x288
	v_cvt_f32_u32_e32 v3, s12
	s_sub_i32 s7, 0, s12
	v_add_nc_u32_e32 v18, s13, v0
	s_delay_alu instid0(VALU_DEP_2) | instskip(SKIP_4) | instid1(VALU_DEP_1)
	v_rcp_iflag_f32_e32 v3, v3
	s_waitcnt_depctr 0xfff
	v_mul_f32_e32 v3, 0x4f7ffffe, v3
	s_waitcnt lgkmcnt(0)
	s_add_i32 s8, s4, -1
	v_cvt_u32_f32_e32 v3, v3
	s_delay_alu instid0(VALU_DEP_1) | instskip(NEXT) | instid1(VALU_DEP_1)
	v_readfirstlane_b32 s6, v3
	s_mul_i32 s7, s7, s6
	s_delay_alu instid0(SALU_CYCLE_1) | instskip(NEXT) | instid1(SALU_CYCLE_1)
	s_mul_hi_u32 s7, s6, s7
	s_add_i32 s6, s6, s7
	s_delay_alu instid0(SALU_CYCLE_1) | instskip(NEXT) | instid1(SALU_CYCLE_1)
	s_mul_hi_u32 s6, s8, s6
	s_mul_i32 s7, s6, s12
	s_delay_alu instid0(SALU_CYCLE_1)
	s_sub_i32 s7, s8, s7
	s_add_i32 s8, s6, 1
	s_sub_i32 s9, s7, s12
	s_cmp_ge_u32 s7, s12
	s_cselect_b32 s6, s8, s6
	s_cselect_b32 s7, s9, s7
	s_add_i32 s8, s6, 1
	s_cmp_ge_u32 s7, s12
	s_cselect_b32 s6, s8, s6
	s_delay_alu instid0(SALU_CYCLE_1) | instskip(NEXT) | instid1(SALU_CYCLE_1)
	s_add_i32 s6, s6, 1
	s_mul_i32 s14, s12, s6
	s_mov_b32 s6, exec_lo
	v_cmpx_gt_u32_e64 s14, v18
	s_cbranch_execz .LBB74_31
; %bb.3:
	v_alignbit_b32 v19, v2, v1, 2
	v_mad_u64_u32 v[3:4], null, 0xcd9e8d57, v18, 0
	v_lshrrev_b32_e32 v20, 2, v2
	s_waitcnt vmcnt(0)
	v_dual_mov_b32 v10, v13 :: v_dual_mov_b32 v15, 0
	v_mad_u64_u32 v[5:6], null, 0xd2511f53, v19, 0
	v_add_co_u32 v22, null, 0x9e3779b9, v12
	v_xor3_b32 v2, v12, v4, v20
	s_delay_alu instid0(VALU_DEP_4) | instskip(SKIP_2) | instid1(VALU_DEP_4)
	v_add_co_u32 v21, null, 0xbb67ae85, v10
	v_add_co_u32 v23, null, 0x3c6ef372, v12
	v_xor_b32_e32 v4, v6, v13
	v_mad_u64_u32 v[6:7], null, 0xd2511f53, v2, 0
	v_add_co_u32 v24, null, 0x76cf5d0a, v10
	s_delay_alu instid0(VALU_DEP_3) | instskip(SKIP_1) | instid1(VALU_DEP_4)
	v_mad_u64_u32 v[8:9], null, 0xcd9e8d57, v4, 0
	v_add_co_u32 v25, null, 0x32370b8f, v10
	v_xor3_b32 v4, v21, v7, v5
	v_add_co_u32 v26, null, 0xdaa66d2b, v12
	v_add_co_u32 v27, null, 0x78dde6e4, v12
	v_xor3_b32 v7, v9, v22, v3
	s_delay_alu instid0(VALU_DEP_4) | instskip(SKIP_1) | instid1(VALU_DEP_3)
	v_mad_u64_u32 v[2:3], null, 0xcd9e8d57, v4, 0
	v_add_co_u32 v28, null, 0xed9eba14, v10
	v_mad_u64_u32 v[4:5], null, 0xd2511f53, v7, 0
	v_and_b32_e32 v29, 3, v1
	v_add_co_u32 v32, null, 0xa9066899, v10
	v_xor3_b32 v3, v23, v3, v8
	v_add_co_u32 v33, null, 0x1715609d, v12
	v_xor3_b32 v9, v5, v24, v6
	v_add_co_u32 v34, null, 0xb54cda56, v12
	s_delay_alu instid0(VALU_DEP_4) | instskip(NEXT) | instid1(VALU_DEP_3)
	v_mad_u64_u32 v[5:6], null, 0xd2511f53, v3, 0
	v_mad_u64_u32 v[7:8], null, 0xcd9e8d57, v9, 0
	v_add_co_u32 v36, null, 0x646e171e, v10
	v_add_co_u32 v35, null, 0x5384540f, v12
	s_delay_alu instid0(VALU_DEP_4) | instskip(SKIP_3) | instid1(VALU_DEP_4)
	v_xor3_b32 v4, v25, v6, v4
	v_add_co_u32 v38, null, 0x1fd5c5a3, v10
	v_xor3_b32 v6, v8, v26, v2
	v_div_scale_f32 v11, vcc_lo, 1.0, s5, 1.0
	v_mad_u64_u32 v[2:3], null, 0xcd9e8d57, v4, 0
	s_delay_alu instid0(VALU_DEP_3) | instskip(SKIP_3) | instid1(VALU_DEP_4)
	v_mad_u64_u32 v[8:9], null, 0xd2511f53, v6, 0
	s_mul_i32 s17, s3, 3
	v_add_co_u32 v37, null, 0xf1bbcdc8, v12
	v_add_co_u32 v39, null, 0xdb3d7428, v10
	v_xor3_b32 v1, v27, v3, v7
	s_delay_alu instid0(VALU_DEP_4) | instskip(SKIP_2) | instid1(VALU_DEP_3)
	v_xor3_b32 v7, v9, v28, v5
	v_div_scale_f32 v9, null, s5, s5, 1.0
	s_add_i32 s18, s15, s17
	v_mad_u64_u32 v[3:4], null, 0xd2511f53, v1, 0
	s_delay_alu instid0(VALU_DEP_3) | instskip(NEXT) | instid1(VALU_DEP_3)
	v_mad_u64_u32 v[5:6], null, 0xcd9e8d57, v7, 0
	v_rcp_f32_e32 v14, v9
	s_clause 0x2
	s_load_b64 s[6:7], s[0:1], 0x0
	s_load_b32 s19, s[0:1], 0x144
	s_load_b64 s[8:9], s[0:1], 0x1b0
	s_delay_alu instid0(VALU_DEP_2)
	v_xor3_b32 v4, v32, v4, v8
	s_clause 0x1
	s_load_b64 s[10:11], s[0:1], 0xd8
	s_load_b32 s0, s[0:1], 0x6c
	v_xor3_b32 v8, v6, v33, v2
	s_mul_i32 s18, s18, s2
	s_lshl_b32 s1, s3, 1
	v_mad_u64_u32 v[1:2], null, 0xcd9e8d57, v4, 0
	s_delay_alu instid0(VALU_DEP_2)
	v_mad_u64_u32 v[6:7], null, 0xd2511f53, v8, 0
	s_waitcnt_depctr 0xfff
	v_fma_f32 v4, -v9, v14, 1.0
	v_dual_mov_b32 v49, 0 :: v_dual_add_nc_u32 v30, 0x8ff34781, v12
	s_add_i32 s1, s15, s1
	v_xor3_b32 v5, v34, v2, v5
	s_delay_alu instid0(VALU_DEP_3)
	v_fmac_f32_e32 v14, v4, v14
	v_xor3_b32 v7, v7, v36, v3
	v_add_nc_u32_e32 v31, 0x96a522ad, v13
	s_add_i32 s15, s15, s3
	v_mad_u64_u32 v[2:3], null, 0xd2511f53, v5, 0
	v_mul_f32_e32 v16, v11, v14
	v_mad_u64_u32 v[4:5], null, 0xcd9e8d57, v7, 0
	s_mul_i32 s17, s1, s2
	s_mul_i32 s15, s15, s2
	s_delay_alu instid0(VALU_DEP_2) | instskip(NEXT) | instid1(VALU_DEP_4)
	v_fma_f32 v17, -v9, v16, v11
	v_xor3_b32 v3, v38, v3, v6
	s_waitcnt lgkmcnt(0)
	v_mul_lo_u32 v40, s19, v18
	v_mul_lo_u32 v41, s0, v18
	v_xor3_b32 v1, v5, v35, v1
	v_fmac_f32_e32 v16, v17, v14
	v_mad_u64_u32 v[5:6], null, 0xcd9e8d57, v3, 0
	s_mul_i32 s1, s3, s19
	s_delay_alu instid0(VALU_DEP_3) | instskip(NEXT) | instid1(VALU_DEP_3)
	v_mad_u64_u32 v[7:8], null, 0xd2511f53, v1, 0
	v_fma_f32 v10, -v9, v16, v11
	s_mul_i32 s3, s3, s0
	s_mul_i32 s1, s1, s2
	s_delay_alu instid0(VALU_DEP_3) | instskip(SKIP_2) | instid1(VALU_DEP_4)
	v_xor3_b32 v1, v37, v6, v4
	v_add_nc_u32_e32 v6, s17, v0
	s_mul_i32 s3, s3, s2
	v_xor3_b32 v4, v8, v39, v2
	s_mov_b32 s16, 0
	v_mad_u64_u32 v[8:9], null, 0xd2511f53, v1, 0
	v_div_fmas_f32 v1, v10, v14, v16
	s_delay_alu instid0(VALU_DEP_3) | instskip(SKIP_2) | instid1(VALU_DEP_4)
	v_mad_u64_u32 v[2:3], null, 0xcd9e8d57, v4, 0
	v_mul_lo_u32 v43, s0, v6
	v_mul_lo_u32 v44, s19, v6
	v_div_fixup_f32 v42, v1, s5, 1.0
	v_mov_b32_e32 v4, v8
	s_lshl_b32 s20, s3, 2
	s_mov_b32 s21, 0
	v_xor3_b32 v1, v5, v3, v30
	v_xor3_b32 v3, v9, v7, v31
	v_add_nc_u32_e32 v7, s15, v0
	v_add_nc_u32_e32 v5, s18, v0
	s_mov_b32 s22, 0
                                        ; implicit-def: $vgpr50
                                        ; implicit-def: $vgpr51
                                        ; implicit-def: $vgpr52
                                        ; implicit-def: $vgpr53
	s_delay_alu instid0(VALU_DEP_2) | instskip(NEXT) | instid1(VALU_DEP_2)
	v_mul_lo_u32 v47, s19, v7
	v_mul_lo_u32 v45, s0, v5
	v_mul_lo_u32 v46, s19, v5
	v_mul_lo_u32 v48, s0, v7
	s_lshl_b32 s19, s1, 2
	s_branch .LBB74_5
.LBB74_4:                               ;   in Loop: Header=BB74_5 Depth=1
	s_or_b32 exec_lo, exec_lo, s1
	v_mov_b32_e32 v8, v16
	v_add_nc_u32_e32 v0, s12, v0
	s_add_i32 s22, s22, s19
	s_add_i32 s21, s21, s20
	s_waitcnt vmcnt(0)
	s_waitcnt_vscnt null, 0x0
	s_barrier
	v_add_nc_u32_e32 v1, s13, v0
	buffer_gl0_inv
	v_cmp_le_u32_e32 vcc_lo, s14, v1
	v_dual_mov_b32 v1, v5 :: v_dual_mov_b32 v2, v6
	v_dual_mov_b32 v3, v7 :: v_dual_mov_b32 v4, v8
	s_or_b32 s16, vcc_lo, s16
	s_delay_alu instid0(SALU_CYCLE_1)
	s_and_not1_b32 exec_lo, exec_lo, s16
	s_cbranch_execz .LBB74_31
.LBB74_5:                               ; =>This Inner Loop Header: Depth=1
	v_add_co_u32 v19, vcc_lo, v19, 1
	s_delay_alu instid0(VALU_DEP_1) | instskip(SKIP_2) | instid1(VALU_DEP_1)
	v_cndmask_b32_e64 v5, 0, 1, vcc_lo
	v_add_co_ci_u32_e32 v20, vcc_lo, 0, v20, vcc_lo
	s_mov_b32 s0, exec_lo
	v_cmp_eq_u32_e32 vcc_lo, 0, v20
	s_delay_alu instid0(VALU_DEP_3) | instskip(NEXT) | instid1(VALU_DEP_1)
	v_cndmask_b32_e32 v5, 0, v5, vcc_lo
	v_add_nc_u32_e32 v18, v5, v18
	s_delay_alu instid0(VALU_DEP_1) | instskip(SKIP_2) | instid1(VALU_DEP_2)
	v_cmp_eq_u32_e32 vcc_lo, 0, v18
	v_cndmask_b32_e32 v5, 0, v5, vcc_lo
	v_mad_u64_u32 v[7:8], null, 0xcd9e8d57, v18, 0
	v_add_nc_u32_e32 v49, v5, v49
	v_mad_u64_u32 v[5:6], null, 0xd2511f53, v19, 0
	s_delay_alu instid0(VALU_DEP_3) | instskip(NEXT) | instid1(VALU_DEP_2)
	v_xor3_b32 v10, v8, v12, v20
	v_xor_b32_e32 v6, v6, v13
	s_delay_alu instid0(VALU_DEP_2) | instskip(NEXT) | instid1(VALU_DEP_2)
	v_mad_u64_u32 v[8:9], null, 0xd2511f53, v10, 0
	v_xor_b32_e32 v6, v49, v6
	s_delay_alu instid0(VALU_DEP_2) | instskip(NEXT) | instid1(VALU_DEP_2)
	v_xor3_b32 v9, v21, v9, v5
	v_mad_u64_u32 v[10:11], null, 0xcd9e8d57, v6, 0
	s_delay_alu instid0(VALU_DEP_2) | instskip(NEXT) | instid1(VALU_DEP_2)
	v_mad_u64_u32 v[5:6], null, 0xcd9e8d57, v9, 0
	v_xor3_b32 v7, v22, v11, v7
	s_delay_alu instid0(VALU_DEP_2) | instskip(NEXT) | instid1(VALU_DEP_2)
	v_xor3_b32 v9, v23, v6, v10
	v_mad_u64_u32 v[16:17], null, 0xd2511f53, v7, 0
	s_delay_alu instid0(VALU_DEP_2) | instskip(NEXT) | instid1(VALU_DEP_2)
	v_mad_u64_u32 v[6:7], null, 0xd2511f53, v9, 0
	v_xor3_b32 v10, v24, v17, v8
	s_delay_alu instid0(VALU_DEP_2) | instskip(NEXT) | instid1(VALU_DEP_2)
	v_xor3_b32 v7, v25, v7, v16
	v_mad_u64_u32 v[8:9], null, 0xcd9e8d57, v10, 0
	s_delay_alu instid0(VALU_DEP_1) | instskip(NEXT) | instid1(VALU_DEP_3)
	v_xor3_b32 v5, v26, v9, v5
	v_mad_u64_u32 v[9:10], null, 0xcd9e8d57, v7, 0
	s_delay_alu instid0(VALU_DEP_2) | instskip(NEXT) | instid1(VALU_DEP_2)
	v_mad_u64_u32 v[16:17], null, 0xd2511f53, v5, 0
	v_xor3_b32 v7, v27, v10, v8
	s_delay_alu instid0(VALU_DEP_2) | instskip(NEXT) | instid1(VALU_DEP_2)
	v_xor3_b32 v10, v28, v17, v6
	v_mad_u64_u32 v[5:6], null, 0xd2511f53, v7, 0
	s_delay_alu instid0(VALU_DEP_2) | instskip(NEXT) | instid1(VALU_DEP_2)
	v_mad_u64_u32 v[7:8], null, 0xcd9e8d57, v10, 0
	v_xor3_b32 v6, v32, v6, v16
	s_delay_alu instid0(VALU_DEP_2) | instskip(NEXT) | instid1(VALU_DEP_2)
	;; [unrolled: 6-line block ×6, first 2 shown]
	v_xor3_b32 v5, v7, v8, v30
	v_mov_b32_e32 v7, v11
	v_cmpx_lt_i32_e32 1, v29
	s_xor_b32 s0, exec_lo, s0
	s_cbranch_execz .LBB74_11
; %bb.6:                                ;   in Loop: Header=BB74_5 Depth=1
	s_mov_b32 s1, exec_lo
	v_cmpx_lt_i32_e32 2, v29
	s_xor_b32 s1, exec_lo, s1
; %bb.7:                                ;   in Loop: Header=BB74_5 Depth=1
	v_dual_mov_b32 v8, v4 :: v_dual_mov_b32 v9, v5
	v_mov_b32_e32 v10, v6
	s_delay_alu instid0(VALU_DEP_2) | instskip(NEXT) | instid1(VALU_DEP_2)
	v_dual_mov_b32 v1, v8 :: v_dual_mov_b32 v2, v9
	v_dual_mov_b32 v3, v10 :: v_dual_mov_b32 v4, v11
; %bb.8:                                ;   in Loop: Header=BB74_5 Depth=1
	s_and_not1_saveexec_b32 s1, s1
; %bb.9:                                ;   in Loop: Header=BB74_5 Depth=1
	s_delay_alu instid0(VALU_DEP_1)
	v_dual_mov_b32 v1, v3 :: v_dual_mov_b32 v2, v4
	v_dual_mov_b32 v3, v5 :: v_dual_mov_b32 v4, v6
; %bb.10:                               ;   in Loop: Header=BB74_5 Depth=1
	s_or_b32 exec_lo, exec_lo, s1
.LBB74_11:                              ;   in Loop: Header=BB74_5 Depth=1
	s_and_not1_saveexec_b32 s0, s0
	s_cbranch_execz .LBB74_15
; %bb.12:                               ;   in Loop: Header=BB74_5 Depth=1
	s_mov_b32 s1, exec_lo
	v_cmpx_eq_u32_e32 1, v29
; %bb.13:                               ;   in Loop: Header=BB74_5 Depth=1
	v_dual_mov_b32 v1, v2 :: v_dual_mov_b32 v2, v3
	v_dual_mov_b32 v3, v4 :: v_dual_mov_b32 v4, v5
; %bb.14:                               ;   in Loop: Header=BB74_5 Depth=1
	s_or_b32 exec_lo, exec_lo, s1
.LBB74_15:                              ;   in Loop: Header=BB74_5 Depth=1
	s_delay_alu instid0(SALU_CYCLE_1) | instskip(SKIP_1) | instid1(VALU_DEP_1)
	s_or_b32 exec_lo, exec_lo, s0
	v_add_nc_u32_e32 v8, s13, v0
	v_cmp_gt_u32_e64 s2, s4, v8
	s_delay_alu instid0(VALU_DEP_1)
	s_and_saveexec_b32 s0, s2
	s_cbranch_execz .LBB74_17
; %bb.16:                               ;   in Loop: Header=BB74_5 Depth=1
	v_add_nc_u32_e32 v14, s21, v41
	s_delay_alu instid0(VALU_DEP_1) | instskip(NEXT) | instid1(VALU_DEP_1)
	v_lshlrev_b64 v[8:9], 1, v[14:15]
	v_add_co_u32 v8, vcc_lo, s6, v8
	s_delay_alu instid0(VALU_DEP_2)
	v_add_co_ci_u32_e32 v9, vcc_lo, s7, v9, vcc_lo
	global_load_u16 v53, v[8:9], off
.LBB74_17:                              ;   in Loop: Header=BB74_5 Depth=1
	s_or_b32 exec_lo, exec_lo, s0
	v_add_nc_u32_e32 v8, s15, v0
	s_delay_alu instid0(VALU_DEP_1) | instskip(NEXT) | instid1(VALU_DEP_1)
	v_cmp_gt_u32_e64 s1, s4, v8
	s_and_saveexec_b32 s0, s1
	s_cbranch_execz .LBB74_19
; %bb.18:                               ;   in Loop: Header=BB74_5 Depth=1
	v_add_nc_u32_e32 v14, s21, v48
	s_delay_alu instid0(VALU_DEP_1) | instskip(NEXT) | instid1(VALU_DEP_1)
	v_lshlrev_b64 v[8:9], 1, v[14:15]
	v_add_co_u32 v8, vcc_lo, s6, v8
	s_delay_alu instid0(VALU_DEP_2)
	v_add_co_ci_u32_e32 v9, vcc_lo, s7, v9, vcc_lo
	global_load_u16 v52, v[8:9], off
.LBB74_19:                              ;   in Loop: Header=BB74_5 Depth=1
	s_or_b32 exec_lo, exec_lo, s0
	v_add_nc_u32_e32 v8, s17, v0
	s_delay_alu instid0(VALU_DEP_1) | instskip(NEXT) | instid1(VALU_DEP_1)
	v_cmp_gt_u32_e64 s0, s4, v8
	s_and_saveexec_b32 s3, s0
	s_cbranch_execz .LBB74_21
; %bb.20:                               ;   in Loop: Header=BB74_5 Depth=1
	v_add_nc_u32_e32 v14, s21, v43
	s_delay_alu instid0(VALU_DEP_1) | instskip(NEXT) | instid1(VALU_DEP_1)
	v_lshlrev_b64 v[8:9], 1, v[14:15]
	v_add_co_u32 v8, vcc_lo, s6, v8
	s_delay_alu instid0(VALU_DEP_2)
	v_add_co_ci_u32_e32 v9, vcc_lo, s7, v9, vcc_lo
	global_load_u16 v51, v[8:9], off
.LBB74_21:                              ;   in Loop: Header=BB74_5 Depth=1
	s_or_b32 exec_lo, exec_lo, s3
	v_add_nc_u32_e32 v8, s18, v0
	s_delay_alu instid0(VALU_DEP_1)
	v_cmp_gt_u32_e32 vcc_lo, s4, v8
	s_and_saveexec_b32 s23, vcc_lo
	s_cbranch_execnz .LBB74_26
; %bb.22:                               ;   in Loop: Header=BB74_5 Depth=1
	s_or_b32 exec_lo, exec_lo, s23
	s_and_saveexec_b32 s23, s2
	s_cbranch_execnz .LBB74_27
.LBB74_23:                              ;   in Loop: Header=BB74_5 Depth=1
	s_or_b32 exec_lo, exec_lo, s23
	s_and_saveexec_b32 s3, s1
	s_cbranch_execnz .LBB74_28
.LBB74_24:                              ;   in Loop: Header=BB74_5 Depth=1
	s_or_b32 exec_lo, exec_lo, s3
	s_and_saveexec_b32 s2, s0
	s_cbranch_execnz .LBB74_29
.LBB74_25:                              ;   in Loop: Header=BB74_5 Depth=1
	s_or_b32 exec_lo, exec_lo, s2
	s_and_saveexec_b32 s1, vcc_lo
	s_cbranch_execz .LBB74_4
	s_branch .LBB74_30
.LBB74_26:                              ;   in Loop: Header=BB74_5 Depth=1
	v_add_nc_u32_e32 v14, s21, v45
	s_delay_alu instid0(VALU_DEP_1) | instskip(NEXT) | instid1(VALU_DEP_1)
	v_lshlrev_b64 v[8:9], 1, v[14:15]
	v_add_co_u32 v8, s3, s6, v8
	s_delay_alu instid0(VALU_DEP_1)
	v_add_co_ci_u32_e64 v9, s3, s7, v9, s3
	global_load_u16 v50, v[8:9], off
	s_or_b32 exec_lo, exec_lo, s23
	s_and_saveexec_b32 s23, s2
	s_cbranch_execz .LBB74_23
.LBB74_27:                              ;   in Loop: Header=BB74_5 Depth=1
	v_cvt_f32_u32_e32 v1, v1
	s_waitcnt vmcnt(0)
	v_cvt_f32_f16_e32 v10, v53
	s_delay_alu instid0(VALU_DEP_2) | instskip(NEXT) | instid1(VALU_DEP_1)
	v_dual_fmaak_f32 v1, 0x2f800000, v1, 0x2f800000 :: v_dual_add_nc_u32 v14, s22, v40
	v_lshlrev_b64 v[8:9], 1, v[14:15]
	s_delay_alu instid0(VALU_DEP_2) | instskip(NEXT) | instid1(VALU_DEP_2)
	v_cmp_gt_f32_e64 s2, s5, v1
	v_add_co_u32 v8, s3, s10, v8
	s_delay_alu instid0(VALU_DEP_2) | instskip(NEXT) | instid1(VALU_DEP_4)
	v_cndmask_b32_e64 v1, 0, 1.0, s2
	v_add_co_ci_u32_e64 v9, s3, s11, v9, s3
	s_delay_alu instid0(VALU_DEP_2) | instskip(SKIP_1) | instid1(VALU_DEP_2)
	v_mul_f32_e32 v1, v1, v10
	v_cndmask_b32_e64 v10, 0, 1, s2
	v_fma_mixlo_f16 v1, v42, v1, 0
	global_store_b16 v[8:9], v1, off
	global_store_b8 v14, v10, s[8:9]
	s_or_b32 exec_lo, exec_lo, s23
	s_and_saveexec_b32 s3, s1
	s_cbranch_execz .LBB74_24
.LBB74_28:                              ;   in Loop: Header=BB74_5 Depth=1
	v_cvt_f32_u32_e32 v1, v2
	s_waitcnt vmcnt(0)
	v_cvt_f32_f16_e32 v8, v52
	s_delay_alu instid0(VALU_DEP_2) | instskip(NEXT) | instid1(VALU_DEP_1)
	v_dual_fmaak_f32 v1, 0x2f800000, v1, 0x2f800000 :: v_dual_add_nc_u32 v14, s22, v47
	v_cmp_gt_f32_e64 s1, s5, v1
	s_delay_alu instid0(VALU_DEP_2) | instskip(NEXT) | instid1(VALU_DEP_2)
	v_lshlrev_b64 v[1:2], 1, v[14:15]
	v_cndmask_b32_e64 v9, 0, 1.0, s1
	s_delay_alu instid0(VALU_DEP_2) | instskip(NEXT) | instid1(VALU_DEP_1)
	v_add_co_u32 v1, s2, s10, v1
	v_add_co_ci_u32_e64 v2, s2, s11, v2, s2
	s_delay_alu instid0(VALU_DEP_3) | instskip(SKIP_1) | instid1(VALU_DEP_2)
	v_mul_f32_e32 v8, v9, v8
	v_cndmask_b32_e64 v9, 0, 1, s1
	v_fma_mixlo_f16 v8, v42, v8, 0
	global_store_b16 v[1:2], v8, off
	global_store_b8 v14, v9, s[8:9]
	s_or_b32 exec_lo, exec_lo, s3
	s_and_saveexec_b32 s2, s0
	s_cbranch_execz .LBB74_25
.LBB74_29:                              ;   in Loop: Header=BB74_5 Depth=1
	v_cvt_f32_u32_e32 v1, v3
	s_waitcnt vmcnt(0)
	v_cvt_f32_f16_e32 v3, v51
	s_delay_alu instid0(VALU_DEP_2) | instskip(NEXT) | instid1(VALU_DEP_1)
	v_dual_fmaak_f32 v1, 0x2f800000, v1, 0x2f800000 :: v_dual_add_nc_u32 v14, s22, v44
	v_cmp_gt_f32_e64 s0, s5, v1
	s_delay_alu instid0(VALU_DEP_2) | instskip(NEXT) | instid1(VALU_DEP_2)
	v_lshlrev_b64 v[1:2], 1, v[14:15]
	v_cndmask_b32_e64 v8, 0, 1.0, s0
	s_delay_alu instid0(VALU_DEP_2) | instskip(NEXT) | instid1(VALU_DEP_1)
	v_add_co_u32 v1, s1, s10, v1
	v_add_co_ci_u32_e64 v2, s1, s11, v2, s1
	s_delay_alu instid0(VALU_DEP_3) | instskip(SKIP_1) | instid1(VALU_DEP_2)
	v_mul_f32_e32 v3, v8, v3
	v_cndmask_b32_e64 v8, 0, 1, s0
	v_fma_mixlo_f16 v3, v42, v3, 0
	global_store_b16 v[1:2], v3, off
	global_store_b8 v14, v8, s[8:9]
	s_or_b32 exec_lo, exec_lo, s2
	s_and_saveexec_b32 s1, vcc_lo
	s_cbranch_execz .LBB74_4
.LBB74_30:                              ;   in Loop: Header=BB74_5 Depth=1
	v_cvt_f32_u32_e32 v1, v4
	s_waitcnt vmcnt(0)
	v_cvt_f32_f16_e32 v3, v50
	s_delay_alu instid0(VALU_DEP_2) | instskip(NEXT) | instid1(VALU_DEP_1)
	v_dual_fmaak_f32 v1, 0x2f800000, v1, 0x2f800000 :: v_dual_add_nc_u32 v14, s22, v46
	v_cmp_gt_f32_e32 vcc_lo, s5, v1
	s_delay_alu instid0(VALU_DEP_2) | instskip(SKIP_1) | instid1(VALU_DEP_2)
	v_lshlrev_b64 v[1:2], 1, v[14:15]
	v_cndmask_b32_e64 v4, 0, 1.0, vcc_lo
	v_add_co_u32 v1, s0, s10, v1
	s_delay_alu instid0(VALU_DEP_1) | instskip(NEXT) | instid1(VALU_DEP_3)
	v_add_co_ci_u32_e64 v2, s0, s11, v2, s0
	v_mul_f32_e32 v3, v4, v3
	v_cndmask_b32_e64 v4, 0, 1, vcc_lo
	s_delay_alu instid0(VALU_DEP_2)
	v_fma_mixlo_f16 v3, v42, v3, 0
	global_store_b16 v[1:2], v3, off
	global_store_b8 v14, v4, s[8:9]
	s_branch .LBB74_4
.LBB74_31:
	s_endpgm
	.section	.rodata,"a",@progbits
	.p2align	6, 0x0
	.amdhsa_kernel _ZN2at6native12_GLOBAL__N_120fused_dropout_kernelIN3c104HalfEfjLi1ELi1EhEEvNS_4cuda6detail10TensorInfoIKT_T1_EENS7_IS8_SA_EENS7_IT4_SA_EESA_T0_NS_15PhiloxCudaStateE
		.amdhsa_group_segment_fixed_size 0
		.amdhsa_private_segment_fixed_size 0
		.amdhsa_kernarg_size 944
		.amdhsa_user_sgpr_count 15
		.amdhsa_user_sgpr_dispatch_ptr 0
		.amdhsa_user_sgpr_queue_ptr 0
		.amdhsa_user_sgpr_kernarg_segment_ptr 1
		.amdhsa_user_sgpr_dispatch_id 0
		.amdhsa_user_sgpr_private_segment_size 0
		.amdhsa_wavefront_size32 1
		.amdhsa_uses_dynamic_stack 0
		.amdhsa_enable_private_segment 0
		.amdhsa_system_sgpr_workgroup_id_x 1
		.amdhsa_system_sgpr_workgroup_id_y 0
		.amdhsa_system_sgpr_workgroup_id_z 0
		.amdhsa_system_sgpr_workgroup_info 0
		.amdhsa_system_vgpr_workitem_id 0
		.amdhsa_next_free_vgpr 54
		.amdhsa_next_free_sgpr 24
		.amdhsa_reserve_vcc 1
		.amdhsa_float_round_mode_32 0
		.amdhsa_float_round_mode_16_64 0
		.amdhsa_float_denorm_mode_32 3
		.amdhsa_float_denorm_mode_16_64 3
		.amdhsa_dx10_clamp 1
		.amdhsa_ieee_mode 1
		.amdhsa_fp16_overflow 0
		.amdhsa_workgroup_processor_mode 1
		.amdhsa_memory_ordered 1
		.amdhsa_forward_progress 0
		.amdhsa_shared_vgpr_count 0
		.amdhsa_exception_fp_ieee_invalid_op 0
		.amdhsa_exception_fp_denorm_src 0
		.amdhsa_exception_fp_ieee_div_zero 0
		.amdhsa_exception_fp_ieee_overflow 0
		.amdhsa_exception_fp_ieee_underflow 0
		.amdhsa_exception_fp_ieee_inexact 0
		.amdhsa_exception_int_div_zero 0
	.end_amdhsa_kernel
	.section	.text._ZN2at6native12_GLOBAL__N_120fused_dropout_kernelIN3c104HalfEfjLi1ELi1EhEEvNS_4cuda6detail10TensorInfoIKT_T1_EENS7_IS8_SA_EENS7_IT4_SA_EESA_T0_NS_15PhiloxCudaStateE,"axG",@progbits,_ZN2at6native12_GLOBAL__N_120fused_dropout_kernelIN3c104HalfEfjLi1ELi1EhEEvNS_4cuda6detail10TensorInfoIKT_T1_EENS7_IS8_SA_EENS7_IT4_SA_EESA_T0_NS_15PhiloxCudaStateE,comdat
.Lfunc_end74:
	.size	_ZN2at6native12_GLOBAL__N_120fused_dropout_kernelIN3c104HalfEfjLi1ELi1EhEEvNS_4cuda6detail10TensorInfoIKT_T1_EENS7_IS8_SA_EENS7_IT4_SA_EESA_T0_NS_15PhiloxCudaStateE, .Lfunc_end74-_ZN2at6native12_GLOBAL__N_120fused_dropout_kernelIN3c104HalfEfjLi1ELi1EhEEvNS_4cuda6detail10TensorInfoIKT_T1_EENS7_IS8_SA_EENS7_IT4_SA_EESA_T0_NS_15PhiloxCudaStateE
                                        ; -- End function
	.section	.AMDGPU.csdata,"",@progbits
; Kernel info:
; codeLenInByte = 2876
; NumSgprs: 26
; NumVgprs: 54
; ScratchSize: 0
; MemoryBound: 0
; FloatMode: 240
; IeeeMode: 1
; LDSByteSize: 0 bytes/workgroup (compile time only)
; SGPRBlocks: 3
; VGPRBlocks: 6
; NumSGPRsForWavesPerEU: 26
; NumVGPRsForWavesPerEU: 54
; Occupancy: 16
; WaveLimiterHint : 1
; COMPUTE_PGM_RSRC2:SCRATCH_EN: 0
; COMPUTE_PGM_RSRC2:USER_SGPR: 15
; COMPUTE_PGM_RSRC2:TRAP_HANDLER: 0
; COMPUTE_PGM_RSRC2:TGID_X_EN: 1
; COMPUTE_PGM_RSRC2:TGID_Y_EN: 0
; COMPUTE_PGM_RSRC2:TGID_Z_EN: 0
; COMPUTE_PGM_RSRC2:TIDIG_COMP_CNT: 0
	.section	.text._ZN2at6native12_GLOBAL__N_120fused_dropout_kernelIN3c104HalfEfjLin1ELi1EhEEvNS_4cuda6detail10TensorInfoIKT_T1_EENS7_IS8_SA_EENS7_IT4_SA_EESA_T0_NS_15PhiloxCudaStateE,"axG",@progbits,_ZN2at6native12_GLOBAL__N_120fused_dropout_kernelIN3c104HalfEfjLin1ELi1EhEEvNS_4cuda6detail10TensorInfoIKT_T1_EENS7_IS8_SA_EENS7_IT4_SA_EESA_T0_NS_15PhiloxCudaStateE,comdat
	.globl	_ZN2at6native12_GLOBAL__N_120fused_dropout_kernelIN3c104HalfEfjLin1ELi1EhEEvNS_4cuda6detail10TensorInfoIKT_T1_EENS7_IS8_SA_EENS7_IT4_SA_EESA_T0_NS_15PhiloxCudaStateE ; -- Begin function _ZN2at6native12_GLOBAL__N_120fused_dropout_kernelIN3c104HalfEfjLin1ELi1EhEEvNS_4cuda6detail10TensorInfoIKT_T1_EENS7_IS8_SA_EENS7_IT4_SA_EESA_T0_NS_15PhiloxCudaStateE
	.p2align	8
	.type	_ZN2at6native12_GLOBAL__N_120fused_dropout_kernelIN3c104HalfEfjLin1ELi1EhEEvNS_4cuda6detail10TensorInfoIKT_T1_EENS7_IS8_SA_EENS7_IT4_SA_EESA_T0_NS_15PhiloxCudaStateE,@function
_ZN2at6native12_GLOBAL__N_120fused_dropout_kernelIN3c104HalfEfjLin1ELi1EhEEvNS_4cuda6detail10TensorInfoIKT_T1_EENS7_IS8_SA_EENS7_IT4_SA_EESA_T0_NS_15PhiloxCudaStateE: ; @_ZN2at6native12_GLOBAL__N_120fused_dropout_kernelIN3c104HalfEfjLin1ELi1EhEEvNS_4cuda6detail10TensorInfoIKT_T1_EENS7_IS8_SA_EENS7_IT4_SA_EESA_T0_NS_15PhiloxCudaStateE
; %bb.0:
	s_clause 0x1
	s_load_b128 s[4:7], s[0:1], 0x290
	s_load_b32 s2, s[0:1], 0x2a8
	s_waitcnt lgkmcnt(0)
	v_dual_mov_b32 v1, s6 :: v_dual_mov_b32 v2, s7
	v_dual_mov_b32 v12, s5 :: v_dual_mov_b32 v11, s4
	s_bitcmp0_b32 s2, 0
	s_cbranch_scc1 .LBB75_2
; %bb.1:
	v_dual_mov_b32 v1, s6 :: v_dual_mov_b32 v2, s7
	v_dual_mov_b32 v3, s4 :: v_dual_mov_b32 v4, s5
	s_load_b64 s[2:3], s[0:1], 0x2a0
	flat_load_b64 v[1:2], v[1:2]
	flat_load_b64 v[11:12], v[3:4]
	s_waitcnt vmcnt(1) lgkmcnt(0)
	v_add_co_u32 v1, vcc_lo, v1, s2
	v_add_co_ci_u32_e32 v2, vcc_lo, s3, v2, vcc_lo
.LBB75_2:
	s_clause 0x2
	s_load_b32 s2, s[0:1], 0x2bc
	s_load_b32 s18, s[0:1], 0x2b0
	s_load_b64 s[4:5], s[0:1], 0x288
	s_waitcnt lgkmcnt(0)
	s_and_b32 s2, s2, 0xffff
	s_add_i32 s7, s4, -1
	s_mul_i32 s18, s18, s2
	v_mad_u64_u32 v[13:14], null, s15, s2, v[0:1]
	s_lshl_b32 s19, s18, 2
	s_delay_alu instid0(SALU_CYCLE_1) | instskip(SKIP_1) | instid1(VALU_DEP_1)
	v_cvt_f32_u32_e32 v3, s19
	s_sub_i32 s6, 0, s19
	v_rcp_iflag_f32_e32 v3, v3
	s_waitcnt_depctr 0xfff
	v_mul_f32_e32 v3, 0x4f7ffffe, v3
	s_delay_alu instid0(VALU_DEP_1) | instskip(NEXT) | instid1(VALU_DEP_1)
	v_cvt_u32_f32_e32 v3, v3
	v_readfirstlane_b32 s3, v3
	s_delay_alu instid0(VALU_DEP_1) | instskip(NEXT) | instid1(SALU_CYCLE_1)
	s_mul_i32 s6, s6, s3
	s_mul_hi_u32 s6, s3, s6
	s_delay_alu instid0(SALU_CYCLE_1) | instskip(NEXT) | instid1(SALU_CYCLE_1)
	s_add_i32 s3, s3, s6
	s_mul_hi_u32 s3, s7, s3
	s_delay_alu instid0(SALU_CYCLE_1) | instskip(NEXT) | instid1(SALU_CYCLE_1)
	s_mul_i32 s6, s3, s19
	s_sub_i32 s6, s7, s6
	s_add_i32 s7, s3, 1
	s_sub_i32 s8, s6, s19
	s_cmp_ge_u32 s6, s19
	s_cselect_b32 s2, s7, s3
	s_cselect_b32 s3, s8, s6
	s_add_i32 s6, s2, 1
	s_cmp_ge_u32 s3, s19
	s_cselect_b32 s2, s6, s2
	s_delay_alu instid0(SALU_CYCLE_1) | instskip(NEXT) | instid1(SALU_CYCLE_1)
	s_add_i32 s2, s2, 1
	s_mul_i32 s19, s19, s2
	s_mov_b32 s2, exec_lo
	v_cmpx_gt_u32_e64 s19, v13
	s_cbranch_execz .LBB75_43
; %bb.3:
	v_alignbit_b32 v17, v2, v1, 2
	v_mad_u64_u32 v[3:4], null, 0xcd9e8d57, v13, 0
	v_lshrrev_b32_e32 v18, 2, v2
	s_waitcnt vmcnt(0)
	v_dual_mov_b32 v10, v12 :: v_dual_and_b32 v27, 3, v1
	v_mad_u64_u32 v[5:6], null, 0xd2511f53, v17, 0
	v_add_co_u32 v20, null, 0x9e3779b9, v11
	v_xor3_b32 v0, v11, v4, v18
	s_delay_alu instid0(VALU_DEP_4) | instskip(SKIP_2) | instid1(VALU_DEP_4)
	v_add_co_u32 v19, null, 0xbb67ae85, v10
	v_add_co_u32 v21, null, 0x3c6ef372, v11
	v_xor_b32_e32 v2, v6, v12
	v_mad_u64_u32 v[6:7], null, 0xd2511f53, v0, 0
	v_add_co_u32 v22, null, 0x76cf5d0a, v10
	s_delay_alu instid0(VALU_DEP_3) | instskip(SKIP_1) | instid1(VALU_DEP_4)
	v_mad_u64_u32 v[8:9], null, 0xcd9e8d57, v2, 0
	v_add_co_u32 v23, null, 0x32370b8f, v10
	v_xor3_b32 v0, v19, v7, v5
	v_add_co_u32 v24, null, 0xdaa66d2b, v11
	v_add_co_u32 v25, null, 0x78dde6e4, v11
	v_xor3_b32 v7, v9, v20, v3
	s_delay_alu instid0(VALU_DEP_4) | instskip(SKIP_1) | instid1(VALU_DEP_3)
	v_mad_u64_u32 v[2:3], null, 0xcd9e8d57, v0, 0
	v_add_co_u32 v26, null, 0xed9eba14, v10
	v_mad_u64_u32 v[4:5], null, 0xd2511f53, v7, 0
	v_add_co_u32 v30, null, 0xa9066899, v10
	s_delay_alu instid0(VALU_DEP_4) | instskip(SKIP_3) | instid1(VALU_DEP_4)
	v_xor3_b32 v0, v21, v3, v8
	v_add_co_u32 v31, null, 0x1715609d, v11
	v_add_co_u32 v32, null, 0xb54cda56, v11
	v_xor3_b32 v3, v5, v22, v6
	v_mad_u64_u32 v[5:6], null, 0xd2511f53, v0, 0
	v_add_co_u32 v33, null, 0x646e171e, v10
	s_delay_alu instid0(VALU_DEP_3) | instskip(SKIP_1) | instid1(VALU_DEP_4)
	v_mad_u64_u32 v[7:8], null, 0xcd9e8d57, v3, 0
	v_add_co_u32 v34, null, 0x1fd5c5a3, v10
	v_xor3_b32 v0, v23, v6, v4
	v_add_co_u32 v35, null, 0x5384540f, v11
	v_div_scale_f32 v16, vcc_lo, 1.0, s5, 1.0
	v_xor3_b32 v4, v8, v24, v2
	s_delay_alu instid0(VALU_DEP_4)
	v_mad_u64_u32 v[2:3], null, 0xcd9e8d57, v0, 0
	s_clause 0x3
	s_load_b64 s[6:7], s[0:1], 0x1b0
	s_load_b32 s20, s[0:1], 0x144
	s_load_b64 s[10:11], s[0:1], 0xd8
	s_load_b32 s14, s[0:1], 0xd0
	v_mad_u64_u32 v[8:9], null, 0xd2511f53, v4, 0
	v_add_co_u32 v36, null, 0xf1bbcdc8, v11
	v_xor3_b32 v3, v25, v3, v7
	v_add_co_u32 v37, null, 0xdb3d7428, v10
	s_clause 0x1
	s_load_b32 s21, s[0:1], 0x6c
	s_load_b64 s[12:13], s[0:1], 0x0
	s_delay_alu instid0(VALU_DEP_4) | instskip(SKIP_2) | instid1(VALU_DEP_3)
	v_xor3_b32 v5, v9, v26, v5
	v_mad_u64_u32 v[0:1], null, 0xd2511f53, v3, 0
	v_div_scale_f32 v9, null, s5, s5, 1.0
	v_mad_u64_u32 v[3:4], null, 0xcd9e8d57, v5, 0
	v_dual_mov_b32 v14, 0 :: v_dual_add_nc_u32 v29, 0x96a522ad, v12
	s_delay_alu instid0(VALU_DEP_3) | instskip(NEXT) | instid1(VALU_DEP_4)
	v_rcp_f32_e32 v15, v9
	v_xor3_b32 v5, v30, v1, v8
	s_waitcnt lgkmcnt(0)
	s_cmp_gt_i32 s14, 1
	v_add_nc_u32_e32 v28, 0x8ff34781, v11
	s_delay_alu instid0(VALU_DEP_4) | instskip(SKIP_3) | instid1(VALU_DEP_2)
	v_xor3_b32 v6, v4, v31, v2
	s_mov_b32 s9, 0
	v_mad_u64_u32 v[1:2], null, 0xcd9e8d57, v5, 0
	s_cselect_b32 s22, -1, 0
	v_mad_u64_u32 v[4:5], null, 0xd2511f53, v6, 0
	s_waitcnt_depctr 0xfff
	v_fma_f32 v6, -v9, v15, 1.0
	s_add_i32 s8, s14, -1
	v_mov_b32_e32 v40, 0
	s_lshl_b64 s[2:3], s[8:9], 2
	s_add_i32 s8, s14, 1
	v_fmac_f32_e32 v15, v6, v15
	v_xor3_b32 v6, v32, v2, v3
	v_xor3_b32 v0, v5, v33, v0
	s_add_u32 s0, s2, s0
	s_addc_u32 s1, s3, s1
	v_mul_f32_e32 v8, v16, v15
	v_mad_u64_u32 v[2:3], null, 0xd2511f53, v6, 0
	v_mad_u64_u32 v[5:6], null, 0xcd9e8d57, v0, 0
	s_delay_alu instid0(VALU_DEP_3) | instskip(SKIP_2) | instid1(VALU_DEP_3)
	v_fma_f32 v38, -v9, v8, v16
	s_add_u32 s14, s0, 8
	s_addc_u32 s15, s1, 0
                                        ; implicit-def: $vgpr41
                                        ; implicit-def: $vgpr42
                                        ; implicit-def: $vgpr43
                                        ; implicit-def: $vgpr44
	v_xor3_b32 v3, v34, v3, v4
	s_delay_alu instid0(VALU_DEP_2) | instskip(SKIP_2) | instid1(VALU_DEP_4)
	v_fmac_f32_e32 v8, v38, v15
	v_mov_b32_e32 v38, v13
	v_xor3_b32 v4, v6, v35, v1
	v_mad_u64_u32 v[0:1], null, 0xcd9e8d57, v3, 0
	s_delay_alu instid0(VALU_DEP_2) | instskip(NEXT) | instid1(VALU_DEP_2)
	v_mad_u64_u32 v[6:7], null, 0xd2511f53, v4, 0
	v_xor3_b32 v1, v36, v1, v5
	s_delay_alu instid0(VALU_DEP_2) | instskip(SKIP_1) | instid1(VALU_DEP_3)
	v_xor3_b32 v5, v7, v37, v2
	v_fma_f32 v7, -v9, v8, v16
	v_mad_u64_u32 v[3:4], null, 0xd2511f53, v1, 0
	s_delay_alu instid0(VALU_DEP_3) | instskip(NEXT) | instid1(VALU_DEP_3)
	v_mad_u64_u32 v[1:2], null, 0xcd9e8d57, v5, 0
	v_div_fmas_f32 v5, v7, v15, v8
	s_delay_alu instid0(VALU_DEP_1) | instskip(NEXT) | instid1(VALU_DEP_3)
	v_div_fixup_f32 v39, v5, s5, 1.0
	v_xor3_b32 v0, v0, v2, v28
	v_xor3_b32 v2, v4, v6, v29
	s_branch .LBB75_5
.LBB75_4:                               ;   in Loop: Header=BB75_5 Depth=1
	s_or_b32 exec_lo, exec_lo, s1
	v_mov_b32_e32 v7, v15
	v_dual_mov_b32 v0, v4 :: v_dual_add_nc_u32 v13, s18, v10
	v_dual_mov_b32 v1, v5 :: v_dual_mov_b32 v2, v6
	s_delay_alu instid0(VALU_DEP_3) | instskip(NEXT) | instid1(VALU_DEP_3)
	v_mov_b32_e32 v3, v7
	v_cmp_le_u32_e32 vcc_lo, s19, v13
	s_waitcnt vmcnt(0)
	s_waitcnt_vscnt null, 0x0
	s_barrier
	buffer_gl0_inv
	s_or_b32 s9, vcc_lo, s9
	s_delay_alu instid0(SALU_CYCLE_1)
	s_and_not1_b32 exec_lo, exec_lo, s9
	s_cbranch_execz .LBB75_43
.LBB75_5:                               ; =>This Loop Header: Depth=1
                                        ;     Child Loop BB75_18 Depth 2
                                        ;     Child Loop BB75_23 Depth 2
	;; [unrolled: 1-line block ×4, first 2 shown]
	v_add_co_u32 v17, vcc_lo, v17, 1
	s_delay_alu instid0(VALU_DEP_1) | instskip(SKIP_2) | instid1(VALU_DEP_1)
	v_cndmask_b32_e64 v4, 0, 1, vcc_lo
	v_add_co_ci_u32_e32 v18, vcc_lo, 0, v18, vcc_lo
	s_mov_b32 s0, exec_lo
	v_cmp_eq_u32_e32 vcc_lo, 0, v18
	s_delay_alu instid0(VALU_DEP_3) | instskip(NEXT) | instid1(VALU_DEP_1)
	v_cndmask_b32_e32 v4, 0, v4, vcc_lo
	v_add_nc_u32_e32 v38, v4, v38
	s_delay_alu instid0(VALU_DEP_1) | instskip(SKIP_2) | instid1(VALU_DEP_2)
	v_cmp_eq_u32_e32 vcc_lo, 0, v38
	v_mad_u64_u32 v[6:7], null, 0xcd9e8d57, v38, 0
	v_cndmask_b32_e32 v4, 0, v4, vcc_lo
	v_xor3_b32 v9, v7, v11, v18
	s_delay_alu instid0(VALU_DEP_2) | instskip(SKIP_1) | instid1(VALU_DEP_3)
	v_add_nc_u32_e32 v40, v4, v40
	v_mad_u64_u32 v[4:5], null, 0xd2511f53, v17, 0
	v_mad_u64_u32 v[7:8], null, 0xd2511f53, v9, 0
	s_delay_alu instid0(VALU_DEP_2) | instskip(NEXT) | instid1(VALU_DEP_2)
	v_xor_b32_e32 v5, v5, v12
	v_xor3_b32 v8, v19, v8, v4
	s_delay_alu instid0(VALU_DEP_2) | instskip(NEXT) | instid1(VALU_DEP_1)
	v_xor_b32_e32 v5, v40, v5
	v_mad_u64_u32 v[9:10], null, 0xcd9e8d57, v5, 0
	s_delay_alu instid0(VALU_DEP_3) | instskip(NEXT) | instid1(VALU_DEP_2)
	v_mad_u64_u32 v[4:5], null, 0xcd9e8d57, v8, 0
	v_xor3_b32 v6, v20, v10, v6
	s_delay_alu instid0(VALU_DEP_2) | instskip(NEXT) | instid1(VALU_DEP_2)
	v_xor3_b32 v8, v21, v5, v9
	v_mad_u64_u32 v[15:16], null, 0xd2511f53, v6, 0
	s_delay_alu instid0(VALU_DEP_2) | instskip(NEXT) | instid1(VALU_DEP_2)
	v_mad_u64_u32 v[5:6], null, 0xd2511f53, v8, 0
	v_xor3_b32 v9, v22, v16, v7
	s_delay_alu instid0(VALU_DEP_2) | instskip(NEXT) | instid1(VALU_DEP_2)
	v_xor3_b32 v6, v23, v6, v15
	v_mad_u64_u32 v[7:8], null, 0xcd9e8d57, v9, 0
	s_delay_alu instid0(VALU_DEP_1) | instskip(NEXT) | instid1(VALU_DEP_3)
	v_xor3_b32 v4, v24, v8, v4
	v_mad_u64_u32 v[8:9], null, 0xcd9e8d57, v6, 0
	s_delay_alu instid0(VALU_DEP_2) | instskip(NEXT) | instid1(VALU_DEP_2)
	v_mad_u64_u32 v[15:16], null, 0xd2511f53, v4, 0
	v_xor3_b32 v6, v25, v9, v7
	s_delay_alu instid0(VALU_DEP_2) | instskip(NEXT) | instid1(VALU_DEP_2)
	v_xor3_b32 v9, v26, v16, v5
	v_mad_u64_u32 v[4:5], null, 0xd2511f53, v6, 0
	s_delay_alu instid0(VALU_DEP_2) | instskip(NEXT) | instid1(VALU_DEP_2)
	v_mad_u64_u32 v[6:7], null, 0xcd9e8d57, v9, 0
	v_xor3_b32 v5, v30, v5, v15
	s_delay_alu instid0(VALU_DEP_2) | instskip(NEXT) | instid1(VALU_DEP_2)
	;; [unrolled: 6-line block ×6, first 2 shown]
	v_xor3_b32 v4, v6, v7, v28
	v_mov_b32_e32 v6, v10
	v_cmpx_lt_i32_e32 1, v27
	s_xor_b32 s0, exec_lo, s0
	s_cbranch_execnz .LBB75_8
; %bb.6:                                ;   in Loop: Header=BB75_5 Depth=1
	s_and_not1_saveexec_b32 s0, s0
	s_cbranch_execnz .LBB75_13
.LBB75_7:                               ;   in Loop: Header=BB75_5 Depth=1
	s_or_b32 exec_lo, exec_lo, s0
	v_cmp_gt_u32_e64 s0, s4, v13
	s_delay_alu instid0(VALU_DEP_1)
	s_and_saveexec_b32 s1, s0
	s_cbranch_execnz .LBB75_16
	s_branch .LBB75_20
.LBB75_8:                               ;   in Loop: Header=BB75_5 Depth=1
	s_mov_b32 s1, exec_lo
	v_cmpx_lt_i32_e32 2, v27
	s_xor_b32 s1, exec_lo, s1
; %bb.9:                                ;   in Loop: Header=BB75_5 Depth=1
	v_dual_mov_b32 v7, v3 :: v_dual_mov_b32 v8, v4
	v_mov_b32_e32 v9, v5
	s_delay_alu instid0(VALU_DEP_2) | instskip(NEXT) | instid1(VALU_DEP_2)
	v_dual_mov_b32 v0, v7 :: v_dual_mov_b32 v1, v8
	v_dual_mov_b32 v2, v9 :: v_dual_mov_b32 v3, v10
; %bb.10:                               ;   in Loop: Header=BB75_5 Depth=1
	s_and_not1_saveexec_b32 s1, s1
; %bb.11:                               ;   in Loop: Header=BB75_5 Depth=1
	s_delay_alu instid0(VALU_DEP_1)
	v_dual_mov_b32 v0, v2 :: v_dual_mov_b32 v1, v3
	v_dual_mov_b32 v2, v4 :: v_dual_mov_b32 v3, v5
; %bb.12:                               ;   in Loop: Header=BB75_5 Depth=1
	s_or_b32 exec_lo, exec_lo, s1
	s_and_not1_saveexec_b32 s0, s0
	s_cbranch_execz .LBB75_7
.LBB75_13:                              ;   in Loop: Header=BB75_5 Depth=1
	s_mov_b32 s1, exec_lo
	v_cmpx_eq_u32_e32 1, v27
; %bb.14:                               ;   in Loop: Header=BB75_5 Depth=1
	v_dual_mov_b32 v0, v1 :: v_dual_mov_b32 v1, v2
	v_dual_mov_b32 v2, v3 :: v_dual_mov_b32 v3, v4
; %bb.15:                               ;   in Loop: Header=BB75_5 Depth=1
	s_or_b32 exec_lo, exec_lo, s1
	s_delay_alu instid0(SALU_CYCLE_1) | instskip(SKIP_1) | instid1(VALU_DEP_1)
	s_or_b32 exec_lo, exec_lo, s0
	v_cmp_gt_u32_e64 s0, s4, v13
	s_and_saveexec_b32 s1, s0
	s_cbranch_execz .LBB75_20
.LBB75_16:                              ;   in Loop: Header=BB75_5 Depth=1
	v_dual_mov_b32 v7, 0 :: v_dual_mov_b32 v8, v13
	s_and_not1_b32 vcc_lo, exec_lo, s22
	s_cbranch_vccnz .LBB75_19
; %bb.17:                               ;   in Loop: Header=BB75_5 Depth=1
	v_dual_mov_b32 v7, 0 :: v_dual_mov_b32 v8, v13
	s_mov_b64 s[2:3], s[14:15]
	s_mov_b32 s16, s8
	s_set_inst_prefetch_distance 0x1
	.p2align	6
.LBB75_18:                              ;   Parent Loop BB75_5 Depth=1
                                        ; =>  This Inner Loop Header: Depth=2
	s_clause 0x1
	s_load_b32 s17, s[2:3], 0x0
	s_load_b32 s23, s[2:3], 0x64
	s_add_i32 s16, s16, -1
	v_mov_b32_e32 v16, v8
	s_waitcnt lgkmcnt(0)
	v_cvt_f32_u32_e32 v9, s17
	s_sub_i32 s24, 0, s17
	s_add_u32 s2, s2, -4
	s_addc_u32 s3, s3, -1
	s_cmp_gt_u32 s16, 2
	v_rcp_iflag_f32_e32 v9, v9
	s_waitcnt_depctr 0xfff
	v_mul_f32_e32 v9, 0x4f7ffffe, v9
	s_delay_alu instid0(VALU_DEP_1) | instskip(NEXT) | instid1(VALU_DEP_1)
	v_cvt_u32_f32_e32 v9, v9
	v_mul_lo_u32 v10, s24, v9
	s_delay_alu instid0(VALU_DEP_1) | instskip(NEXT) | instid1(VALU_DEP_1)
	v_mul_hi_u32 v10, v9, v10
	v_add_nc_u32_e32 v8, v9, v10
	s_delay_alu instid0(VALU_DEP_1) | instskip(NEXT) | instid1(VALU_DEP_1)
	v_mul_hi_u32 v8, v16, v8
	v_mul_lo_u32 v9, v8, s17
	v_add_nc_u32_e32 v10, 1, v8
	s_delay_alu instid0(VALU_DEP_2) | instskip(NEXT) | instid1(VALU_DEP_1)
	v_sub_nc_u32_e32 v9, v16, v9
	v_subrev_nc_u32_e32 v44, s17, v9
	v_cmp_le_u32_e32 vcc_lo, s17, v9
	s_delay_alu instid0(VALU_DEP_2) | instskip(NEXT) | instid1(VALU_DEP_1)
	v_dual_cndmask_b32 v8, v8, v10 :: v_dual_cndmask_b32 v9, v9, v44
	v_add_nc_u32_e32 v10, 1, v8
	s_delay_alu instid0(VALU_DEP_2) | instskip(NEXT) | instid1(VALU_DEP_2)
	v_cmp_le_u32_e32 vcc_lo, s17, v9
	v_cndmask_b32_e32 v8, v8, v10, vcc_lo
	s_delay_alu instid0(VALU_DEP_1) | instskip(NEXT) | instid1(VALU_DEP_1)
	v_mul_lo_u32 v9, v8, s17
	v_sub_nc_u32_e32 v16, v16, v9
	s_delay_alu instid0(VALU_DEP_1) | instskip(NEXT) | instid1(VALU_DEP_1)
	v_mad_u64_u32 v[9:10], null, s23, v16, v[7:8]
	v_mov_b32_e32 v7, v9
	s_cbranch_scc1 .LBB75_18
.LBB75_19:                              ;   in Loop: Header=BB75_5 Depth=1
	s_set_inst_prefetch_distance 0x2
	s_delay_alu instid0(VALU_DEP_1) | instskip(SKIP_1) | instid1(VALU_DEP_1)
	v_mad_u64_u32 v[9:10], null, s21, v8, v[7:8]
	v_mov_b32_e32 v10, v14
	v_lshlrev_b64 v[7:8], 1, v[9:10]
	s_delay_alu instid0(VALU_DEP_1) | instskip(NEXT) | instid1(VALU_DEP_2)
	v_add_co_u32 v7, vcc_lo, s12, v7
	v_add_co_ci_u32_e32 v8, vcc_lo, s13, v8, vcc_lo
	global_load_u16 v44, v[7:8], off
.LBB75_20:                              ;   in Loop: Header=BB75_5 Depth=1
	s_or_b32 exec_lo, exec_lo, s1
	v_add_nc_u32_e32 v8, s18, v13
	s_delay_alu instid0(VALU_DEP_1) | instskip(NEXT) | instid1(VALU_DEP_1)
	v_cmp_gt_u32_e64 s1, s4, v8
	s_and_saveexec_b32 s16, s1
	s_cbranch_execz .LBB75_25
; %bb.21:                               ;   in Loop: Header=BB75_5 Depth=1
	v_mov_b32_e32 v7, 0
	v_mov_b32_e32 v9, v8
	s_and_not1_b32 vcc_lo, exec_lo, s22
	s_cbranch_vccnz .LBB75_24
; %bb.22:                               ;   in Loop: Header=BB75_5 Depth=1
	v_mov_b32_e32 v7, 0
	v_mov_b32_e32 v9, v8
	s_mov_b64 s[2:3], s[14:15]
	s_mov_b32 s17, s8
	s_set_inst_prefetch_distance 0x1
	.p2align	6
.LBB75_23:                              ;   Parent Loop BB75_5 Depth=1
                                        ; =>  This Inner Loop Header: Depth=2
	s_clause 0x1
	s_load_b32 s23, s[2:3], 0x0
	s_load_b32 s24, s[2:3], 0x64
	s_add_i32 s17, s17, -1
	v_mov_b32_e32 v43, v9
	s_waitcnt lgkmcnt(0)
	v_cvt_f32_u32_e32 v10, s23
	s_sub_i32 s25, 0, s23
	s_add_u32 s2, s2, -4
	s_addc_u32 s3, s3, -1
	s_cmp_gt_u32 s17, 2
	v_rcp_iflag_f32_e32 v10, v10
	s_waitcnt_depctr 0xfff
	v_mul_f32_e32 v10, 0x4f7ffffe, v10
	s_delay_alu instid0(VALU_DEP_1) | instskip(NEXT) | instid1(VALU_DEP_1)
	v_cvt_u32_f32_e32 v10, v10
	v_mul_lo_u32 v16, s25, v10
	s_delay_alu instid0(VALU_DEP_1) | instskip(NEXT) | instid1(VALU_DEP_1)
	v_mul_hi_u32 v16, v10, v16
	v_add_nc_u32_e32 v9, v10, v16
	s_delay_alu instid0(VALU_DEP_1) | instskip(NEXT) | instid1(VALU_DEP_1)
	v_mul_hi_u32 v9, v43, v9
	v_mul_lo_u32 v10, v9, s23
	v_add_nc_u32_e32 v16, 1, v9
	s_delay_alu instid0(VALU_DEP_2) | instskip(NEXT) | instid1(VALU_DEP_1)
	v_sub_nc_u32_e32 v10, v43, v10
	v_subrev_nc_u32_e32 v45, s23, v10
	v_cmp_le_u32_e32 vcc_lo, s23, v10
	s_delay_alu instid0(VALU_DEP_2) | instskip(NEXT) | instid1(VALU_DEP_1)
	v_dual_cndmask_b32 v9, v9, v16 :: v_dual_cndmask_b32 v10, v10, v45
	v_add_nc_u32_e32 v16, 1, v9
	s_delay_alu instid0(VALU_DEP_2) | instskip(NEXT) | instid1(VALU_DEP_2)
	v_cmp_le_u32_e32 vcc_lo, s23, v10
	v_cndmask_b32_e32 v9, v9, v16, vcc_lo
	s_delay_alu instid0(VALU_DEP_1) | instskip(NEXT) | instid1(VALU_DEP_1)
	v_mul_lo_u32 v10, v9, s23
	v_sub_nc_u32_e32 v10, v43, v10
	s_delay_alu instid0(VALU_DEP_1) | instskip(NEXT) | instid1(VALU_DEP_1)
	v_mad_u64_u32 v[45:46], null, s24, v10, v[7:8]
	v_mov_b32_e32 v7, v45
	s_cbranch_scc1 .LBB75_23
.LBB75_24:                              ;   in Loop: Header=BB75_5 Depth=1
	s_set_inst_prefetch_distance 0x2
	s_delay_alu instid0(VALU_DEP_1) | instskip(SKIP_1) | instid1(VALU_DEP_1)
	v_mad_u64_u32 v[45:46], null, s21, v9, v[7:8]
	v_mov_b32_e32 v46, v14
	v_lshlrev_b64 v[9:10], 1, v[45:46]
	s_delay_alu instid0(VALU_DEP_1) | instskip(NEXT) | instid1(VALU_DEP_2)
	v_add_co_u32 v9, vcc_lo, s12, v9
	v_add_co_ci_u32_e32 v10, vcc_lo, s13, v10, vcc_lo
	global_load_u16 v43, v[9:10], off
.LBB75_25:                              ;   in Loop: Header=BB75_5 Depth=1
	s_or_b32 exec_lo, exec_lo, s16
	v_add_nc_u32_e32 v9, s18, v8
	s_delay_alu instid0(VALU_DEP_1) | instskip(NEXT) | instid1(VALU_DEP_1)
	v_cmp_gt_u32_e64 s2, s4, v9
	s_and_saveexec_b32 s3, s2
	s_cbranch_execz .LBB75_30
; %bb.26:                               ;   in Loop: Header=BB75_5 Depth=1
	v_dual_mov_b32 v7, 0 :: v_dual_mov_b32 v10, v9
	s_and_not1_b32 vcc_lo, exec_lo, s22
	s_cbranch_vccnz .LBB75_29
; %bb.27:                               ;   in Loop: Header=BB75_5 Depth=1
	v_dual_mov_b32 v7, 0 :: v_dual_mov_b32 v10, v9
	s_mov_b64 s[16:17], s[14:15]
	s_mov_b32 s23, s8
	s_set_inst_prefetch_distance 0x1
	.p2align	6
.LBB75_28:                              ;   Parent Loop BB75_5 Depth=1
                                        ; =>  This Inner Loop Header: Depth=2
	s_clause 0x1
	s_load_b32 s24, s[16:17], 0x0
	s_load_b32 s25, s[16:17], 0x64
	s_add_i32 s23, s23, -1
	v_mov_b32_e32 v45, v10
	s_waitcnt lgkmcnt(0)
	v_cvt_f32_u32_e32 v16, s24
	s_sub_i32 s26, 0, s24
	s_add_u32 s16, s16, -4
	s_addc_u32 s17, s17, -1
	s_cmp_gt_u32 s23, 2
	v_rcp_iflag_f32_e32 v16, v16
	s_waitcnt_depctr 0xfff
	v_mul_f32_e32 v16, 0x4f7ffffe, v16
	s_delay_alu instid0(VALU_DEP_1) | instskip(NEXT) | instid1(VALU_DEP_1)
	v_cvt_u32_f32_e32 v16, v16
	v_mul_lo_u32 v42, s26, v16
	s_delay_alu instid0(VALU_DEP_1) | instskip(NEXT) | instid1(VALU_DEP_1)
	v_mul_hi_u32 v42, v16, v42
	v_add_nc_u32_e32 v10, v16, v42
	s_delay_alu instid0(VALU_DEP_1) | instskip(NEXT) | instid1(VALU_DEP_1)
	v_mul_hi_u32 v10, v45, v10
	v_mul_lo_u32 v16, v10, s24
	v_add_nc_u32_e32 v42, 1, v10
	s_delay_alu instid0(VALU_DEP_2) | instskip(NEXT) | instid1(VALU_DEP_1)
	v_sub_nc_u32_e32 v16, v45, v16
	v_subrev_nc_u32_e32 v46, s24, v16
	v_cmp_le_u32_e32 vcc_lo, s24, v16
	s_delay_alu instid0(VALU_DEP_4) | instskip(NEXT) | instid1(VALU_DEP_3)
	v_cndmask_b32_e32 v10, v10, v42, vcc_lo
	v_cndmask_b32_e32 v16, v16, v46, vcc_lo
	s_delay_alu instid0(VALU_DEP_2) | instskip(NEXT) | instid1(VALU_DEP_2)
	v_add_nc_u32_e32 v42, 1, v10
	v_cmp_le_u32_e32 vcc_lo, s24, v16
	s_delay_alu instid0(VALU_DEP_2) | instskip(NEXT) | instid1(VALU_DEP_1)
	v_cndmask_b32_e32 v10, v10, v42, vcc_lo
	v_mul_lo_u32 v16, v10, s24
	s_delay_alu instid0(VALU_DEP_1) | instskip(NEXT) | instid1(VALU_DEP_1)
	v_sub_nc_u32_e32 v16, v45, v16
	v_mad_u64_u32 v[45:46], null, s25, v16, v[7:8]
	s_delay_alu instid0(VALU_DEP_1)
	v_mov_b32_e32 v7, v45
	s_cbranch_scc1 .LBB75_28
.LBB75_29:                              ;   in Loop: Header=BB75_5 Depth=1
	s_set_inst_prefetch_distance 0x2
	s_delay_alu instid0(VALU_DEP_1) | instskip(SKIP_1) | instid1(VALU_DEP_1)
	v_mad_u64_u32 v[45:46], null, s21, v10, v[7:8]
	v_mov_b32_e32 v46, v14
	v_lshlrev_b64 v[45:46], 1, v[45:46]
	s_delay_alu instid0(VALU_DEP_1) | instskip(NEXT) | instid1(VALU_DEP_2)
	v_add_co_u32 v45, vcc_lo, s12, v45
	v_add_co_ci_u32_e32 v46, vcc_lo, s13, v46, vcc_lo
	global_load_u16 v42, v[45:46], off
.LBB75_30:                              ;   in Loop: Header=BB75_5 Depth=1
	s_or_b32 exec_lo, exec_lo, s3
	v_add_nc_u32_e32 v10, s18, v9
	s_delay_alu instid0(VALU_DEP_1) | instskip(NEXT) | instid1(VALU_DEP_1)
	v_cmp_gt_u32_e64 s3, s4, v10
	s_and_saveexec_b32 s23, s3
	s_cbranch_execnz .LBB75_35
; %bb.31:                               ;   in Loop: Header=BB75_5 Depth=1
	s_or_b32 exec_lo, exec_lo, s23
	s_and_saveexec_b32 s16, s0
	s_cbranch_execnz .LBB75_39
.LBB75_32:                              ;   in Loop: Header=BB75_5 Depth=1
	s_or_b32 exec_lo, exec_lo, s16
	s_and_saveexec_b32 s16, s1
	s_cbranch_execnz .LBB75_40
.LBB75_33:                              ;   in Loop: Header=BB75_5 Depth=1
	s_or_b32 exec_lo, exec_lo, s16
	s_and_saveexec_b32 s1, s2
	s_cbranch_execnz .LBB75_41
.LBB75_34:                              ;   in Loop: Header=BB75_5 Depth=1
	s_or_b32 exec_lo, exec_lo, s1
	s_and_saveexec_b32 s1, s3
	s_cbranch_execz .LBB75_4
	s_branch .LBB75_42
.LBB75_35:                              ;   in Loop: Header=BB75_5 Depth=1
	v_dual_mov_b32 v7, 0 :: v_dual_mov_b32 v16, v10
	s_and_not1_b32 vcc_lo, exec_lo, s22
	s_cbranch_vccnz .LBB75_38
; %bb.36:                               ;   in Loop: Header=BB75_5 Depth=1
	v_dual_mov_b32 v7, 0 :: v_dual_mov_b32 v16, v10
	s_mov_b64 s[16:17], s[14:15]
	s_mov_b32 s24, s8
	s_set_inst_prefetch_distance 0x1
	.p2align	6
.LBB75_37:                              ;   Parent Loop BB75_5 Depth=1
                                        ; =>  This Inner Loop Header: Depth=2
	s_clause 0x1
	s_load_b32 s25, s[16:17], 0x0
	s_load_b32 s26, s[16:17], 0x64
	s_add_i32 s24, s24, -1
	v_mov_b32_e32 v46, v16
	s_waitcnt lgkmcnt(0)
	v_cvt_f32_u32_e32 v41, s25
	s_sub_i32 s27, 0, s25
	s_add_u32 s16, s16, -4
	s_addc_u32 s17, s17, -1
	s_cmp_gt_u32 s24, 2
	v_rcp_iflag_f32_e32 v41, v41
	s_waitcnt_depctr 0xfff
	v_mul_f32_e32 v41, 0x4f7ffffe, v41
	s_delay_alu instid0(VALU_DEP_1) | instskip(NEXT) | instid1(VALU_DEP_1)
	v_cvt_u32_f32_e32 v41, v41
	v_mul_lo_u32 v45, s27, v41
	s_delay_alu instid0(VALU_DEP_1) | instskip(NEXT) | instid1(VALU_DEP_1)
	v_mul_hi_u32 v45, v41, v45
	v_add_nc_u32_e32 v16, v41, v45
	s_delay_alu instid0(VALU_DEP_1) | instskip(NEXT) | instid1(VALU_DEP_1)
	v_mul_hi_u32 v16, v46, v16
	v_mul_lo_u32 v41, v16, s25
	v_add_nc_u32_e32 v45, 1, v16
	s_delay_alu instid0(VALU_DEP_2) | instskip(NEXT) | instid1(VALU_DEP_1)
	v_sub_nc_u32_e32 v41, v46, v41
	v_subrev_nc_u32_e32 v47, s25, v41
	v_cmp_le_u32_e32 vcc_lo, s25, v41
	s_delay_alu instid0(VALU_DEP_2) | instskip(NEXT) | instid1(VALU_DEP_1)
	v_dual_cndmask_b32 v16, v16, v45 :: v_dual_cndmask_b32 v41, v41, v47
	v_add_nc_u32_e32 v45, 1, v16
	s_delay_alu instid0(VALU_DEP_2) | instskip(NEXT) | instid1(VALU_DEP_2)
	v_cmp_le_u32_e32 vcc_lo, s25, v41
	v_cndmask_b32_e32 v16, v16, v45, vcc_lo
	s_delay_alu instid0(VALU_DEP_1) | instskip(NEXT) | instid1(VALU_DEP_1)
	v_mul_lo_u32 v41, v16, s25
	v_sub_nc_u32_e32 v41, v46, v41
	s_delay_alu instid0(VALU_DEP_1) | instskip(NEXT) | instid1(VALU_DEP_1)
	v_mad_u64_u32 v[45:46], null, s26, v41, v[7:8]
	v_mov_b32_e32 v7, v45
	s_cbranch_scc1 .LBB75_37
.LBB75_38:                              ;   in Loop: Header=BB75_5 Depth=1
	s_set_inst_prefetch_distance 0x2
	s_delay_alu instid0(VALU_DEP_1) | instskip(SKIP_1) | instid1(VALU_DEP_1)
	v_mad_u64_u32 v[45:46], null, s21, v16, v[7:8]
	v_mov_b32_e32 v46, v14
	v_lshlrev_b64 v[45:46], 1, v[45:46]
	s_delay_alu instid0(VALU_DEP_1) | instskip(NEXT) | instid1(VALU_DEP_2)
	v_add_co_u32 v45, vcc_lo, s12, v45
	v_add_co_ci_u32_e32 v46, vcc_lo, s13, v46, vcc_lo
	global_load_u16 v41, v[45:46], off
	s_or_b32 exec_lo, exec_lo, s23
	s_and_saveexec_b32 s16, s0
	s_cbranch_execz .LBB75_32
.LBB75_39:                              ;   in Loop: Header=BB75_5 Depth=1
	v_cvt_f32_u32_e32 v0, v0
	v_mul_lo_u32 v13, v13, s20
	s_waitcnt vmcnt(0)
	v_cvt_f32_f16_e32 v7, v44
	s_delay_alu instid0(VALU_DEP_3) | instskip(NEXT) | instid1(VALU_DEP_3)
	v_fmaak_f32 v0, 0x2f800000, v0, 0x2f800000
	v_lshlrev_b64 v[45:46], 1, v[13:14]
	s_delay_alu instid0(VALU_DEP_2) | instskip(NEXT) | instid1(VALU_DEP_2)
	v_cmp_gt_f32_e32 vcc_lo, s5, v0
	v_add_co_u32 v45, s0, s10, v45
	v_cndmask_b32_e64 v0, 0, 1.0, vcc_lo
	s_delay_alu instid0(VALU_DEP_4) | instskip(NEXT) | instid1(VALU_DEP_2)
	v_add_co_ci_u32_e64 v46, s0, s11, v46, s0
	v_mul_f32_e32 v0, v0, v7
	v_cndmask_b32_e64 v7, 0, 1, vcc_lo
	s_delay_alu instid0(VALU_DEP_2)
	v_fma_mixlo_f16 v0, v39, v0, 0
	global_store_b16 v[45:46], v0, off
	global_store_b8 v13, v7, s[6:7]
	s_or_b32 exec_lo, exec_lo, s16
	s_and_saveexec_b32 s16, s1
	s_cbranch_execz .LBB75_33
.LBB75_40:                              ;   in Loop: Header=BB75_5 Depth=1
	v_cvt_f32_u32_e32 v0, v1
	s_waitcnt vmcnt(0)
	v_cvt_f32_f16_e32 v7, v43
	v_mul_lo_u32 v13, v8, s20
	s_delay_alu instid0(VALU_DEP_3) | instskip(NEXT) | instid1(VALU_DEP_1)
	v_fmaak_f32 v0, 0x2f800000, v0, 0x2f800000
	v_cmp_gt_f32_e32 vcc_lo, s5, v0
	s_delay_alu instid0(VALU_DEP_3) | instskip(SKIP_1) | instid1(VALU_DEP_2)
	v_lshlrev_b64 v[0:1], 1, v[13:14]
	v_cndmask_b32_e64 v8, 0, 1.0, vcc_lo
	v_add_co_u32 v0, s0, s10, v0
	s_delay_alu instid0(VALU_DEP_1) | instskip(NEXT) | instid1(VALU_DEP_3)
	v_add_co_ci_u32_e64 v1, s0, s11, v1, s0
	v_mul_f32_e32 v7, v8, v7
	v_cndmask_b32_e64 v8, 0, 1, vcc_lo
	s_delay_alu instid0(VALU_DEP_2)
	v_fma_mixlo_f16 v7, v39, v7, 0
	global_store_b16 v[0:1], v7, off
	global_store_b8 v13, v8, s[6:7]
	s_or_b32 exec_lo, exec_lo, s16
	s_and_saveexec_b32 s1, s2
	s_cbranch_execz .LBB75_34
.LBB75_41:                              ;   in Loop: Header=BB75_5 Depth=1
	v_cvt_f32_u32_e32 v0, v2
	v_mul_lo_u32 v13, v9, s20
	s_waitcnt vmcnt(0)
	v_cvt_f32_f16_e32 v2, v42
	s_delay_alu instid0(VALU_DEP_3) | instskip(NEXT) | instid1(VALU_DEP_1)
	v_fmaak_f32 v0, 0x2f800000, v0, 0x2f800000
	v_cmp_gt_f32_e32 vcc_lo, s5, v0
	s_delay_alu instid0(VALU_DEP_4) | instskip(SKIP_1) | instid1(VALU_DEP_2)
	v_lshlrev_b64 v[0:1], 1, v[13:14]
	v_cndmask_b32_e64 v7, 0, 1.0, vcc_lo
	v_add_co_u32 v0, s0, s10, v0
	s_delay_alu instid0(VALU_DEP_1) | instskip(NEXT) | instid1(VALU_DEP_3)
	v_add_co_ci_u32_e64 v1, s0, s11, v1, s0
	v_mul_f32_e32 v2, v7, v2
	v_cndmask_b32_e64 v7, 0, 1, vcc_lo
	s_delay_alu instid0(VALU_DEP_2)
	v_fma_mixlo_f16 v2, v39, v2, 0
	global_store_b16 v[0:1], v2, off
	global_store_b8 v13, v7, s[6:7]
	s_or_b32 exec_lo, exec_lo, s1
	s_and_saveexec_b32 s1, s3
	s_cbranch_execz .LBB75_4
.LBB75_42:                              ;   in Loop: Header=BB75_5 Depth=1
	v_cvt_f32_u32_e32 v0, v3
	v_mul_lo_u32 v13, v10, s20
	s_waitcnt vmcnt(0)
	v_cvt_f32_f16_e32 v2, v41
	s_delay_alu instid0(VALU_DEP_3) | instskip(NEXT) | instid1(VALU_DEP_1)
	v_fmaak_f32 v0, 0x2f800000, v0, 0x2f800000
	v_cmp_gt_f32_e32 vcc_lo, s5, v0
	s_delay_alu instid0(VALU_DEP_4) | instskip(SKIP_1) | instid1(VALU_DEP_2)
	v_lshlrev_b64 v[0:1], 1, v[13:14]
	v_cndmask_b32_e64 v3, 0, 1.0, vcc_lo
	v_add_co_u32 v0, s0, s10, v0
	s_delay_alu instid0(VALU_DEP_1) | instskip(NEXT) | instid1(VALU_DEP_3)
	v_add_co_ci_u32_e64 v1, s0, s11, v1, s0
	v_mul_f32_e32 v2, v3, v2
	v_cndmask_b32_e64 v3, 0, 1, vcc_lo
	s_delay_alu instid0(VALU_DEP_2)
	v_fma_mixlo_f16 v2, v39, v2, 0
	global_store_b16 v[0:1], v2, off
	global_store_b8 v13, v3, s[6:7]
	s_branch .LBB75_4
.LBB75_43:
	s_endpgm
	.section	.rodata,"a",@progbits
	.p2align	6, 0x0
	.amdhsa_kernel _ZN2at6native12_GLOBAL__N_120fused_dropout_kernelIN3c104HalfEfjLin1ELi1EhEEvNS_4cuda6detail10TensorInfoIKT_T1_EENS7_IS8_SA_EENS7_IT4_SA_EESA_T0_NS_15PhiloxCudaStateE
		.amdhsa_group_segment_fixed_size 0
		.amdhsa_private_segment_fixed_size 0
		.amdhsa_kernarg_size 944
		.amdhsa_user_sgpr_count 15
		.amdhsa_user_sgpr_dispatch_ptr 0
		.amdhsa_user_sgpr_queue_ptr 0
		.amdhsa_user_sgpr_kernarg_segment_ptr 1
		.amdhsa_user_sgpr_dispatch_id 0
		.amdhsa_user_sgpr_private_segment_size 0
		.amdhsa_wavefront_size32 1
		.amdhsa_uses_dynamic_stack 0
		.amdhsa_enable_private_segment 0
		.amdhsa_system_sgpr_workgroup_id_x 1
		.amdhsa_system_sgpr_workgroup_id_y 0
		.amdhsa_system_sgpr_workgroup_id_z 0
		.amdhsa_system_sgpr_workgroup_info 0
		.amdhsa_system_vgpr_workitem_id 0
		.amdhsa_next_free_vgpr 48
		.amdhsa_next_free_sgpr 28
		.amdhsa_reserve_vcc 1
		.amdhsa_float_round_mode_32 0
		.amdhsa_float_round_mode_16_64 0
		.amdhsa_float_denorm_mode_32 3
		.amdhsa_float_denorm_mode_16_64 3
		.amdhsa_dx10_clamp 1
		.amdhsa_ieee_mode 1
		.amdhsa_fp16_overflow 0
		.amdhsa_workgroup_processor_mode 1
		.amdhsa_memory_ordered 1
		.amdhsa_forward_progress 0
		.amdhsa_shared_vgpr_count 0
		.amdhsa_exception_fp_ieee_invalid_op 0
		.amdhsa_exception_fp_denorm_src 0
		.amdhsa_exception_fp_ieee_div_zero 0
		.amdhsa_exception_fp_ieee_overflow 0
		.amdhsa_exception_fp_ieee_underflow 0
		.amdhsa_exception_fp_ieee_inexact 0
		.amdhsa_exception_int_div_zero 0
	.end_amdhsa_kernel
	.section	.text._ZN2at6native12_GLOBAL__N_120fused_dropout_kernelIN3c104HalfEfjLin1ELi1EhEEvNS_4cuda6detail10TensorInfoIKT_T1_EENS7_IS8_SA_EENS7_IT4_SA_EESA_T0_NS_15PhiloxCudaStateE,"axG",@progbits,_ZN2at6native12_GLOBAL__N_120fused_dropout_kernelIN3c104HalfEfjLin1ELi1EhEEvNS_4cuda6detail10TensorInfoIKT_T1_EENS7_IS8_SA_EENS7_IT4_SA_EESA_T0_NS_15PhiloxCudaStateE,comdat
.Lfunc_end75:
	.size	_ZN2at6native12_GLOBAL__N_120fused_dropout_kernelIN3c104HalfEfjLin1ELi1EhEEvNS_4cuda6detail10TensorInfoIKT_T1_EENS7_IS8_SA_EENS7_IT4_SA_EESA_T0_NS_15PhiloxCudaStateE, .Lfunc_end75-_ZN2at6native12_GLOBAL__N_120fused_dropout_kernelIN3c104HalfEfjLin1ELi1EhEEvNS_4cuda6detail10TensorInfoIKT_T1_EENS7_IS8_SA_EENS7_IT4_SA_EESA_T0_NS_15PhiloxCudaStateE
                                        ; -- End function
	.section	.AMDGPU.csdata,"",@progbits
; Kernel info:
; codeLenInByte = 3804
; NumSgprs: 30
; NumVgprs: 48
; ScratchSize: 0
; MemoryBound: 0
; FloatMode: 240
; IeeeMode: 1
; LDSByteSize: 0 bytes/workgroup (compile time only)
; SGPRBlocks: 3
; VGPRBlocks: 5
; NumSGPRsForWavesPerEU: 30
; NumVGPRsForWavesPerEU: 48
; Occupancy: 16
; WaveLimiterHint : 1
; COMPUTE_PGM_RSRC2:SCRATCH_EN: 0
; COMPUTE_PGM_RSRC2:USER_SGPR: 15
; COMPUTE_PGM_RSRC2:TRAP_HANDLER: 0
; COMPUTE_PGM_RSRC2:TGID_X_EN: 1
; COMPUTE_PGM_RSRC2:TGID_Y_EN: 0
; COMPUTE_PGM_RSRC2:TGID_Z_EN: 0
; COMPUTE_PGM_RSRC2:TIDIG_COMP_CNT: 0
	.section	.text._ZN2at6native12_GLOBAL__N_120fused_dropout_kernelIN3c104HalfEfjLin1ELin1EhEEvNS_4cuda6detail10TensorInfoIKT_T1_EENS7_IS8_SA_EENS7_IT4_SA_EESA_T0_NS_15PhiloxCudaStateE,"axG",@progbits,_ZN2at6native12_GLOBAL__N_120fused_dropout_kernelIN3c104HalfEfjLin1ELin1EhEEvNS_4cuda6detail10TensorInfoIKT_T1_EENS7_IS8_SA_EENS7_IT4_SA_EESA_T0_NS_15PhiloxCudaStateE,comdat
	.globl	_ZN2at6native12_GLOBAL__N_120fused_dropout_kernelIN3c104HalfEfjLin1ELin1EhEEvNS_4cuda6detail10TensorInfoIKT_T1_EENS7_IS8_SA_EENS7_IT4_SA_EESA_T0_NS_15PhiloxCudaStateE ; -- Begin function _ZN2at6native12_GLOBAL__N_120fused_dropout_kernelIN3c104HalfEfjLin1ELin1EhEEvNS_4cuda6detail10TensorInfoIKT_T1_EENS7_IS8_SA_EENS7_IT4_SA_EESA_T0_NS_15PhiloxCudaStateE
	.p2align	8
	.type	_ZN2at6native12_GLOBAL__N_120fused_dropout_kernelIN3c104HalfEfjLin1ELin1EhEEvNS_4cuda6detail10TensorInfoIKT_T1_EENS7_IS8_SA_EENS7_IT4_SA_EESA_T0_NS_15PhiloxCudaStateE,@function
_ZN2at6native12_GLOBAL__N_120fused_dropout_kernelIN3c104HalfEfjLin1ELin1EhEEvNS_4cuda6detail10TensorInfoIKT_T1_EENS7_IS8_SA_EENS7_IT4_SA_EESA_T0_NS_15PhiloxCudaStateE: ; @_ZN2at6native12_GLOBAL__N_120fused_dropout_kernelIN3c104HalfEfjLin1ELin1EhEEvNS_4cuda6detail10TensorInfoIKT_T1_EENS7_IS8_SA_EENS7_IT4_SA_EESA_T0_NS_15PhiloxCudaStateE
; %bb.0:
	s_clause 0x1
	s_load_b128 s[4:7], s[0:1], 0x290
	s_load_b32 s2, s[0:1], 0x2a8
	s_waitcnt lgkmcnt(0)
	v_dual_mov_b32 v1, s6 :: v_dual_mov_b32 v2, s7
	v_dual_mov_b32 v12, s5 :: v_dual_mov_b32 v11, s4
	s_bitcmp0_b32 s2, 0
	s_cbranch_scc1 .LBB76_2
; %bb.1:
	v_dual_mov_b32 v1, s6 :: v_dual_mov_b32 v2, s7
	v_dual_mov_b32 v3, s4 :: v_dual_mov_b32 v4, s5
	s_load_b64 s[2:3], s[0:1], 0x2a0
	flat_load_b64 v[1:2], v[1:2]
	flat_load_b64 v[11:12], v[3:4]
	s_waitcnt vmcnt(1) lgkmcnt(0)
	v_add_co_u32 v1, vcc_lo, v1, s2
	v_add_co_ci_u32_e32 v2, vcc_lo, s3, v2, vcc_lo
.LBB76_2:
	s_clause 0x2
	s_load_b32 s2, s[0:1], 0x2bc
	s_load_b32 s20, s[0:1], 0x2b0
	s_load_b64 s[4:5], s[0:1], 0x288
	s_waitcnt lgkmcnt(0)
	s_and_b32 s2, s2, 0xffff
	s_add_i32 s7, s4, -1
	s_mul_i32 s20, s20, s2
	v_mad_u64_u32 v[13:14], null, s15, s2, v[0:1]
	s_lshl_b32 s21, s20, 2
	s_delay_alu instid0(SALU_CYCLE_1) | instskip(SKIP_1) | instid1(VALU_DEP_1)
	v_cvt_f32_u32_e32 v3, s21
	s_sub_i32 s6, 0, s21
	v_rcp_iflag_f32_e32 v3, v3
	s_waitcnt_depctr 0xfff
	v_mul_f32_e32 v3, 0x4f7ffffe, v3
	s_delay_alu instid0(VALU_DEP_1) | instskip(NEXT) | instid1(VALU_DEP_1)
	v_cvt_u32_f32_e32 v3, v3
	v_readfirstlane_b32 s3, v3
	s_delay_alu instid0(VALU_DEP_1) | instskip(NEXT) | instid1(SALU_CYCLE_1)
	s_mul_i32 s6, s6, s3
	s_mul_hi_u32 s6, s3, s6
	s_delay_alu instid0(SALU_CYCLE_1) | instskip(NEXT) | instid1(SALU_CYCLE_1)
	s_add_i32 s3, s3, s6
	s_mul_hi_u32 s3, s7, s3
	s_delay_alu instid0(SALU_CYCLE_1) | instskip(NEXT) | instid1(SALU_CYCLE_1)
	s_mul_i32 s6, s3, s21
	s_sub_i32 s6, s7, s6
	s_add_i32 s7, s3, 1
	s_sub_i32 s8, s6, s21
	s_cmp_ge_u32 s6, s21
	s_cselect_b32 s2, s7, s3
	s_cselect_b32 s3, s8, s6
	s_add_i32 s6, s2, 1
	s_cmp_ge_u32 s3, s21
	s_cselect_b32 s2, s6, s2
	s_delay_alu instid0(SALU_CYCLE_1) | instskip(NEXT) | instid1(SALU_CYCLE_1)
	s_add_i32 s2, s2, 1
	s_mul_i32 s22, s21, s2
	s_mov_b32 s2, exec_lo
	v_cmpx_gt_u32_e64 s22, v13
	s_cbranch_execz .LBB76_55
; %bb.3:
	v_mad_u64_u32 v[3:4], null, 0xcd9e8d57, v13, 0
	v_alignbit_b32 v16, v2, v1, 2
	v_lshrrev_b32_e32 v17, 2, v2
	s_waitcnt vmcnt(0)
	v_dual_mov_b32 v14, v12 :: v_dual_mov_b32 v23, 0
	v_add_co_u32 v19, null, 0x9e3779b9, v11
	v_mad_u64_u32 v[5:6], null, 0xd2511f53, v16, 0
	v_xor3_b32 v0, v11, v4, v17
	s_delay_alu instid0(VALU_DEP_4) | instskip(SKIP_1) | instid1(VALU_DEP_3)
	v_add_co_u32 v18, null, 0xbb67ae85, v14
	v_add_co_u32 v20, null, 0x3c6ef372, v11
	v_mad_u64_u32 v[7:8], null, 0xd2511f53, v0, 0
	v_xor_b32_e32 v0, v6, v12
	v_add_co_u32 v21, null, 0x76cf5d0a, v14
	v_add_co_u32 v22, null, 0x32370b8f, v14
	s_delay_alu instid0(VALU_DEP_3) | instskip(SKIP_3) | instid1(VALU_DEP_3)
	v_mad_u64_u32 v[9:10], null, 0xcd9e8d57, v0, 0
	v_xor3_b32 v0, v18, v8, v5
	v_add_co_u32 v25, null, 0xdaa66d2b, v11
	v_add_co_u32 v28, null, 0x78dde6e4, v11
	v_mad_u64_u32 v[4:5], null, 0xcd9e8d57, v0, 0
	v_xor3_b32 v0, v10, v19, v3
	v_add_co_u32 v29, null, 0xed9eba14, v14
	v_add_co_u32 v31, null, 0xa9066899, v14
	s_delay_alu instid0(VALU_DEP_3)
	v_mad_u64_u32 v[2:3], null, 0xd2511f53, v0, 0
	v_xor3_b32 v0, v20, v5, v9
	v_div_scale_f32 v9, vcc_lo, 1.0, s5, 1.0
	v_and_b32_e32 v24, 3, v1
	v_add_co_u32 v32, null, 0x1715609d, v11
	v_xor3_b32 v3, v3, v21, v7
	v_mad_u64_u32 v[5:6], null, 0xd2511f53, v0, 0
	v_div_scale_f32 v8, null, s5, s5, 1.0
	s_delay_alu instid0(VALU_DEP_3) | instskip(SKIP_1) | instid1(VALU_DEP_4)
	v_mad_u64_u32 v[0:1], null, 0xcd9e8d57, v3, 0
	v_add_co_u32 v30, null, 0xb54cda56, v11
	v_xor3_b32 v6, v22, v6, v2
	s_delay_alu instid0(VALU_DEP_4) | instskip(SKIP_1) | instid1(VALU_DEP_4)
	v_rcp_f32_e32 v10, v8
	v_add_co_u32 v35, null, 0x646e171e, v14
	v_xor3_b32 v1, v1, v25, v4
	s_delay_alu instid0(VALU_DEP_3)
	v_mad_u64_u32 v[2:3], null, 0xcd9e8d57, v6, 0
	s_clause 0x2
	s_load_b32 s14, s[0:1], 0xd0
	s_load_b32 s24, s[0:1], 0x6c
	s_load_b64 s[12:13], s[0:1], 0x0
	v_mad_u64_u32 v[6:7], null, 0xd2511f53, v1, 0
	s_clause 0x1
	s_load_b64 s[8:9], s[0:1], 0x1b0
	s_load_b32 s17, s[0:1], 0x1a8
	v_xor3_b32 v3, v28, v3, v0
	v_add_co_u32 v33, null, 0x5384540f, v11
	v_add_co_u32 v36, null, 0x1fd5c5a3, v14
	s_delay_alu instid0(VALU_DEP_4) | instskip(NEXT) | instid1(VALU_DEP_4)
	v_xor3_b32 v5, v7, v29, v5
	v_mad_u64_u32 v[0:1], null, 0xd2511f53, v3, 0
	v_fma_f32 v7, -v8, v10, 1.0
	v_add_nc_u32_e32 v27, 0x96a522ad, v12
	s_delay_alu instid0(VALU_DEP_4) | instskip(SKIP_1) | instid1(VALU_DEP_4)
	v_mad_u64_u32 v[3:4], null, 0xcd9e8d57, v5, 0
	v_add_co_u32 v34, null, 0xf1bbcdc8, v11
	v_fmac_f32_e32 v10, v7, v10
	v_xor3_b32 v1, v31, v1, v6
	v_add_co_u32 v37, null, 0xdb3d7428, v14
	v_xor3_b32 v4, v4, v32, v2
	s_delay_alu instid0(VALU_DEP_4) | instskip(NEXT) | instid1(VALU_DEP_4)
	v_mul_f32_e32 v15, v9, v10
	v_mad_u64_u32 v[5:6], null, 0xcd9e8d57, v1, 0
	s_add_u32 s16, s0, 0xd8
	s_delay_alu instid0(VALU_DEP_3) | instskip(NEXT) | instid1(VALU_DEP_3)
	v_mad_u64_u32 v[1:2], null, 0xd2511f53, v4, 0
	v_fma_f32 v38, -v8, v15, v9
	s_addc_u32 s18, s1, 0
	v_add_nc_u32_e32 v26, 0x8ff34781, v11
	s_delay_alu instid0(VALU_DEP_4)
	v_xor3_b32 v6, v30, v6, v3
	s_clause 0x1
	s_load_b32 s23, s[0:1], 0x144
	s_load_b64 s[10:11], s[0:1], 0xd8
	v_fmac_f32_e32 v15, v38, v10
	v_xor3_b32 v0, v2, v35, v0
	s_waitcnt lgkmcnt(0)
	s_cmp_gt_i32 s14, 1
	v_mad_u64_u32 v[3:4], null, 0xd2511f53, v6, 0
	s_cselect_b32 s25, -1, 0
	v_mad_u64_u32 v[6:7], null, 0xcd9e8d57, v0, 0
	s_cmp_gt_i32 s17, 1
	s_mov_b32 s7, 0
	s_cselect_b32 s26, -1, 0
	s_delay_alu instid0(VALU_DEP_2) | instskip(SKIP_2) | instid1(VALU_DEP_2)
	v_xor3_b32 v2, v36, v4, v1
	s_add_i32 s6, s14, -1
	s_add_i32 s27, s14, 1
	v_xor3_b32 v7, v7, v33, v5
	s_lshl_b64 s[2:3], s[6:7], 2
	v_mad_u64_u32 v[0:1], null, 0xcd9e8d57, v2, 0
	s_add_u32 s0, s2, s0
	s_delay_alu instid0(VALU_DEP_2) | instskip(SKIP_3) | instid1(VALU_DEP_3)
	v_mad_u64_u32 v[4:5], null, 0xd2511f53, v7, 0
	v_fma_f32 v7, -v8, v15, v9
	s_addc_u32 s1, s3, s1
	s_add_u32 s14, s0, 8
	v_xor3_b32 v1, v34, v1, v6
	s_addc_u32 s15, s1, 0
	s_add_i32 s6, s17, -1
	s_delay_alu instid0(VALU_DEP_3) | instskip(SKIP_3) | instid1(VALU_DEP_2)
	v_xor3_b32 v3, v5, v37, v3
	s_lshl_b64 s[0:1], s[6:7], 2
	v_mad_u64_u32 v[5:6], null, 0xd2511f53, v1, 0
	s_add_i32 s6, s17, 1
	v_mad_u64_u32 v[1:2], null, 0xcd9e8d57, v3, 0
	v_div_fmas_f32 v3, v7, v10, v15
	s_add_u32 s0, s0, s16
	v_dual_mov_b32 v39, v13 :: v_dual_mov_b32 v40, 0
	s_addc_u32 s1, s1, s18
	s_delay_alu instid0(VALU_DEP_2) | instskip(NEXT) | instid1(VALU_DEP_4)
	v_div_fixup_f32 v38, v3, s5, 1.0
	v_xor3_b32 v0, v0, v2, v26
	v_xor3_b32 v2, v6, v4, v27
	v_mov_b32_e32 v3, v5
	s_add_u32 s16, s0, 8
	s_addc_u32 s17, s1, 0
                                        ; implicit-def: $vgpr41
                                        ; implicit-def: $vgpr42
                                        ; implicit-def: $vgpr43
                                        ; implicit-def: $vgpr44
	s_branch .LBB76_6
.LBB76_4:                               ;   in Loop: Header=BB76_6 Depth=1
	s_set_inst_prefetch_distance 0x2
	v_cvt_f32_u32_e32 v3, v3
	v_mad_u64_u32 v[1:2], null, s23, v8, v[0:1]
	v_mov_b32_e32 v2, v23
	s_waitcnt vmcnt(0)
	v_cvt_f32_f16_e32 v7, v41
	v_fmaak_f32 v0, 0x2f800000, v3, 0x2f800000
	s_delay_alu instid0(VALU_DEP_3) | instskip(NEXT) | instid1(VALU_DEP_2)
	v_lshlrev_b64 v[2:3], 1, v[1:2]
	v_cmp_gt_f32_e32 vcc_lo, s5, v0
	s_delay_alu instid0(VALU_DEP_2) | instskip(SKIP_1) | instid1(VALU_DEP_4)
	v_add_co_u32 v2, s0, s10, v2
	v_cndmask_b32_e64 v0, 0, 1.0, vcc_lo
	v_add_co_ci_u32_e64 v3, s0, s11, v3, s0
	s_delay_alu instid0(VALU_DEP_2) | instskip(SKIP_1) | instid1(VALU_DEP_2)
	v_mul_f32_e32 v0, v0, v7
	v_cndmask_b32_e64 v7, 0, 1, vcc_lo
	v_fma_mixlo_f16 v0, v38, v0, 0
	global_store_b16 v[2:3], v0, off
	global_store_b8 v1, v7, s[8:9]
.LBB76_5:                               ;   in Loop: Header=BB76_6 Depth=1
	s_or_b32 exec_lo, exec_lo, s2
	v_mov_b32_e32 v7, v14
	v_dual_mov_b32 v0, v4 :: v_dual_add_nc_u32 v13, s21, v13
	v_dual_mov_b32 v1, v5 :: v_dual_mov_b32 v2, v6
	s_delay_alu instid0(VALU_DEP_3) | instskip(NEXT) | instid1(VALU_DEP_3)
	v_mov_b32_e32 v3, v7
	v_cmp_le_u32_e32 vcc_lo, s22, v13
	s_waitcnt vmcnt(0)
	s_waitcnt_vscnt null, 0x0
	s_barrier
	buffer_gl0_inv
	s_or_b32 s7, vcc_lo, s7
	s_delay_alu instid0(SALU_CYCLE_1)
	s_and_not1_b32 exec_lo, exec_lo, s7
	s_cbranch_execz .LBB76_55
.LBB76_6:                               ; =>This Loop Header: Depth=1
                                        ;     Child Loop BB76_19 Depth 2
                                        ;     Child Loop BB76_24 Depth 2
	;; [unrolled: 1-line block ×8, first 2 shown]
	v_add_co_u32 v16, vcc_lo, v16, 1
	s_delay_alu instid0(VALU_DEP_1) | instskip(SKIP_2) | instid1(VALU_DEP_1)
	v_cndmask_b32_e64 v4, 0, 1, vcc_lo
	v_add_co_ci_u32_e32 v17, vcc_lo, 0, v17, vcc_lo
	s_mov_b32 s0, exec_lo
	v_cmp_eq_u32_e32 vcc_lo, 0, v17
	s_delay_alu instid0(VALU_DEP_3) | instskip(NEXT) | instid1(VALU_DEP_1)
	v_cndmask_b32_e32 v4, 0, v4, vcc_lo
	v_add_nc_u32_e32 v39, v4, v39
	s_delay_alu instid0(VALU_DEP_1) | instskip(SKIP_2) | instid1(VALU_DEP_2)
	v_cmp_eq_u32_e32 vcc_lo, 0, v39
	v_cndmask_b32_e32 v4, 0, v4, vcc_lo
	v_mad_u64_u32 v[6:7], null, 0xcd9e8d57, v39, 0
	v_add_nc_u32_e32 v40, v4, v40
	v_mad_u64_u32 v[4:5], null, 0xd2511f53, v16, 0
	s_delay_alu instid0(VALU_DEP_3) | instskip(NEXT) | instid1(VALU_DEP_2)
	v_xor3_b32 v9, v7, v11, v17
	v_xor_b32_e32 v5, v5, v12
	s_delay_alu instid0(VALU_DEP_2) | instskip(NEXT) | instid1(VALU_DEP_2)
	v_mad_u64_u32 v[7:8], null, 0xd2511f53, v9, 0
	v_xor_b32_e32 v5, v40, v5
	s_delay_alu instid0(VALU_DEP_2) | instskip(NEXT) | instid1(VALU_DEP_2)
	v_xor3_b32 v8, v18, v8, v4
	v_mad_u64_u32 v[9:10], null, 0xcd9e8d57, v5, 0
	s_delay_alu instid0(VALU_DEP_2) | instskip(NEXT) | instid1(VALU_DEP_2)
	v_mad_u64_u32 v[4:5], null, 0xcd9e8d57, v8, 0
	v_xor3_b32 v6, v19, v10, v6
	s_delay_alu instid0(VALU_DEP_2) | instskip(NEXT) | instid1(VALU_DEP_2)
	v_xor3_b32 v8, v20, v5, v9
	v_mad_u64_u32 v[14:15], null, 0xd2511f53, v6, 0
	s_delay_alu instid0(VALU_DEP_2) | instskip(NEXT) | instid1(VALU_DEP_2)
	v_mad_u64_u32 v[5:6], null, 0xd2511f53, v8, 0
	v_xor3_b32 v9, v21, v15, v7
	s_delay_alu instid0(VALU_DEP_2) | instskip(NEXT) | instid1(VALU_DEP_2)
	v_xor3_b32 v6, v22, v6, v14
	v_mad_u64_u32 v[7:8], null, 0xcd9e8d57, v9, 0
	s_delay_alu instid0(VALU_DEP_1) | instskip(NEXT) | instid1(VALU_DEP_3)
	v_xor3_b32 v4, v25, v8, v4
	v_mad_u64_u32 v[8:9], null, 0xcd9e8d57, v6, 0
	s_delay_alu instid0(VALU_DEP_2) | instskip(NEXT) | instid1(VALU_DEP_2)
	v_mad_u64_u32 v[14:15], null, 0xd2511f53, v4, 0
	v_xor3_b32 v6, v28, v9, v7
	s_delay_alu instid0(VALU_DEP_2) | instskip(NEXT) | instid1(VALU_DEP_2)
	v_xor3_b32 v9, v29, v15, v5
	v_mad_u64_u32 v[4:5], null, 0xd2511f53, v6, 0
	s_delay_alu instid0(VALU_DEP_2) | instskip(NEXT) | instid1(VALU_DEP_2)
	v_mad_u64_u32 v[6:7], null, 0xcd9e8d57, v9, 0
	v_xor3_b32 v5, v31, v5, v14
	s_delay_alu instid0(VALU_DEP_2) | instskip(NEXT) | instid1(VALU_DEP_2)
	;; [unrolled: 6-line block ×6, first 2 shown]
	v_xor3_b32 v4, v6, v7, v26
	v_mov_b32_e32 v6, v10
	v_cmpx_lt_i32_e32 1, v24
	s_xor_b32 s0, exec_lo, s0
	s_cbranch_execnz .LBB76_9
; %bb.7:                                ;   in Loop: Header=BB76_6 Depth=1
	s_and_not1_saveexec_b32 s0, s0
	s_cbranch_execnz .LBB76_14
.LBB76_8:                               ;   in Loop: Header=BB76_6 Depth=1
	s_or_b32 exec_lo, exec_lo, s0
	v_cmp_gt_u32_e64 s3, s4, v13
	s_delay_alu instid0(VALU_DEP_1)
	s_and_saveexec_b32 s2, s3
	s_cbranch_execnz .LBB76_17
	s_branch .LBB76_21
.LBB76_9:                               ;   in Loop: Header=BB76_6 Depth=1
	s_mov_b32 s1, exec_lo
	v_cmpx_lt_i32_e32 2, v24
	s_xor_b32 s1, exec_lo, s1
; %bb.10:                               ;   in Loop: Header=BB76_6 Depth=1
	v_dual_mov_b32 v7, v3 :: v_dual_mov_b32 v8, v4
	v_mov_b32_e32 v9, v5
	s_delay_alu instid0(VALU_DEP_2) | instskip(NEXT) | instid1(VALU_DEP_2)
	v_dual_mov_b32 v0, v7 :: v_dual_mov_b32 v1, v8
	v_dual_mov_b32 v2, v9 :: v_dual_mov_b32 v3, v10
; %bb.11:                               ;   in Loop: Header=BB76_6 Depth=1
	s_and_not1_saveexec_b32 s1, s1
; %bb.12:                               ;   in Loop: Header=BB76_6 Depth=1
	s_delay_alu instid0(VALU_DEP_1)
	v_dual_mov_b32 v0, v2 :: v_dual_mov_b32 v1, v3
	v_dual_mov_b32 v2, v4 :: v_dual_mov_b32 v3, v5
; %bb.13:                               ;   in Loop: Header=BB76_6 Depth=1
	s_or_b32 exec_lo, exec_lo, s1
	s_and_not1_saveexec_b32 s0, s0
	s_cbranch_execz .LBB76_8
.LBB76_14:                              ;   in Loop: Header=BB76_6 Depth=1
	s_mov_b32 s1, exec_lo
	v_cmpx_eq_u32_e32 1, v24
; %bb.15:                               ;   in Loop: Header=BB76_6 Depth=1
	v_dual_mov_b32 v0, v1 :: v_dual_mov_b32 v1, v2
	v_dual_mov_b32 v2, v3 :: v_dual_mov_b32 v3, v4
; %bb.16:                               ;   in Loop: Header=BB76_6 Depth=1
	s_or_b32 exec_lo, exec_lo, s1
	s_delay_alu instid0(SALU_CYCLE_1) | instskip(SKIP_1) | instid1(VALU_DEP_1)
	s_or_b32 exec_lo, exec_lo, s0
	v_cmp_gt_u32_e64 s3, s4, v13
	s_and_saveexec_b32 s2, s3
	s_cbranch_execz .LBB76_21
.LBB76_17:                              ;   in Loop: Header=BB76_6 Depth=1
	v_dual_mov_b32 v7, 0 :: v_dual_mov_b32 v8, v13
	s_and_not1_b32 vcc_lo, exec_lo, s25
	s_cbranch_vccnz .LBB76_20
; %bb.18:                               ;   in Loop: Header=BB76_6 Depth=1
	v_dual_mov_b32 v7, 0 :: v_dual_mov_b32 v8, v13
	s_mov_b64 s[0:1], s[14:15]
	s_mov_b32 s18, s27
	s_set_inst_prefetch_distance 0x1
	.p2align	6
.LBB76_19:                              ;   Parent Loop BB76_6 Depth=1
                                        ; =>  This Inner Loop Header: Depth=2
	s_clause 0x1
	s_load_b32 s19, s[0:1], 0x0
	s_load_b32 s28, s[0:1], 0x64
	s_add_i32 s18, s18, -1
	s_waitcnt lgkmcnt(0)
	v_cvt_f32_u32_e32 v9, s19
	s_sub_i32 s29, 0, s19
	s_add_u32 s0, s0, -4
	s_addc_u32 s1, s1, -1
	s_cmp_gt_u32 s18, 2
	v_rcp_iflag_f32_e32 v9, v9
	s_waitcnt_depctr 0xfff
	v_mul_f32_e32 v9, 0x4f7ffffe, v9
	s_delay_alu instid0(VALU_DEP_1) | instskip(NEXT) | instid1(VALU_DEP_1)
	v_cvt_u32_f32_e32 v9, v9
	v_mul_lo_u32 v10, s29, v9
	s_delay_alu instid0(VALU_DEP_1) | instskip(NEXT) | instid1(VALU_DEP_1)
	v_mul_hi_u32 v10, v9, v10
	v_dual_mov_b32 v15, v8 :: v_dual_add_nc_u32 v8, v9, v10
	s_delay_alu instid0(VALU_DEP_1) | instskip(NEXT) | instid1(VALU_DEP_1)
	v_mul_hi_u32 v8, v15, v8
	v_mul_lo_u32 v9, v8, s19
	v_add_nc_u32_e32 v10, 1, v8
	s_delay_alu instid0(VALU_DEP_2) | instskip(NEXT) | instid1(VALU_DEP_1)
	v_sub_nc_u32_e32 v9, v15, v9
	v_subrev_nc_u32_e32 v44, s19, v9
	v_cmp_le_u32_e32 vcc_lo, s19, v9
	s_delay_alu instid0(VALU_DEP_2) | instskip(NEXT) | instid1(VALU_DEP_1)
	v_dual_cndmask_b32 v8, v8, v10 :: v_dual_cndmask_b32 v9, v9, v44
	v_add_nc_u32_e32 v10, 1, v8
	s_delay_alu instid0(VALU_DEP_2) | instskip(NEXT) | instid1(VALU_DEP_2)
	v_cmp_le_u32_e32 vcc_lo, s19, v9
	v_cndmask_b32_e32 v8, v8, v10, vcc_lo
	s_delay_alu instid0(VALU_DEP_1) | instskip(NEXT) | instid1(VALU_DEP_1)
	v_mul_lo_u32 v9, v8, s19
	v_sub_nc_u32_e32 v15, v15, v9
	s_delay_alu instid0(VALU_DEP_1) | instskip(NEXT) | instid1(VALU_DEP_1)
	v_mad_u64_u32 v[9:10], null, s28, v15, v[7:8]
	v_mov_b32_e32 v7, v9
	s_cbranch_scc1 .LBB76_19
.LBB76_20:                              ;   in Loop: Header=BB76_6 Depth=1
	s_set_inst_prefetch_distance 0x2
	s_delay_alu instid0(VALU_DEP_1) | instskip(SKIP_1) | instid1(VALU_DEP_1)
	v_mad_u64_u32 v[9:10], null, s24, v8, v[7:8]
	v_mov_b32_e32 v10, v23
	v_lshlrev_b64 v[7:8], 1, v[9:10]
	s_delay_alu instid0(VALU_DEP_1) | instskip(NEXT) | instid1(VALU_DEP_2)
	v_add_co_u32 v7, vcc_lo, s12, v7
	v_add_co_ci_u32_e32 v8, vcc_lo, s13, v8, vcc_lo
	global_load_u16 v44, v[7:8], off
.LBB76_21:                              ;   in Loop: Header=BB76_6 Depth=1
	s_or_b32 exec_lo, exec_lo, s2
	v_add_nc_u32_e32 v10, s20, v13
	s_delay_alu instid0(VALU_DEP_1) | instskip(NEXT) | instid1(VALU_DEP_1)
	v_cmp_gt_u32_e64 s2, s4, v10
	s_and_saveexec_b32 s18, s2
	s_cbranch_execz .LBB76_26
; %bb.22:                               ;   in Loop: Header=BB76_6 Depth=1
	v_dual_mov_b32 v7, 0 :: v_dual_mov_b32 v8, v10
	s_and_not1_b32 vcc_lo, exec_lo, s25
	s_cbranch_vccnz .LBB76_25
; %bb.23:                               ;   in Loop: Header=BB76_6 Depth=1
	v_dual_mov_b32 v7, 0 :: v_dual_mov_b32 v8, v10
	s_mov_b64 s[0:1], s[14:15]
	s_mov_b32 s19, s27
	s_set_inst_prefetch_distance 0x1
	.p2align	6
.LBB76_24:                              ;   Parent Loop BB76_6 Depth=1
                                        ; =>  This Inner Loop Header: Depth=2
	s_clause 0x1
	s_load_b32 s28, s[0:1], 0x0
	s_load_b32 s29, s[0:1], 0x64
	s_add_i32 s19, s19, -1
	s_waitcnt lgkmcnt(0)
	v_cvt_f32_u32_e32 v9, s28
	s_sub_i32 s30, 0, s28
	s_add_u32 s0, s0, -4
	s_addc_u32 s1, s1, -1
	s_cmp_gt_u32 s19, 2
	v_rcp_iflag_f32_e32 v9, v9
	s_waitcnt_depctr 0xfff
	v_mul_f32_e32 v9, 0x4f7ffffe, v9
	s_delay_alu instid0(VALU_DEP_1) | instskip(NEXT) | instid1(VALU_DEP_1)
	v_cvt_u32_f32_e32 v9, v9
	v_mul_lo_u32 v15, s30, v9
	s_delay_alu instid0(VALU_DEP_1) | instskip(NEXT) | instid1(VALU_DEP_1)
	v_mul_hi_u32 v15, v9, v15
	v_dual_mov_b32 v43, v8 :: v_dual_add_nc_u32 v8, v9, v15
	s_delay_alu instid0(VALU_DEP_1) | instskip(NEXT) | instid1(VALU_DEP_1)
	v_mul_hi_u32 v8, v43, v8
	v_mul_lo_u32 v9, v8, s28
	v_add_nc_u32_e32 v15, 1, v8
	s_delay_alu instid0(VALU_DEP_2) | instskip(NEXT) | instid1(VALU_DEP_1)
	v_sub_nc_u32_e32 v9, v43, v9
	v_cmp_le_u32_e32 vcc_lo, s28, v9
	v_subrev_nc_u32_e32 v45, s28, v9
	s_delay_alu instid0(VALU_DEP_4) | instskip(NEXT) | instid1(VALU_DEP_1)
	v_cndmask_b32_e32 v8, v8, v15, vcc_lo
	v_add_nc_u32_e32 v15, 1, v8
	s_delay_alu instid0(VALU_DEP_3) | instskip(NEXT) | instid1(VALU_DEP_1)
	v_cndmask_b32_e32 v9, v9, v45, vcc_lo
	v_cmp_le_u32_e32 vcc_lo, s28, v9
	s_delay_alu instid0(VALU_DEP_3) | instskip(NEXT) | instid1(VALU_DEP_1)
	v_cndmask_b32_e32 v8, v8, v15, vcc_lo
	v_mul_lo_u32 v9, v8, s28
	s_delay_alu instid0(VALU_DEP_1) | instskip(NEXT) | instid1(VALU_DEP_1)
	v_sub_nc_u32_e32 v9, v43, v9
	v_mad_u64_u32 v[45:46], null, s29, v9, v[7:8]
	s_delay_alu instid0(VALU_DEP_1)
	v_mov_b32_e32 v7, v45
	s_cbranch_scc1 .LBB76_24
.LBB76_25:                              ;   in Loop: Header=BB76_6 Depth=1
	s_set_inst_prefetch_distance 0x2
	s_delay_alu instid0(VALU_DEP_1) | instskip(SKIP_1) | instid1(VALU_DEP_1)
	v_mad_u64_u32 v[45:46], null, s24, v8, v[7:8]
	v_mov_b32_e32 v46, v23
	v_lshlrev_b64 v[7:8], 1, v[45:46]
	s_delay_alu instid0(VALU_DEP_1) | instskip(NEXT) | instid1(VALU_DEP_2)
	v_add_co_u32 v7, vcc_lo, s12, v7
	v_add_co_ci_u32_e32 v8, vcc_lo, s13, v8, vcc_lo
	global_load_u16 v43, v[7:8], off
.LBB76_26:                              ;   in Loop: Header=BB76_6 Depth=1
	s_or_b32 exec_lo, exec_lo, s18
	v_add_nc_u32_e32 v9, s20, v10
	s_delay_alu instid0(VALU_DEP_1) | instskip(NEXT) | instid1(VALU_DEP_1)
	v_cmp_gt_u32_e64 s1, s4, v9
	s_and_saveexec_b32 s0, s1
	s_cbranch_execz .LBB76_31
; %bb.27:                               ;   in Loop: Header=BB76_6 Depth=1
	v_dual_mov_b32 v7, 0 :: v_dual_mov_b32 v8, v9
	s_and_not1_b32 vcc_lo, exec_lo, s25
	s_cbranch_vccnz .LBB76_30
; %bb.28:                               ;   in Loop: Header=BB76_6 Depth=1
	v_dual_mov_b32 v7, 0 :: v_dual_mov_b32 v8, v9
	s_mov_b64 s[18:19], s[14:15]
	s_mov_b32 s28, s27
	s_set_inst_prefetch_distance 0x1
	.p2align	6
.LBB76_29:                              ;   Parent Loop BB76_6 Depth=1
                                        ; =>  This Inner Loop Header: Depth=2
	s_clause 0x1
	s_load_b32 s29, s[18:19], 0x0
	s_load_b32 s30, s[18:19], 0x64
	s_add_i32 s28, s28, -1
	s_waitcnt lgkmcnt(0)
	v_cvt_f32_u32_e32 v15, s29
	s_sub_i32 s31, 0, s29
	s_add_u32 s18, s18, -4
	s_addc_u32 s19, s19, -1
	s_cmp_gt_u32 s28, 2
	v_rcp_iflag_f32_e32 v15, v15
	s_waitcnt_depctr 0xfff
	v_mul_f32_e32 v15, 0x4f7ffffe, v15
	s_delay_alu instid0(VALU_DEP_1) | instskip(NEXT) | instid1(VALU_DEP_1)
	v_cvt_u32_f32_e32 v15, v15
	v_mul_lo_u32 v42, s31, v15
	s_delay_alu instid0(VALU_DEP_1) | instskip(NEXT) | instid1(VALU_DEP_1)
	v_mul_hi_u32 v42, v15, v42
	v_dual_mov_b32 v45, v8 :: v_dual_add_nc_u32 v8, v15, v42
	s_delay_alu instid0(VALU_DEP_1) | instskip(NEXT) | instid1(VALU_DEP_1)
	v_mul_hi_u32 v8, v45, v8
	v_mul_lo_u32 v15, v8, s29
	v_add_nc_u32_e32 v42, 1, v8
	s_delay_alu instid0(VALU_DEP_2) | instskip(NEXT) | instid1(VALU_DEP_1)
	v_sub_nc_u32_e32 v15, v45, v15
	v_subrev_nc_u32_e32 v46, s29, v15
	v_cmp_le_u32_e32 vcc_lo, s29, v15
	s_delay_alu instid0(VALU_DEP_4) | instskip(NEXT) | instid1(VALU_DEP_1)
	v_cndmask_b32_e32 v8, v8, v42, vcc_lo
	v_dual_cndmask_b32 v15, v15, v46 :: v_dual_add_nc_u32 v42, 1, v8
	s_delay_alu instid0(VALU_DEP_1) | instskip(NEXT) | instid1(VALU_DEP_2)
	v_cmp_le_u32_e32 vcc_lo, s29, v15
	v_cndmask_b32_e32 v8, v8, v42, vcc_lo
	s_delay_alu instid0(VALU_DEP_1) | instskip(NEXT) | instid1(VALU_DEP_1)
	v_mul_lo_u32 v15, v8, s29
	v_sub_nc_u32_e32 v15, v45, v15
	s_delay_alu instid0(VALU_DEP_1) | instskip(NEXT) | instid1(VALU_DEP_1)
	v_mad_u64_u32 v[45:46], null, s30, v15, v[7:8]
	v_mov_b32_e32 v7, v45
	s_cbranch_scc1 .LBB76_29
.LBB76_30:                              ;   in Loop: Header=BB76_6 Depth=1
	s_set_inst_prefetch_distance 0x2
	s_delay_alu instid0(VALU_DEP_1) | instskip(SKIP_1) | instid1(VALU_DEP_1)
	v_mad_u64_u32 v[45:46], null, s24, v8, v[7:8]
	v_mov_b32_e32 v46, v23
	v_lshlrev_b64 v[7:8], 1, v[45:46]
	s_delay_alu instid0(VALU_DEP_1) | instskip(NEXT) | instid1(VALU_DEP_2)
	v_add_co_u32 v7, vcc_lo, s12, v7
	v_add_co_ci_u32_e32 v8, vcc_lo, s13, v8, vcc_lo
	global_load_u16 v42, v[7:8], off
.LBB76_31:                              ;   in Loop: Header=BB76_6 Depth=1
	s_or_b32 exec_lo, exec_lo, s0
	v_add_nc_u32_e32 v8, s20, v9
	s_delay_alu instid0(VALU_DEP_1) | instskip(NEXT) | instid1(VALU_DEP_1)
	v_cmp_gt_u32_e64 s0, s4, v8
	s_and_saveexec_b32 s28, s0
	s_cbranch_execnz .LBB76_36
; %bb.32:                               ;   in Loop: Header=BB76_6 Depth=1
	s_or_b32 exec_lo, exec_lo, s28
	s_and_saveexec_b32 s28, s3
	s_cbranch_execnz .LBB76_40
.LBB76_33:                              ;   in Loop: Header=BB76_6 Depth=1
	s_or_b32 exec_lo, exec_lo, s28
	s_and_saveexec_b32 s18, s2
	s_cbranch_execnz .LBB76_44
.LBB76_34:                              ;   in Loop: Header=BB76_6 Depth=1
	s_or_b32 exec_lo, exec_lo, s18
	s_and_saveexec_b32 s18, s1
	s_cbranch_execnz .LBB76_48
.LBB76_35:                              ;   in Loop: Header=BB76_6 Depth=1
	s_or_b32 exec_lo, exec_lo, s18
	s_and_saveexec_b32 s2, s0
	s_cbranch_execz .LBB76_5
	s_branch .LBB76_52
.LBB76_36:                              ;   in Loop: Header=BB76_6 Depth=1
	v_mov_b32_e32 v7, 0
	v_mov_b32_e32 v15, v8
	s_and_not1_b32 vcc_lo, exec_lo, s25
	s_cbranch_vccnz .LBB76_39
; %bb.37:                               ;   in Loop: Header=BB76_6 Depth=1
	v_mov_b32_e32 v7, 0
	v_mov_b32_e32 v15, v8
	s_mov_b64 s[18:19], s[14:15]
	s_mov_b32 s29, s27
	s_set_inst_prefetch_distance 0x1
	.p2align	6
.LBB76_38:                              ;   Parent Loop BB76_6 Depth=1
                                        ; =>  This Inner Loop Header: Depth=2
	s_clause 0x1
	s_load_b32 s30, s[18:19], 0x0
	s_load_b32 s31, s[18:19], 0x64
	s_add_i32 s29, s29, -1
	v_mov_b32_e32 v46, v15
	s_waitcnt lgkmcnt(0)
	v_cvt_f32_u32_e32 v41, s30
	s_sub_i32 s33, 0, s30
	s_add_u32 s18, s18, -4
	s_addc_u32 s19, s19, -1
	s_cmp_gt_u32 s29, 2
	v_rcp_iflag_f32_e32 v41, v41
	s_waitcnt_depctr 0xfff
	v_mul_f32_e32 v41, 0x4f7ffffe, v41
	s_delay_alu instid0(VALU_DEP_1) | instskip(NEXT) | instid1(VALU_DEP_1)
	v_cvt_u32_f32_e32 v41, v41
	v_mul_lo_u32 v45, s33, v41
	s_delay_alu instid0(VALU_DEP_1) | instskip(NEXT) | instid1(VALU_DEP_1)
	v_mul_hi_u32 v45, v41, v45
	v_add_nc_u32_e32 v15, v41, v45
	s_delay_alu instid0(VALU_DEP_1) | instskip(NEXT) | instid1(VALU_DEP_1)
	v_mul_hi_u32 v15, v46, v15
	v_mul_lo_u32 v41, v15, s30
	v_add_nc_u32_e32 v45, 1, v15
	s_delay_alu instid0(VALU_DEP_2) | instskip(NEXT) | instid1(VALU_DEP_1)
	v_sub_nc_u32_e32 v41, v46, v41
	v_subrev_nc_u32_e32 v47, s30, v41
	v_cmp_le_u32_e32 vcc_lo, s30, v41
	s_delay_alu instid0(VALU_DEP_4) | instskip(NEXT) | instid1(VALU_DEP_3)
	v_cndmask_b32_e32 v15, v15, v45, vcc_lo
	v_cndmask_b32_e32 v41, v41, v47, vcc_lo
	s_delay_alu instid0(VALU_DEP_2) | instskip(NEXT) | instid1(VALU_DEP_2)
	v_add_nc_u32_e32 v45, 1, v15
	v_cmp_le_u32_e32 vcc_lo, s30, v41
	s_delay_alu instid0(VALU_DEP_2) | instskip(NEXT) | instid1(VALU_DEP_1)
	v_cndmask_b32_e32 v15, v15, v45, vcc_lo
	v_mul_lo_u32 v41, v15, s30
	s_delay_alu instid0(VALU_DEP_1) | instskip(NEXT) | instid1(VALU_DEP_1)
	v_sub_nc_u32_e32 v41, v46, v41
	v_mad_u64_u32 v[45:46], null, s31, v41, v[7:8]
	s_delay_alu instid0(VALU_DEP_1)
	v_mov_b32_e32 v7, v45
	s_cbranch_scc1 .LBB76_38
.LBB76_39:                              ;   in Loop: Header=BB76_6 Depth=1
	s_set_inst_prefetch_distance 0x2
	s_delay_alu instid0(VALU_DEP_1) | instskip(SKIP_1) | instid1(VALU_DEP_1)
	v_mad_u64_u32 v[45:46], null, s24, v15, v[7:8]
	v_mov_b32_e32 v46, v23
	v_lshlrev_b64 v[45:46], 1, v[45:46]
	s_delay_alu instid0(VALU_DEP_1) | instskip(NEXT) | instid1(VALU_DEP_2)
	v_add_co_u32 v45, vcc_lo, s12, v45
	v_add_co_ci_u32_e32 v46, vcc_lo, s13, v46, vcc_lo
	global_load_u16 v41, v[45:46], off
	s_or_b32 exec_lo, exec_lo, s28
	s_and_saveexec_b32 s28, s3
	s_cbranch_execz .LBB76_33
.LBB76_40:                              ;   in Loop: Header=BB76_6 Depth=1
	v_mov_b32_e32 v7, 0
	v_mov_b32_e32 v15, v13
	s_and_not1_b32 vcc_lo, exec_lo, s26
	s_cbranch_vccnz .LBB76_43
; %bb.41:                               ;   in Loop: Header=BB76_6 Depth=1
	v_mov_b32_e32 v7, 0
	v_mov_b32_e32 v15, v13
	s_mov_b64 s[18:19], s[16:17]
	s_mov_b32 s3, s6
	s_set_inst_prefetch_distance 0x1
	.p2align	6
.LBB76_42:                              ;   Parent Loop BB76_6 Depth=1
                                        ; =>  This Inner Loop Header: Depth=2
	s_clause 0x1
	s_load_b32 s29, s[18:19], 0x0
	s_load_b32 s30, s[18:19], 0x64
	v_mov_b32_e32 v47, v15
	s_add_i32 s3, s3, -1
	s_waitcnt lgkmcnt(0)
	v_cvt_f32_u32_e32 v45, s29
	s_sub_i32 s31, 0, s29
	s_add_u32 s18, s18, -4
	s_addc_u32 s19, s19, -1
	s_cmp_gt_u32 s3, 2
	v_rcp_iflag_f32_e32 v45, v45
	s_waitcnt_depctr 0xfff
	v_mul_f32_e32 v45, 0x4f7ffffe, v45
	s_delay_alu instid0(VALU_DEP_1) | instskip(NEXT) | instid1(VALU_DEP_1)
	v_cvt_u32_f32_e32 v45, v45
	v_mul_lo_u32 v46, s31, v45
	s_delay_alu instid0(VALU_DEP_1) | instskip(NEXT) | instid1(VALU_DEP_1)
	v_mul_hi_u32 v46, v45, v46
	v_add_nc_u32_e32 v15, v45, v46
	s_delay_alu instid0(VALU_DEP_1) | instskip(NEXT) | instid1(VALU_DEP_1)
	v_mul_hi_u32 v15, v47, v15
	v_add_nc_u32_e32 v46, 1, v15
	v_mul_lo_u32 v45, v15, s29
	s_delay_alu instid0(VALU_DEP_1) | instskip(NEXT) | instid1(VALU_DEP_1)
	v_sub_nc_u32_e32 v45, v47, v45
	v_subrev_nc_u32_e32 v48, s29, v45
	v_cmp_le_u32_e32 vcc_lo, s29, v45
	v_cndmask_b32_e32 v15, v15, v46, vcc_lo
	s_delay_alu instid0(VALU_DEP_1) | instskip(NEXT) | instid1(VALU_DEP_1)
	v_dual_cndmask_b32 v45, v45, v48 :: v_dual_add_nc_u32 v46, 1, v15
	v_cmp_le_u32_e32 vcc_lo, s29, v45
	s_delay_alu instid0(VALU_DEP_2) | instskip(NEXT) | instid1(VALU_DEP_1)
	v_cndmask_b32_e32 v15, v15, v46, vcc_lo
	v_mul_lo_u32 v45, v15, s29
	s_delay_alu instid0(VALU_DEP_1) | instskip(NEXT) | instid1(VALU_DEP_1)
	v_sub_nc_u32_e32 v47, v47, v45
	v_mad_u64_u32 v[45:46], null, s30, v47, v[7:8]
	s_delay_alu instid0(VALU_DEP_1)
	v_mov_b32_e32 v7, v45
	s_cbranch_scc1 .LBB76_42
.LBB76_43:                              ;   in Loop: Header=BB76_6 Depth=1
	s_set_inst_prefetch_distance 0x2
	v_cvt_f32_u32_e32 v0, v0
	s_delay_alu instid0(VALU_DEP_2) | instskip(SKIP_4) | instid1(VALU_DEP_3)
	v_mad_u64_u32 v[45:46], null, s23, v15, v[7:8]
	v_mov_b32_e32 v46, v23
	s_waitcnt vmcnt(0)
	v_cvt_f32_f16_e32 v7, v44
	v_fmaak_f32 v0, 0x2f800000, v0, 0x2f800000
	v_lshlrev_b64 v[46:47], 1, v[45:46]
	s_delay_alu instid0(VALU_DEP_2) | instskip(NEXT) | instid1(VALU_DEP_2)
	v_cmp_gt_f32_e32 vcc_lo, s5, v0
	v_add_co_u32 v46, s3, s10, v46
	v_cndmask_b32_e64 v0, 0, 1.0, vcc_lo
	s_delay_alu instid0(VALU_DEP_4) | instskip(NEXT) | instid1(VALU_DEP_2)
	v_add_co_ci_u32_e64 v47, s3, s11, v47, s3
	v_mul_f32_e32 v0, v0, v7
	v_cndmask_b32_e64 v7, 0, 1, vcc_lo
	s_delay_alu instid0(VALU_DEP_2)
	v_fma_mixlo_f16 v0, v38, v0, 0
	global_store_b16 v[46:47], v0, off
	global_store_b8 v45, v7, s[8:9]
	s_or_b32 exec_lo, exec_lo, s28
	s_and_saveexec_b32 s18, s2
	s_cbranch_execz .LBB76_34
.LBB76_44:                              ;   in Loop: Header=BB76_6 Depth=1
	v_mov_b32_e32 v0, 0
	s_and_not1_b32 vcc_lo, exec_lo, s26
	s_cbranch_vccnz .LBB76_47
; %bb.45:                               ;   in Loop: Header=BB76_6 Depth=1
	v_mov_b32_e32 v0, 0
	s_mov_b64 s[2:3], s[16:17]
	s_mov_b32 s19, s6
	s_set_inst_prefetch_distance 0x1
	.p2align	6
.LBB76_46:                              ;   Parent Loop BB76_6 Depth=1
                                        ; =>  This Inner Loop Header: Depth=2
	s_clause 0x1
	s_load_b32 s28, s[2:3], 0x0
	s_load_b32 s29, s[2:3], 0x64
	v_mov_b32_e32 v45, v10
	s_add_i32 s19, s19, -1
	s_waitcnt lgkmcnt(0)
	v_cvt_f32_u32_e32 v7, s28
	s_sub_i32 s30, 0, s28
	s_add_u32 s2, s2, -4
	s_addc_u32 s3, s3, -1
	s_cmp_gt_u32 s19, 2
	v_rcp_iflag_f32_e32 v7, v7
	s_waitcnt_depctr 0xfff
	v_mul_f32_e32 v7, 0x4f7ffffe, v7
	s_delay_alu instid0(VALU_DEP_1) | instskip(NEXT) | instid1(VALU_DEP_1)
	v_cvt_u32_f32_e32 v7, v7
	v_mul_lo_u32 v15, s30, v7
	s_delay_alu instid0(VALU_DEP_1) | instskip(NEXT) | instid1(VALU_DEP_1)
	v_mul_hi_u32 v15, v7, v15
	v_add_nc_u32_e32 v7, v7, v15
	s_delay_alu instid0(VALU_DEP_1) | instskip(NEXT) | instid1(VALU_DEP_1)
	v_mul_hi_u32 v7, v45, v7
	v_mul_lo_u32 v10, v7, s28
	v_add_nc_u32_e32 v15, 1, v7
	s_delay_alu instid0(VALU_DEP_2) | instskip(NEXT) | instid1(VALU_DEP_1)
	v_sub_nc_u32_e32 v10, v45, v10
	v_subrev_nc_u32_e32 v46, s28, v10
	v_cmp_le_u32_e32 vcc_lo, s28, v10
	s_delay_alu instid0(VALU_DEP_2) | instskip(NEXT) | instid1(VALU_DEP_1)
	v_dual_cndmask_b32 v7, v7, v15 :: v_dual_cndmask_b32 v10, v10, v46
	v_add_nc_u32_e32 v15, 1, v7
	s_delay_alu instid0(VALU_DEP_2) | instskip(NEXT) | instid1(VALU_DEP_2)
	v_cmp_le_u32_e32 vcc_lo, s28, v10
	v_cndmask_b32_e32 v10, v7, v15, vcc_lo
	s_delay_alu instid0(VALU_DEP_1) | instskip(NEXT) | instid1(VALU_DEP_1)
	v_mul_lo_u32 v7, v10, s28
	v_sub_nc_u32_e32 v7, v45, v7
	s_delay_alu instid0(VALU_DEP_1) | instskip(NEXT) | instid1(VALU_DEP_1)
	v_mad_u64_u32 v[45:46], null, s29, v7, v[0:1]
	v_mov_b32_e32 v0, v45
	s_cbranch_scc1 .LBB76_46
.LBB76_47:                              ;   in Loop: Header=BB76_6 Depth=1
	s_set_inst_prefetch_distance 0x2
	v_cvt_f32_u32_e32 v1, v1
	s_waitcnt vmcnt(0)
	v_cvt_f32_f16_e32 v7, v43
	s_delay_alu instid0(VALU_DEP_2) | instskip(SKIP_2) | instid1(VALU_DEP_2)
	v_mad_u64_u32 v[45:46], null, s23, v10, v[0:1]
	v_fmaak_f32 v0, 0x2f800000, v1, 0x2f800000
	v_mov_b32_e32 v46, v23
	v_cmp_gt_f32_e32 vcc_lo, s5, v0
	s_delay_alu instid0(VALU_DEP_2) | instskip(SKIP_1) | instid1(VALU_DEP_2)
	v_lshlrev_b64 v[0:1], 1, v[45:46]
	v_cndmask_b32_e64 v10, 0, 1.0, vcc_lo
	v_add_co_u32 v0, s2, s10, v0
	s_delay_alu instid0(VALU_DEP_1) | instskip(NEXT) | instid1(VALU_DEP_3)
	v_add_co_ci_u32_e64 v1, s2, s11, v1, s2
	v_mul_f32_e32 v7, v10, v7
	v_cndmask_b32_e64 v10, 0, 1, vcc_lo
	s_delay_alu instid0(VALU_DEP_2)
	v_fma_mixlo_f16 v7, v38, v7, 0
	global_store_b16 v[0:1], v7, off
	global_store_b8 v45, v10, s[8:9]
	s_or_b32 exec_lo, exec_lo, s18
	s_and_saveexec_b32 s18, s1
	s_cbranch_execz .LBB76_35
.LBB76_48:                              ;   in Loop: Header=BB76_6 Depth=1
	v_mov_b32_e32 v0, 0
	s_and_not1_b32 vcc_lo, exec_lo, s26
	s_cbranch_vccnz .LBB76_51
; %bb.49:                               ;   in Loop: Header=BB76_6 Depth=1
	v_mov_b32_e32 v0, 0
	s_mov_b64 s[2:3], s[16:17]
	s_mov_b32 s1, s6
	s_set_inst_prefetch_distance 0x1
	.p2align	6
.LBB76_50:                              ;   Parent Loop BB76_6 Depth=1
                                        ; =>  This Inner Loop Header: Depth=2
	s_clause 0x1
	s_load_b32 s19, s[2:3], 0x0
	s_load_b32 s28, s[2:3], 0x64
	s_add_i32 s1, s1, -1
	v_mov_b32_e32 v10, v9
	s_waitcnt lgkmcnt(0)
	v_cvt_f32_u32_e32 v1, s19
	s_sub_i32 s29, 0, s19
	s_add_u32 s2, s2, -4
	s_addc_u32 s3, s3, -1
	s_cmp_gt_u32 s1, 2
	v_rcp_iflag_f32_e32 v1, v1
	s_waitcnt_depctr 0xfff
	v_mul_f32_e32 v1, 0x4f7ffffe, v1
	s_delay_alu instid0(VALU_DEP_1) | instskip(NEXT) | instid1(VALU_DEP_1)
	v_cvt_u32_f32_e32 v1, v1
	v_mul_lo_u32 v7, s29, v1
	s_delay_alu instid0(VALU_DEP_1) | instskip(NEXT) | instid1(VALU_DEP_1)
	v_mul_hi_u32 v7, v1, v7
	v_add_nc_u32_e32 v1, v1, v7
	s_delay_alu instid0(VALU_DEP_1) | instskip(NEXT) | instid1(VALU_DEP_1)
	v_mul_hi_u32 v1, v10, v1
	v_mul_lo_u32 v7, v1, s19
	v_add_nc_u32_e32 v9, 1, v1
	s_delay_alu instid0(VALU_DEP_2) | instskip(NEXT) | instid1(VALU_DEP_1)
	v_sub_nc_u32_e32 v7, v10, v7
	v_subrev_nc_u32_e32 v15, s19, v7
	v_cmp_le_u32_e32 vcc_lo, s19, v7
	s_delay_alu instid0(VALU_DEP_4) | instskip(NEXT) | instid1(VALU_DEP_3)
	v_cndmask_b32_e32 v1, v1, v9, vcc_lo
	v_cndmask_b32_e32 v7, v7, v15, vcc_lo
	s_delay_alu instid0(VALU_DEP_2) | instskip(NEXT) | instid1(VALU_DEP_2)
	v_add_nc_u32_e32 v9, 1, v1
	v_cmp_le_u32_e32 vcc_lo, s19, v7
	s_delay_alu instid0(VALU_DEP_2) | instskip(NEXT) | instid1(VALU_DEP_1)
	v_cndmask_b32_e32 v9, v1, v9, vcc_lo
	v_mul_lo_u32 v1, v9, s19
	s_delay_alu instid0(VALU_DEP_1) | instskip(NEXT) | instid1(VALU_DEP_1)
	v_sub_nc_u32_e32 v1, v10, v1
	v_mad_u64_u32 v[45:46], null, s28, v1, v[0:1]
	s_delay_alu instid0(VALU_DEP_1)
	v_mov_b32_e32 v0, v45
	s_cbranch_scc1 .LBB76_50
.LBB76_51:                              ;   in Loop: Header=BB76_6 Depth=1
	s_set_inst_prefetch_distance 0x2
	v_cvt_f32_u32_e32 v7, v2
	s_delay_alu instid0(VALU_DEP_2) | instskip(SKIP_1) | instid1(VALU_DEP_3)
	v_mad_u64_u32 v[1:2], null, s23, v9, v[0:1]
	v_mov_b32_e32 v2, v23
	v_fmaak_f32 v0, 0x2f800000, v7, 0x2f800000
	s_waitcnt vmcnt(0)
	v_cvt_f32_f16_e32 v7, v42
	s_delay_alu instid0(VALU_DEP_3) | instskip(NEXT) | instid1(VALU_DEP_3)
	v_lshlrev_b64 v[9:10], 1, v[1:2]
	v_cmp_gt_f32_e32 vcc_lo, s5, v0
	s_delay_alu instid0(VALU_DEP_2) | instskip(SKIP_1) | instid1(VALU_DEP_4)
	v_add_co_u32 v9, s1, s10, v9
	v_cndmask_b32_e64 v0, 0, 1.0, vcc_lo
	v_add_co_ci_u32_e64 v10, s1, s11, v10, s1
	v_cndmask_b32_e64 v2, 0, 1, vcc_lo
	s_delay_alu instid0(VALU_DEP_3) | instskip(NEXT) | instid1(VALU_DEP_1)
	v_mul_f32_e32 v0, v0, v7
	v_fma_mixlo_f16 v0, v38, v0, 0
	global_store_b16 v[9:10], v0, off
	global_store_b8 v1, v2, s[8:9]
	s_or_b32 exec_lo, exec_lo, s18
	s_and_saveexec_b32 s2, s0
	s_cbranch_execz .LBB76_5
.LBB76_52:                              ;   in Loop: Header=BB76_6 Depth=1
	v_mov_b32_e32 v0, 0
	s_and_not1_b32 vcc_lo, exec_lo, s26
	s_cbranch_vccnz .LBB76_4
; %bb.53:                               ;   in Loop: Header=BB76_6 Depth=1
	v_mov_b32_e32 v0, 0
	s_mov_b64 s[0:1], s[16:17]
	s_mov_b32 s3, s6
	s_set_inst_prefetch_distance 0x1
	.p2align	6
.LBB76_54:                              ;   Parent Loop BB76_6 Depth=1
                                        ; =>  This Inner Loop Header: Depth=2
	s_clause 0x1
	s_load_b32 s18, s[0:1], 0x0
	s_load_b32 s19, s[0:1], 0x64
	v_mov_b32_e32 v7, v8
	s_add_i32 s3, s3, -1
	s_waitcnt lgkmcnt(0)
	v_cvt_f32_u32_e32 v1, s18
	s_sub_i32 s28, 0, s18
	s_add_u32 s0, s0, -4
	s_addc_u32 s1, s1, -1
	s_cmp_gt_u32 s3, 2
	v_rcp_iflag_f32_e32 v1, v1
	s_waitcnt_depctr 0xfff
	v_mul_f32_e32 v1, 0x4f7ffffe, v1
	s_delay_alu instid0(VALU_DEP_1) | instskip(NEXT) | instid1(VALU_DEP_1)
	v_cvt_u32_f32_e32 v1, v1
	v_mul_lo_u32 v2, s28, v1
	s_delay_alu instid0(VALU_DEP_1) | instskip(NEXT) | instid1(VALU_DEP_1)
	v_mul_hi_u32 v2, v1, v2
	v_add_nc_u32_e32 v1, v1, v2
	s_delay_alu instid0(VALU_DEP_1) | instskip(NEXT) | instid1(VALU_DEP_1)
	v_mul_hi_u32 v1, v7, v1
	v_mul_lo_u32 v2, v1, s18
	v_add_nc_u32_e32 v8, 1, v1
	s_delay_alu instid0(VALU_DEP_2) | instskip(NEXT) | instid1(VALU_DEP_1)
	v_sub_nc_u32_e32 v2, v7, v2
	v_subrev_nc_u32_e32 v9, s18, v2
	v_cmp_le_u32_e32 vcc_lo, s18, v2
	s_delay_alu instid0(VALU_DEP_2) | instskip(NEXT) | instid1(VALU_DEP_1)
	v_dual_cndmask_b32 v2, v2, v9 :: v_dual_cndmask_b32 v1, v1, v8
	v_cmp_le_u32_e32 vcc_lo, s18, v2
	s_delay_alu instid0(VALU_DEP_2) | instskip(NEXT) | instid1(VALU_DEP_1)
	v_add_nc_u32_e32 v8, 1, v1
	v_cndmask_b32_e32 v8, v1, v8, vcc_lo
	s_delay_alu instid0(VALU_DEP_1) | instskip(NEXT) | instid1(VALU_DEP_1)
	v_mul_lo_u32 v1, v8, s18
	v_sub_nc_u32_e32 v7, v7, v1
	s_delay_alu instid0(VALU_DEP_1) | instskip(NEXT) | instid1(VALU_DEP_1)
	v_mad_u64_u32 v[1:2], null, s19, v7, v[0:1]
	v_mov_b32_e32 v0, v1
	s_cbranch_scc1 .LBB76_54
	s_branch .LBB76_4
.LBB76_55:
	s_endpgm
	.section	.rodata,"a",@progbits
	.p2align	6, 0x0
	.amdhsa_kernel _ZN2at6native12_GLOBAL__N_120fused_dropout_kernelIN3c104HalfEfjLin1ELin1EhEEvNS_4cuda6detail10TensorInfoIKT_T1_EENS7_IS8_SA_EENS7_IT4_SA_EESA_T0_NS_15PhiloxCudaStateE
		.amdhsa_group_segment_fixed_size 0
		.amdhsa_private_segment_fixed_size 0
		.amdhsa_kernarg_size 944
		.amdhsa_user_sgpr_count 15
		.amdhsa_user_sgpr_dispatch_ptr 0
		.amdhsa_user_sgpr_queue_ptr 0
		.amdhsa_user_sgpr_kernarg_segment_ptr 1
		.amdhsa_user_sgpr_dispatch_id 0
		.amdhsa_user_sgpr_private_segment_size 0
		.amdhsa_wavefront_size32 1
		.amdhsa_uses_dynamic_stack 0
		.amdhsa_enable_private_segment 0
		.amdhsa_system_sgpr_workgroup_id_x 1
		.amdhsa_system_sgpr_workgroup_id_y 0
		.amdhsa_system_sgpr_workgroup_id_z 0
		.amdhsa_system_sgpr_workgroup_info 0
		.amdhsa_system_vgpr_workitem_id 0
		.amdhsa_next_free_vgpr 49
		.amdhsa_next_free_sgpr 34
		.amdhsa_reserve_vcc 1
		.amdhsa_float_round_mode_32 0
		.amdhsa_float_round_mode_16_64 0
		.amdhsa_float_denorm_mode_32 3
		.amdhsa_float_denorm_mode_16_64 3
		.amdhsa_dx10_clamp 1
		.amdhsa_ieee_mode 1
		.amdhsa_fp16_overflow 0
		.amdhsa_workgroup_processor_mode 1
		.amdhsa_memory_ordered 1
		.amdhsa_forward_progress 0
		.amdhsa_shared_vgpr_count 0
		.amdhsa_exception_fp_ieee_invalid_op 0
		.amdhsa_exception_fp_denorm_src 0
		.amdhsa_exception_fp_ieee_div_zero 0
		.amdhsa_exception_fp_ieee_overflow 0
		.amdhsa_exception_fp_ieee_underflow 0
		.amdhsa_exception_fp_ieee_inexact 0
		.amdhsa_exception_int_div_zero 0
	.end_amdhsa_kernel
	.section	.text._ZN2at6native12_GLOBAL__N_120fused_dropout_kernelIN3c104HalfEfjLin1ELin1EhEEvNS_4cuda6detail10TensorInfoIKT_T1_EENS7_IS8_SA_EENS7_IT4_SA_EESA_T0_NS_15PhiloxCudaStateE,"axG",@progbits,_ZN2at6native12_GLOBAL__N_120fused_dropout_kernelIN3c104HalfEfjLin1ELin1EhEEvNS_4cuda6detail10TensorInfoIKT_T1_EENS7_IS8_SA_EENS7_IT4_SA_EESA_T0_NS_15PhiloxCudaStateE,comdat
.Lfunc_end76:
	.size	_ZN2at6native12_GLOBAL__N_120fused_dropout_kernelIN3c104HalfEfjLin1ELin1EhEEvNS_4cuda6detail10TensorInfoIKT_T1_EENS7_IS8_SA_EENS7_IT4_SA_EESA_T0_NS_15PhiloxCudaStateE, .Lfunc_end76-_ZN2at6native12_GLOBAL__N_120fused_dropout_kernelIN3c104HalfEfjLin1ELin1EhEEvNS_4cuda6detail10TensorInfoIKT_T1_EENS7_IS8_SA_EENS7_IT4_SA_EESA_T0_NS_15PhiloxCudaStateE
                                        ; -- End function
	.section	.AMDGPU.csdata,"",@progbits
; Kernel info:
; codeLenInByte = 4836
; NumSgprs: 36
; NumVgprs: 49
; ScratchSize: 0
; MemoryBound: 0
; FloatMode: 240
; IeeeMode: 1
; LDSByteSize: 0 bytes/workgroup (compile time only)
; SGPRBlocks: 4
; VGPRBlocks: 6
; NumSGPRsForWavesPerEU: 36
; NumVGPRsForWavesPerEU: 49
; Occupancy: 16
; WaveLimiterHint : 1
; COMPUTE_PGM_RSRC2:SCRATCH_EN: 0
; COMPUTE_PGM_RSRC2:USER_SGPR: 15
; COMPUTE_PGM_RSRC2:TRAP_HANDLER: 0
; COMPUTE_PGM_RSRC2:TGID_X_EN: 1
; COMPUTE_PGM_RSRC2:TGID_Y_EN: 0
; COMPUTE_PGM_RSRC2:TGID_Z_EN: 0
; COMPUTE_PGM_RSRC2:TIDIG_COMP_CNT: 0
	.section	.text._ZN2at6native12_GLOBAL__N_124fused_dropout_kernel_vecIN3c108BFloat16EfjLi1ELi16EhEEvNS_4cuda6detail10TensorInfoIKT_T1_EENS7_IS8_SA_EENS7_IT4_SA_EESA_T0_NS_15PhiloxCudaStateE,"axG",@progbits,_ZN2at6native12_GLOBAL__N_124fused_dropout_kernel_vecIN3c108BFloat16EfjLi1ELi16EhEEvNS_4cuda6detail10TensorInfoIKT_T1_EENS7_IS8_SA_EENS7_IT4_SA_EESA_T0_NS_15PhiloxCudaStateE,comdat
	.globl	_ZN2at6native12_GLOBAL__N_124fused_dropout_kernel_vecIN3c108BFloat16EfjLi1ELi16EhEEvNS_4cuda6detail10TensorInfoIKT_T1_EENS7_IS8_SA_EENS7_IT4_SA_EESA_T0_NS_15PhiloxCudaStateE ; -- Begin function _ZN2at6native12_GLOBAL__N_124fused_dropout_kernel_vecIN3c108BFloat16EfjLi1ELi16EhEEvNS_4cuda6detail10TensorInfoIKT_T1_EENS7_IS8_SA_EENS7_IT4_SA_EESA_T0_NS_15PhiloxCudaStateE
	.p2align	8
	.type	_ZN2at6native12_GLOBAL__N_124fused_dropout_kernel_vecIN3c108BFloat16EfjLi1ELi16EhEEvNS_4cuda6detail10TensorInfoIKT_T1_EENS7_IS8_SA_EENS7_IT4_SA_EESA_T0_NS_15PhiloxCudaStateE,@function
_ZN2at6native12_GLOBAL__N_124fused_dropout_kernel_vecIN3c108BFloat16EfjLi1ELi16EhEEvNS_4cuda6detail10TensorInfoIKT_T1_EENS7_IS8_SA_EENS7_IT4_SA_EESA_T0_NS_15PhiloxCudaStateE: ; @_ZN2at6native12_GLOBAL__N_124fused_dropout_kernel_vecIN3c108BFloat16EfjLi1ELi16EhEEvNS_4cuda6detail10TensorInfoIKT_T1_EENS7_IS8_SA_EENS7_IT4_SA_EESA_T0_NS_15PhiloxCudaStateE
; %bb.0:
	s_clause 0x1
	s_load_b128 s[4:7], s[0:1], 0x290
	s_load_b32 s2, s[0:1], 0x2a8
	s_waitcnt lgkmcnt(0)
	v_dual_mov_b32 v3, s6 :: v_dual_mov_b32 v4, s7
	v_dual_mov_b32 v11, s5 :: v_dual_mov_b32 v10, s4
	s_bitcmp0_b32 s2, 0
	s_cbranch_scc1 .LBB77_2
; %bb.1:
	v_dual_mov_b32 v1, s6 :: v_dual_mov_b32 v2, s7
	v_dual_mov_b32 v3, s4 :: v_dual_mov_b32 v4, s5
	s_load_b64 s[2:3], s[0:1], 0x2a0
	flat_load_b64 v[1:2], v[1:2]
	flat_load_b64 v[10:11], v[3:4]
	s_waitcnt vmcnt(1) lgkmcnt(0)
	v_add_co_u32 v3, vcc_lo, v1, s2
	v_add_co_ci_u32_e32 v4, vcc_lo, s3, v2, vcc_lo
.LBB77_2:
	s_clause 0x1
	s_load_b32 s4, s[0:1], 0x2bc
	s_load_b64 s[16:17], s[0:1], 0x288
	s_add_u32 s2, s0, 0x2b0
	s_addc_u32 s3, s1, 0
	s_mov_b32 s5, exec_lo
	s_waitcnt lgkmcnt(0)
	s_and_b32 s4, s4, 0xffff
	s_delay_alu instid0(SALU_CYCLE_1) | instskip(NEXT) | instid1(VALU_DEP_1)
	v_mad_u64_u32 v[8:9], null, s15, s4, v[0:1]
	v_lshlrev_b32_e32 v12, 4, v8
	s_delay_alu instid0(VALU_DEP_1)
	v_cmpx_gt_u32_e64 s16, v12
	s_cbranch_execz .LBB77_45
; %bb.3:
	v_alignbit_b32 v22, v4, v3, 2
	v_mad_u64_u32 v[0:1], null, 0xcd9e8d57, v8, 0
	v_lshrrev_b32_e32 v9, 2, v4
	s_waitcnt vmcnt(0)
	v_mov_b32_e32 v16, v11
	v_mad_u64_u32 v[5:6], null, 0xd2511f53, v22, 0
	v_add_co_u32 v24, null, 0x9e3779b9, v10
	v_xor3_b32 v4, v10, v1, v9
	s_delay_alu instid0(VALU_DEP_4) | instskip(SKIP_2) | instid1(VALU_DEP_4)
	v_add_co_u32 v23, null, 0xbb67ae85, v16
	v_add_co_u32 v25, null, 0x3c6ef372, v10
	v_xor_b32_e32 v13, v6, v11
	v_mad_u64_u32 v[1:2], null, 0xd2511f53, v4, 0
	v_add_co_u32 v26, null, 0x76cf5d0a, v16
	s_delay_alu instid0(VALU_DEP_3) | instskip(SKIP_1) | instid1(VALU_DEP_4)
	v_mad_u64_u32 v[6:7], null, 0xcd9e8d57, v13, 0
	v_add_co_u32 v27, null, 0x32370b8f, v16
	v_xor3_b32 v2, v23, v2, v5
	v_add_co_u32 v28, null, 0xdaa66d2b, v10
	v_add_co_u32 v29, null, 0x78dde6e4, v10
	v_xor3_b32 v0, v7, v24, v0
	s_delay_alu instid0(VALU_DEP_4) | instskip(SKIP_1) | instid1(VALU_DEP_3)
	v_mad_u64_u32 v[4:5], null, 0xcd9e8d57, v2, 0
	v_add_co_u32 v30, null, 0xed9eba14, v16
	v_mad_u64_u32 v[13:14], null, 0xd2511f53, v0, 0
	v_add_co_u32 v31, null, 0xa9066899, v16
	s_delay_alu instid0(VALU_DEP_4) | instskip(SKIP_3) | instid1(VALU_DEP_4)
	v_xor3_b32 v2, v25, v5, v6
	v_div_scale_f32 v17, null, s17, s17, 1.0
	v_add_co_u32 v32, null, 0x1715609d, v10
	v_xor3_b32 v7, v14, v26, v1
	v_mad_u64_u32 v[0:1], null, 0xd2511f53, v2, 0
	s_delay_alu instid0(VALU_DEP_4) | instskip(SKIP_1) | instid1(VALU_DEP_3)
	v_rcp_f32_e32 v18, v17
	v_add_co_u32 v33, null, 0xb54cda56, v10
	v_mad_u64_u32 v[5:6], null, 0xcd9e8d57, v7, 0
	v_add_co_u32 v35, null, 0x5384540f, v10
	s_delay_alu instid0(VALU_DEP_4) | instskip(SKIP_3) | instid1(VALU_DEP_4)
	v_xor3_b32 v7, v27, v1, v13
	v_div_scale_f32 v19, vcc_lo, 1.0, s17, 1.0
	v_add_co_u32 v37, null, 0xf1bbcdc8, v10
	v_xor3_b32 v4, v6, v28, v4
	v_mad_u64_u32 v[1:2], null, 0xcd9e8d57, v7, 0
	s_clause 0x2
	s_load_b64 s[18:19], s[0:1], 0x0
	s_load_b64 s[20:21], s[0:1], 0xd8
	;; [unrolled: 1-line block ×3, first 2 shown]
	s_load_b32 s0, s[2:3], 0x0
	v_mad_u64_u32 v[6:7], null, 0xd2511f53, v4, 0
	s_mov_b32 s15, 0
	s_mov_b32 s25, s17
	v_xor3_b32 v2, v29, v2, v5
	v_and_b32_e32 v39, 3, v3
	v_add_nc_u32_e32 v41, 0x96a522ad, v11
	s_delay_alu instid0(VALU_DEP_4) | instskip(NEXT) | instid1(VALU_DEP_4)
	v_xor3_b32 v0, v7, v30, v0
	v_mad_u64_u32 v[4:5], null, 0xd2511f53, v2, 0
	s_delay_alu instid0(VALU_DEP_2) | instskip(NEXT) | instid1(VALU_DEP_2)
	v_mad_u64_u32 v[13:14], null, 0xcd9e8d57, v0, 0
	v_xor3_b32 v2, v31, v5, v6
	s_waitcnt lgkmcnt(0)
	s_mul_i32 s0, s0, s4
	s_delay_alu instid0(VALU_DEP_2) | instskip(NEXT) | instid1(VALU_DEP_2)
	v_xor3_b32 v7, v14, v32, v1
	v_mad_u64_u32 v[0:1], null, 0xcd9e8d57, v2, 0
	v_fma_f32 v2, -v17, v18, 1.0
	s_lshl_b32 s24, s0, 4
	s_delay_alu instid0(VALU_DEP_3) | instskip(NEXT) | instid1(VALU_DEP_2)
	v_mad_u64_u32 v[5:6], null, 0xd2511f53, v7, 0
	v_fmac_f32_e32 v18, v2, v18
	s_delay_alu instid0(VALU_DEP_4) | instskip(SKIP_3) | instid1(VALU_DEP_4)
	v_xor3_b32 v7, v33, v1, v13
	v_mov_b32_e32 v13, 0
	v_add_co_u32 v34, null, 0x646e171e, v16
	v_add_co_u32 v36, null, 0x1fd5c5a3, v16
	v_mad_u64_u32 v[1:2], null, 0xd2511f53, v7, 0
	s_delay_alu instid0(VALU_DEP_3) | instskip(SKIP_3) | instid1(VALU_DEP_4)
	v_xor3_b32 v4, v6, v34, v4
	v_mul_f32_e32 v20, v19, v18
	v_add_co_u32 v38, null, 0xdb3d7428, v16
	v_add_nc_u32_e32 v40, 0x8ff34781, v10
	v_mad_u64_u32 v[6:7], null, 0xcd9e8d57, v4, 0
	v_xor3_b32 v2, v36, v2, v5
	s_delay_alu instid0(VALU_DEP_1) | instskip(NEXT) | instid1(VALU_DEP_3)
	v_mad_u64_u32 v[4:5], null, 0xcd9e8d57, v2, 0
	v_xor3_b32 v0, v7, v35, v0
	v_fma_f32 v7, -v17, v20, v19
	s_delay_alu instid0(VALU_DEP_2) | instskip(NEXT) | instid1(VALU_DEP_4)
	v_mad_u64_u32 v[14:15], null, 0xd2511f53, v0, 0
	v_xor3_b32 v0, v37, v5, v6
	s_delay_alu instid0(VALU_DEP_1) | instskip(NEXT) | instid1(VALU_DEP_4)
	v_mad_u64_u32 v[5:6], null, 0xd2511f53, v0, 0
	v_fmac_f32_e32 v20, v7, v18
	s_delay_alu instid0(VALU_DEP_4) | instskip(NEXT) | instid1(VALU_DEP_3)
	v_xor3_b32 v7, v15, v38, v1
	v_mov_b32_e32 v3, v5
	s_delay_alu instid0(VALU_DEP_3) | instskip(NEXT) | instid1(VALU_DEP_3)
	v_fma_f32 v15, -v17, v20, v19
	v_mad_u64_u32 v[1:2], null, 0xcd9e8d57, v7, 0
	v_mov_b32_e32 v19, v13
	s_delay_alu instid0(VALU_DEP_3) | instskip(NEXT) | instid1(VALU_DEP_1)
	v_div_fmas_f32 v0, v15, v18, v20
	v_div_fixup_f32 v42, v0, s17, 1.0
	s_delay_alu instid0(VALU_DEP_4)
	v_xor3_b32 v0, v4, v2, v40
	v_xor3_b32 v2, v6, v14, v41
	s_branch .LBB77_6
.LBB77_4:                               ;   in Loop: Header=BB77_6 Depth=1
	s_or_b32 exec_lo, exec_lo, s1
	s_delay_alu instid0(VALU_DEP_1)
	v_mov_b32_e32 v18, v50
.LBB77_5:                               ;   in Loop: Header=BB77_6 Depth=1
	s_or_b32 exec_lo, exec_lo, s0
	v_lshlrev_b64 v[58:59], 1, v[12:13]
	v_cvt_f32_u32_e32 v44, v44
	v_cvt_f32_u32_e32 v3, v3
	;; [unrolled: 1-line block ×5, first 2 shown]
	v_add_co_u32 v54, vcc_lo, s18, v58
	v_add_co_ci_u32_e32 v55, vcc_lo, s19, v59, vcc_lo
	v_cvt_f32_u32_e32 v6, v6
	v_cvt_f32_u32_e32 v17, v17
	;; [unrolled: 1-line block ×3, first 2 shown]
	s_clause 0x1
	global_load_b128 v[50:53], v[54:55], off
	global_load_b128 v[54:57], v[54:55], off offset:16
	v_cvt_f32_u32_e32 v14, v14
	v_cvt_f32_u32_e32 v43, v43
	v_dual_fmaak_f32 v44, 0x2f800000, v44, 0x2f800000 :: v_dual_fmaak_f32 v3, 0x2f800000, v3, 0x2f800000
	v_dual_fmaak_f32 v4, 0x2f800000, v4, 0x2f800000 :: v_dual_fmaak_f32 v5, 0x2f800000, v5, 0x2f800000
	;; [unrolled: 1-line block ×3, first 2 shown]
	v_cvt_f32_u32_e32 v20, v46
	v_cvt_f32_u32_e32 v46, v49
	;; [unrolled: 1-line block ×3, first 2 shown]
	v_dual_fmaak_f32 v48, 0x2f800000, v17, 0x2f800000 :: v_dual_fmaak_f32 v43, 0x2f800000, v43, 0x2f800000
	v_dual_fmaak_f32 v21, 0x2f800000, v21, 0x2f800000 :: v_dual_fmaak_f32 v14, 0x2f800000, v14, 0x2f800000
	v_cmp_gt_f32_e64 s0, s17, v5
	v_cmp_gt_f32_e64 s2, s17, v7
	;; [unrolled: 1-line block ×4, first 2 shown]
	v_dual_fmaak_f32 v46, 0x2f800000, v46, 0x2f800000 :: v_dual_fmaak_f32 v49, 0x2f800000, v16, 0x2f800000
	v_add_co_u32 v16, vcc_lo, s20, v58
	v_add_co_ci_u32_e32 v17, vcc_lo, s21, v59, vcc_lo
	v_cvt_f32_u32_e32 v45, v45
	v_cvt_f32_u32_e32 v18, v18
	v_fmaak_f32 v20, 0x2f800000, v20, 0x2f800000
	v_cmp_gt_f32_e32 vcc_lo, s25, v4
	v_cndmask_b32_e64 v5, 0, 1, s0
	v_fmaak_f32 v45, 0x2f800000, v45, 0x2f800000
	v_cmp_gt_f32_e64 s1, s25, v6
	v_cndmask_b32_e64 v7, 0, 1, s2
	v_cmp_gt_f32_e64 s3, s25, v14
	v_cndmask_b32_e64 v44, 0, 1, s4
	;; [unrolled: 2-line block ×3, first 2 shown]
	v_cvt_f32_u32_e32 v47, v47
	v_fmaak_f32 v18, 0x2f800000, v18, 0x2f800000
	v_cndmask_b32_e64 v4, 0, 1, vcc_lo
	v_cndmask_b32_e64 v6, 0, 1, s1
	v_cndmask_b32_e64 v14, 0, 1, s3
	v_fmaak_f32 v47, 0x2f800000, v47, 0x2f800000
	v_cndmask_b32_e64 v43, 0, 1, s5
	v_cmp_gt_f32_e64 s8, s17, v20
	v_cmp_gt_f32_e64 s10, s17, v21
	;; [unrolled: 1-line block ×3, first 2 shown]
	v_lshlrev_b16 v44, 8, v44
	v_lshlrev_b16 v3, 8, v3
	;; [unrolled: 1-line block ×4, first 2 shown]
	v_cmp_gt_f32_e64 s7, s25, v48
	v_cndmask_b32_e64 v20, 0, 1, s8
	v_cmp_gt_f32_e64 s9, s25, v45
	v_cndmask_b32_e64 v21, 0, 1, s10
	;; [unrolled: 2-line block ×3, first 2 shown]
	v_or_b32_e32 v14, v14, v44
	v_or_b32_e32 v3, v43, v3
	;; [unrolled: 1-line block ×4, first 2 shown]
	v_cndmask_b32_e64 v48, 0, 1, s7
	v_cndmask_b32_e64 v45, 0, 1, s9
	v_cmp_gt_f32_e64 s13, s25, v47
	v_cndmask_b32_e64 v58, 0, 1.0, vcc_lo
	v_cndmask_b32_e64 v60, 0, 1.0, s1
	v_cndmask_b32_e64 v65, 0, 1.0, s6
	;; [unrolled: 1-line block ×3, first 2 shown]
	v_cndmask_b32_e64 v70, 0, 1, s11
	v_lshlrev_b16 v20, 8, v20
	v_lshlrev_b16 v21, 8, v21
	;; [unrolled: 1-line block ×3, first 2 shown]
	v_and_b32_e32 v14, 0xffff, v14
	v_lshlrev_b32_e32 v3, 16, v3
	v_and_b32_e32 v43, 0xffff, v4
	v_lshlrev_b32_e32 v44, 16, v5
	v_cndmask_b32_e64 v47, 0, 1.0, s13
	v_cndmask_b32_e64 v61, 0, 1.0, s2
	;; [unrolled: 1-line block ×4, first 2 shown]
	v_or_b32_e32 v20, v48, v20
	v_or_b32_e32 v21, v45, v21
	;; [unrolled: 1-line block ×5, first 2 shown]
	v_cndmask_b32_e64 v59, 0, 1.0, s0
	v_lshlrev_b32_e32 v21, 16, v21
	v_cndmask_b32_e64 v46, 0, 1.0, s12
	v_cmp_gt_f32_e64 s14, s17, v49
	v_cndmask_b32_e64 v64, 0, 1.0, s5
	v_cndmask_b32_e64 v18, 0, 1.0, s11
	;; [unrolled: 1-line block ×5, first 2 shown]
	v_cndmask_b32_e64 v73, 0, 1, s14
	v_cndmask_b32_e64 v72, 0, 1, s13
	v_cndmask_b32_e64 v62, 0, 1.0, s3
	s_delay_alu instid0(VALU_DEP_3) | instskip(NEXT) | instid1(VALU_DEP_1)
	v_lshlrev_b16 v73, 8, v73
	v_or_b32_e32 v7, v72, v73
	s_waitcnt vmcnt(1)
	v_and_b32_e32 v45, 0xffff0000, v52
	s_waitcnt vmcnt(0)
	v_lshlrev_b32_e32 v70, 16, v57
	v_lshlrev_b32_e32 v44, 16, v52
	v_and_b32_e32 v52, 0xffff0000, v54
	v_and_b32_e32 v43, 0xffff0000, v51
	v_lshlrev_b32_e32 v14, 16, v50
	v_and_b32_e32 v57, 0xffff0000, v57
	v_mul_f32_e32 v47, v47, v70
	v_mul_f32_e32 v52, v67, v52
	v_dual_mul_f32 v43, v61, v43 :: v_dual_and_b32 v20, 0xffff, v20
	v_lshlrev_b32_e32 v48, 16, v53
	v_dual_mul_f32 v44, v62, v44 :: v_dual_lshlrev_b32 v7, 16, v7
	s_delay_alu instid0(VALU_DEP_3) | instskip(NEXT) | instid1(VALU_DEP_4)
	v_or_b32_e32 v5, v20, v21
	v_mul_f32_e32 v43, v42, v43
	s_delay_alu instid0(VALU_DEP_4) | instskip(SKIP_2) | instid1(VALU_DEP_3)
	v_dual_mul_f32 v48, v64, v48 :: v_dual_lshlrev_b32 v21, 16, v51
	v_lshlrev_b32_e32 v51, 16, v54
	v_and_b32_e32 v20, 0xffff0000, v50
	v_dual_mul_f32 v21, v60, v21 :: v_dual_and_b32 v54, 0xffff0000, v55
	v_mul_f32_e32 v47, v42, v47
	s_delay_alu instid0(VALU_DEP_4) | instskip(SKIP_1) | instid1(VALU_DEP_4)
	v_dual_mul_f32 v51, v66, v51 :: v_dual_and_b32 v50, 0xffff0000, v53
	v_lshlrev_b32_e32 v53, 16, v55
	v_dual_mul_f32 v21, v42, v21 :: v_dual_mul_f32 v54, v69, v54
	s_delay_alu instid0(VALU_DEP_3) | instskip(SKIP_1) | instid1(VALU_DEP_4)
	v_dual_mul_f32 v51, v42, v51 :: v_dual_mul_f32 v50, v65, v50
	v_lshlrev_b32_e32 v55, 16, v56
	v_dual_mul_f32 v53, v68, v53 :: v_dual_mul_f32 v14, v58, v14
	v_and_b32_e32 v56, 0xffff0000, v56
	s_delay_alu instid0(VALU_DEP_4) | instskip(NEXT) | instid1(VALU_DEP_4)
	v_mul_f32_e32 v50, v42, v50
	v_mul_f32_e32 v18, v18, v55
	s_delay_alu instid0(VALU_DEP_4)
	v_mul_f32_e32 v53, v42, v53
	v_mul_f32_e32 v49, v49, v57
	v_bfe_u32 v57, v43, 16, 1
	v_mul_f32_e32 v20, v59, v20
	v_mul_f32_e32 v14, v42, v14
	;; [unrolled: 1-line block ×3, first 2 shown]
	v_dual_mul_f32 v45, v63, v45 :: v_dual_and_b32 v6, 0xffff, v6
	v_add3_u32 v57, v43, v57, 0x7fff
	s_delay_alu instid0(VALU_DEP_4)
	v_bfe_u32 v56, v14, 16, 1
	v_bfe_u32 v58, v21, 16, 1
	;; [unrolled: 1-line block ×3, first 2 shown]
	v_mul_f32_e32 v45, v42, v45
	v_lshrrev_b32_e32 v57, 16, v57
	v_mul_f32_e32 v20, v42, v20
	v_add3_u32 v56, v14, v56, 0x7fff
	v_add3_u32 v58, v21, v58, 0x7fff
	v_bfe_u32 v59, v45, 16, 1
	v_bfe_u32 v61, v50, 16, 1
	;; [unrolled: 1-line block ×3, first 2 shown]
	v_cmp_o_f32_e32 vcc_lo, v20, v20
	v_lshrrev_b32_e32 v56, 16, v56
	v_lshrrev_b32_e32 v58, 16, v58
	v_add3_u32 v59, v45, v59, 0x7fff
	v_add3_u32 v55, v20, v55, 0x7fff
	v_add3_u32 v66, v53, v66, 0x7fff
	v_add3_u32 v61, v50, v61, 0x7fff
	v_bfe_u32 v64, v51, 16, 1
	v_lshrrev_b32_e32 v59, 16, v59
	v_lshrrev_b32_e32 v55, 16, v55
	v_mul_f32_e32 v49, v42, v49
	v_lshrrev_b32_e32 v66, 16, v66
	v_mul_f32_e32 v52, v42, v52
	v_lshrrev_b32_e32 v61, 16, v61
	v_cndmask_b32_e32 v20, 0x7fc0, v55, vcc_lo
	v_cmp_o_f32_e32 vcc_lo, v14, v14
	v_add3_u32 v64, v51, v64, 0x7fff
	v_bfe_u32 v63, v52, 16, 1
	v_bfe_u32 v69, v49, 16, 1
	;; [unrolled: 1-line block ×3, first 2 shown]
	v_cndmask_b32_e32 v14, 0x7fc0, v56, vcc_lo
	v_cmp_o_f32_e32 vcc_lo, v43, v43
	v_add3_u32 v63, v52, v63, 0x7fff
	v_lshrrev_b32_e32 v64, 16, v64
	v_add3_u32 v69, v49, v69, 0x7fff
	v_add3_u32 v70, v47, v70, 0x7fff
	v_cndmask_b32_e32 v43, 0x7fc0, v57, vcc_lo
	v_cmp_o_f32_e32 vcc_lo, v21, v21
	v_mul_f32_e32 v44, v42, v44
	v_lshrrev_b32_e32 v63, 16, v63
	v_lshrrev_b32_e32 v69, 16, v69
	v_mul_f32_e32 v46, v42, v46
	v_cndmask_b32_e32 v21, 0x7fc0, v58, vcc_lo
	v_bfe_u32 v60, v44, 16, 1
	v_cmp_o_f32_e32 vcc_lo, v45, v45
	v_mul_f32_e32 v48, v42, v48
	v_bfe_u32 v67, v46, 16, 1
	v_lshrrev_b32_e32 v70, 16, v70
	v_add3_u32 v60, v44, v60, 0x7fff
	v_cndmask_b32_e32 v45, 0x7fc0, v59, vcc_lo
	v_bfe_u32 v62, v48, 16, 1
	v_cmp_o_f32_e32 vcc_lo, v44, v44
	v_add3_u32 v67, v46, v67, 0x7fff
	v_lshrrev_b32_e32 v60, 16, v60
	v_or_b32_e32 v6, v6, v7
	v_add3_u32 v62, v48, v62, 0x7fff
	s_delay_alu instid0(VALU_DEP_4) | instskip(NEXT) | instid1(VALU_DEP_4)
	v_lshrrev_b32_e32 v67, 16, v67
	v_cndmask_b32_e32 v44, 0x7fc0, v60, vcc_lo
	v_cmp_o_f32_e32 vcc_lo, v50, v50
	s_delay_alu instid0(VALU_DEP_4) | instskip(NEXT) | instid1(VALU_DEP_3)
	v_lshrrev_b32_e32 v62, 16, v62
	v_perm_b32 v45, v45, v44, 0x5040100
	v_cndmask_b32_e32 v50, 0x7fc0, v61, vcc_lo
	v_cmp_o_f32_e32 vcc_lo, v48, v48
	v_perm_b32 v44, v43, v21, 0x5040100
	v_perm_b32 v43, v20, v14, 0x5040100
	v_cndmask_b32_e32 v48, 0x7fc0, v62, vcc_lo
	v_cmp_o_f32_e32 vcc_lo, v52, v52
	v_cndmask_b32_e32 v52, 0x7fc0, v63, vcc_lo
	v_cmp_o_f32_e32 vcc_lo, v51, v51
	v_dual_mul_f32 v54, v42, v54 :: v_dual_cndmask_b32 v51, 0x7fc0, v64
	s_delay_alu instid0(VALU_DEP_1) | instskip(SKIP_1) | instid1(VALU_DEP_2)
	v_bfe_u32 v65, v54, 16, 1
	v_cmp_o_f32_e32 vcc_lo, v54, v54
	v_add3_u32 v65, v54, v65, 0x7fff
	s_delay_alu instid0(VALU_DEP_1) | instskip(NEXT) | instid1(VALU_DEP_1)
	v_lshrrev_b32_e32 v65, 16, v65
	v_cndmask_b32_e32 v54, 0x7fc0, v65, vcc_lo
	v_cmp_o_f32_e32 vcc_lo, v53, v53
	v_cndmask_b32_e32 v53, 0x7fc0, v66, vcc_lo
	v_cmp_o_f32_e32 vcc_lo, v46, v46
	v_mul_f32_e32 v18, v42, v18
	v_perm_b32 v46, v50, v48, 0x5040100
	s_delay_alu instid0(VALU_DEP_4) | instskip(SKIP_1) | instid1(VALU_DEP_4)
	v_perm_b32 v48, v54, v53, 0x5040100
	v_cndmask_b32_e32 v55, 0x7fc0, v67, vcc_lo
	v_bfe_u32 v68, v18, 16, 1
	v_cmp_o_f32_e32 vcc_lo, v18, v18
	s_delay_alu instid0(VALU_DEP_2) | instskip(NEXT) | instid1(VALU_DEP_1)
	v_add3_u32 v68, v18, v68, 0x7fff
	v_lshrrev_b32_e32 v68, 16, v68
	s_delay_alu instid0(VALU_DEP_1) | instskip(SKIP_4) | instid1(VALU_DEP_1)
	v_cndmask_b32_e32 v18, 0x7fc0, v68, vcc_lo
	v_cmp_o_f32_e32 vcc_lo, v49, v49
	v_cndmask_b32_e32 v49, 0x7fc0, v69, vcc_lo
	v_cmp_o_f32_e32 vcc_lo, v47, v47
	v_cndmask_b32_e32 v47, 0x7fc0, v70, vcc_lo
	v_perm_b32 v50, v49, v47, 0x5040100
	v_perm_b32 v49, v55, v18, 0x5040100
	;; [unrolled: 1-line block ×3, first 2 shown]
	s_clause 0x1
	global_store_b128 v[16:17], v[43:46], off
	global_store_b128 v[16:17], v[47:50], off offset:16
	global_store_b128 v12, v[3:6], s[22:23]
	v_dual_mov_b32 v3, v15 :: v_dual_add_nc_u32 v12, s24, v12
	s_waitcnt_vscnt null, 0x0
	s_barrier
	buffer_gl0_inv
	v_cmp_le_u32_e32 vcc_lo, s16, v12
	s_or_b32 s15, vcc_lo, s15
	s_delay_alu instid0(SALU_CYCLE_1)
	s_and_not1_b32 exec_lo, exec_lo, s15
	s_cbranch_execz .LBB77_45
.LBB77_6:                               ; =>This Inner Loop Header: Depth=1
	v_add_co_u32 v6, vcc_lo, v22, 1
	s_delay_alu instid0(VALU_DEP_1) | instskip(SKIP_2) | instid1(VALU_DEP_1)
	v_cndmask_b32_e64 v4, 0, 1, vcc_lo
	v_add_co_ci_u32_e32 v17, vcc_lo, 0, v9, vcc_lo
	s_mov_b32 s0, exec_lo
	v_cmp_eq_u32_e32 vcc_lo, 0, v17
	s_delay_alu instid0(VALU_DEP_3) | instskip(SKIP_1) | instid1(VALU_DEP_2)
	v_cndmask_b32_e32 v7, 0, v4, vcc_lo
	v_mad_u64_u32 v[4:5], null, 0xd2511f53, v6, 0
	v_add_nc_u32_e32 v20, v7, v8
	s_delay_alu instid0(VALU_DEP_2) | instskip(NEXT) | instid1(VALU_DEP_2)
	v_xor_b32_e32 v8, v5, v11
	v_cmp_eq_u32_e32 vcc_lo, 0, v20
	v_cndmask_b32_e32 v7, 0, v7, vcc_lo
	v_mad_u64_u32 v[5:6], null, 0xcd9e8d57, v20, 0
	s_delay_alu instid0(VALU_DEP_2) | instskip(NEXT) | instid1(VALU_DEP_2)
	v_add_nc_u32_e32 v18, v7, v19
	v_xor3_b32 v14, v6, v10, v17
	s_delay_alu instid0(VALU_DEP_2) | instskip(NEXT) | instid1(VALU_DEP_1)
	v_xor_b32_e32 v8, v18, v8
	v_mad_u64_u32 v[6:7], null, 0xcd9e8d57, v8, 0
	s_delay_alu instid0(VALU_DEP_3) | instskip(NEXT) | instid1(VALU_DEP_2)
	v_mad_u64_u32 v[8:9], null, 0xd2511f53, v14, 0
	v_xor3_b32 v7, v24, v7, v5
	s_delay_alu instid0(VALU_DEP_2) | instskip(NEXT) | instid1(VALU_DEP_2)
	v_xor3_b32 v9, v23, v9, v4
	v_mad_u64_u32 v[4:5], null, 0xd2511f53, v7, 0
	s_delay_alu instid0(VALU_DEP_2) | instskip(NEXT) | instid1(VALU_DEP_2)
	v_mad_u64_u32 v[14:15], null, 0xcd9e8d57, v9, 0
	v_xor3_b32 v7, v26, v5, v8
	s_delay_alu instid0(VALU_DEP_2) | instskip(NEXT) | instid1(VALU_DEP_2)
	v_xor3_b32 v9, v25, v15, v6
	v_mad_u64_u32 v[5:6], null, 0xcd9e8d57, v7, 0
	s_delay_alu instid0(VALU_DEP_2) | instskip(NEXT) | instid1(VALU_DEP_2)
	;; [unrolled: 6-line block ×8, first 2 shown]
	v_mad_u64_u32 v[14:15], null, 0xd2511f53, v4, 0
	v_xor3_b32 v16, v9, v43, v40
	s_delay_alu instid0(VALU_DEP_2)
	v_xor3_b32 v9, v15, v5, v41
                                        ; implicit-def: $vgpr4_vgpr5_vgpr6_vgpr7
	v_cmpx_lt_i32_e32 1, v39
	s_xor_b32 s0, exec_lo, s0
	s_cbranch_execz .LBB77_12
; %bb.7:                                ;   in Loop: Header=BB77_6 Depth=1
	s_mov_b32 s1, exec_lo
                                        ; implicit-def: $vgpr4_vgpr5_vgpr6_vgpr7
	v_cmpx_lt_i32_e32 2, v39
	s_xor_b32 s1, exec_lo, s1
; %bb.8:                                ;   in Loop: Header=BB77_6 Depth=1
	v_dual_mov_b32 v6, v3 :: v_dual_mov_b32 v7, v16
                                        ; implicit-def: $vgpr0_vgpr1_vgpr2_vgpr3
	s_delay_alu instid0(VALU_DEP_1) | instskip(NEXT) | instid1(VALU_DEP_2)
	v_mov_b32_e32 v4, v6
	v_dual_mov_b32 v5, v7 :: v_dual_mov_b32 v6, v8
	v_mov_b32_e32 v7, v9
; %bb.9:                                ;   in Loop: Header=BB77_6 Depth=1
	s_and_not1_saveexec_b32 s1, s1
; %bb.10:                               ;   in Loop: Header=BB77_6 Depth=1
	v_dual_mov_b32 v4, v2 :: v_dual_mov_b32 v5, v3
	v_mov_b32_e32 v6, v16
	v_mov_b32_e32 v7, v8
; %bb.11:                               ;   in Loop: Header=BB77_6 Depth=1
	s_or_b32 exec_lo, exec_lo, s1
                                        ; implicit-def: $vgpr0_vgpr1_vgpr2_vgpr3
.LBB77_12:                              ;   in Loop: Header=BB77_6 Depth=1
	s_and_not1_saveexec_b32 s0, s0
	s_cbranch_execz .LBB77_16
; %bb.13:                               ;   in Loop: Header=BB77_6 Depth=1
	s_mov_b32 s1, exec_lo
	v_cmpx_eq_u32_e32 1, v39
; %bb.14:                               ;   in Loop: Header=BB77_6 Depth=1
	v_dual_mov_b32 v0, v1 :: v_dual_mov_b32 v1, v2
	v_dual_mov_b32 v2, v3 :: v_dual_mov_b32 v3, v16
; %bb.15:                               ;   in Loop: Header=BB77_6 Depth=1
	s_or_b32 exec_lo, exec_lo, s1
	s_delay_alu instid0(VALU_DEP_1) | instskip(NEXT) | instid1(VALU_DEP_3)
	v_dual_mov_b32 v7, v3 :: v_dual_mov_b32 v6, v2
	v_dual_mov_b32 v5, v1 :: v_dual_mov_b32 v4, v0
.LBB77_16:                              ;   in Loop: Header=BB77_6 Depth=1
	s_or_b32 exec_lo, exec_lo, s0
	v_add_nc_u32_e32 v2, 2, v22
	s_mov_b32 s0, exec_lo
	s_delay_alu instid0(VALU_DEP_1) | instskip(SKIP_2) | instid1(VALU_DEP_1)
	v_cmp_eq_u32_e32 vcc_lo, 0, v2
	v_cndmask_b32_e64 v0, 0, 1, vcc_lo
	v_add_co_ci_u32_e32 v15, vcc_lo, 0, v17, vcc_lo
	v_cmp_eq_u32_e32 vcc_lo, 0, v15
	s_delay_alu instid0(VALU_DEP_3) | instskip(SKIP_1) | instid1(VALU_DEP_2)
	v_cndmask_b32_e32 v3, 0, v0, vcc_lo
	v_mad_u64_u32 v[0:1], null, 0xd2511f53, v2, 0
	v_add_nc_u32_e32 v19, v3, v20
	s_delay_alu instid0(VALU_DEP_2) | instskip(NEXT) | instid1(VALU_DEP_2)
	v_xor_b32_e32 v1, v1, v11
	v_cmp_eq_u32_e32 vcc_lo, 0, v19
	v_cndmask_b32_e32 v17, 0, v3, vcc_lo
	v_mad_u64_u32 v[2:3], null, 0xcd9e8d57, v19, 0
	s_delay_alu instid0(VALU_DEP_2) | instskip(NEXT) | instid1(VALU_DEP_2)
	v_add_nc_u32_e32 v20, v17, v18
	v_xor3_b32 v3, v3, v10, v15
	s_delay_alu instid0(VALU_DEP_2) | instskip(NEXT) | instid1(VALU_DEP_2)
	v_xor_b32_e32 v1, v20, v1
	v_mad_u64_u32 v[17:18], null, 0xd2511f53, v3, 0
	s_delay_alu instid0(VALU_DEP_2) | instskip(NEXT) | instid1(VALU_DEP_2)
	v_mad_u64_u32 v[43:44], null, 0xcd9e8d57, v1, 0
	v_xor3_b32 v3, v23, v18, v0
	s_delay_alu instid0(VALU_DEP_2) | instskip(NEXT) | instid1(VALU_DEP_2)
	v_xor3_b32 v18, v24, v44, v2
	v_mad_u64_u32 v[0:1], null, 0xcd9e8d57, v3, 0
	s_delay_alu instid0(VALU_DEP_2) | instskip(NEXT) | instid1(VALU_DEP_2)
	v_mad_u64_u32 v[2:3], null, 0xd2511f53, v18, 0
	v_xor3_b32 v1, v25, v1, v43
	s_delay_alu instid0(VALU_DEP_2) | instskip(NEXT) | instid1(VALU_DEP_2)
	v_xor3_b32 v3, v26, v3, v17
	;; [unrolled: 6-line block ×7, first 2 shown]
	v_mad_u64_u32 v[44:45], null, 0xcd9e8d57, v1, 0
	s_delay_alu instid0(VALU_DEP_2) | instskip(NEXT) | instid1(VALU_DEP_2)
	v_mad_u64_u32 v[2:3], null, 0xd2511f53, v0, 0
	v_xor3_b32 v0, v37, v45, v43
                                        ; implicit-def: $vgpr43
	s_delay_alu instid0(VALU_DEP_2) | instskip(NEXT) | instid1(VALU_DEP_2)
	v_xor3_b32 v3, v38, v3, v17
	v_mad_u64_u32 v[17:18], null, 0xd2511f53, v0, 0
	s_delay_alu instid0(VALU_DEP_2) | instskip(NEXT) | instid1(VALU_DEP_2)
	v_mad_u64_u32 v[0:1], null, 0xcd9e8d57, v3, 0
                                        ; implicit-def: $vgpr3
	v_xor3_b32 v2, v18, v2, v41
	s_delay_alu instid0(VALU_DEP_2)
	v_xor3_b32 v1, v1, v44, v40
                                        ; implicit-def: $vgpr44
	v_cmpx_lt_i32_e32 1, v39
	s_xor_b32 s0, exec_lo, s0
	s_cbranch_execz .LBB77_22
; %bb.17:                               ;   in Loop: Header=BB77_6 Depth=1
	s_mov_b32 s1, exec_lo
	v_cmpx_lt_i32_e32 2, v39
	s_xor_b32 s1, exec_lo, s1
; %bb.18:                               ;   in Loop: Header=BB77_6 Depth=1
                                        ; implicit-def: $vgpr9
; %bb.19:                               ;   in Loop: Header=BB77_6 Depth=1
	s_delay_alu instid0(SALU_CYCLE_1)
	s_or_saveexec_b32 s1, s1
	v_dual_mov_b32 v3, v2 :: v_dual_mov_b32 v44, v1
	v_mov_b32_e32 v43, v0
	s_xor_b32 exec_lo, exec_lo, s1
; %bb.20:                               ;   in Loop: Header=BB77_6 Depth=1
	v_dual_mov_b32 v3, v0 :: v_dual_mov_b32 v44, v14
	v_mov_b32_e32 v43, v1
	v_mov_b32_e32 v14, v9
; %bb.21:                               ;   in Loop: Header=BB77_6 Depth=1
	s_or_b32 exec_lo, exec_lo, s1
                                        ; implicit-def: $vgpr9
                                        ; implicit-def: $vgpr16
.LBB77_22:                              ;   in Loop: Header=BB77_6 Depth=1
	s_and_not1_saveexec_b32 s0, s0
	s_cbranch_execz .LBB77_26
; %bb.23:                               ;   in Loop: Header=BB77_6 Depth=1
	s_delay_alu instid0(VALU_DEP_1)
	v_dual_mov_b32 v3, v14 :: v_dual_mov_b32 v44, v8
	v_mov_b32_e32 v43, v9
	s_mov_b32 s1, exec_lo
	v_cmpx_eq_u32_e32 1, v39
; %bb.24:                               ;   in Loop: Header=BB77_6 Depth=1
	v_dual_mov_b32 v3, v1 :: v_dual_mov_b32 v16, v8
	v_dual_mov_b32 v43, v14 :: v_dual_mov_b32 v44, v9
; %bb.25:                               ;   in Loop: Header=BB77_6 Depth=1
	s_or_b32 exec_lo, exec_lo, s1
	s_delay_alu instid0(VALU_DEP_2)
	v_mov_b32_e32 v14, v16
.LBB77_26:                              ;   in Loop: Header=BB77_6 Depth=1
	s_or_b32 exec_lo, exec_lo, s0
	v_add_nc_u32_e32 v9, 3, v22
	s_mov_b32 s0, exec_lo
	s_delay_alu instid0(VALU_DEP_1) | instskip(SKIP_2) | instid1(VALU_DEP_1)
	v_cmp_eq_u32_e32 vcc_lo, 0, v9
	v_cndmask_b32_e64 v16, 0, 1, vcc_lo
	v_add_co_ci_u32_e32 v8, vcc_lo, 0, v15, vcc_lo
	v_cmp_eq_u32_e32 vcc_lo, 0, v8
	s_delay_alu instid0(VALU_DEP_3) | instskip(NEXT) | instid1(VALU_DEP_1)
	v_cndmask_b32_e32 v16, 0, v16, vcc_lo
	v_add_nc_u32_e32 v15, v16, v19
	v_mad_u64_u32 v[18:19], null, 0xd2511f53, v9, 0
	s_delay_alu instid0(VALU_DEP_2) | instskip(SKIP_1) | instid1(VALU_DEP_3)
	v_cmp_eq_u32_e32 vcc_lo, 0, v15
	v_mad_u64_u32 v[45:46], null, 0xcd9e8d57, v15, 0
	v_xor_b32_e32 v19, v19, v11
	v_cndmask_b32_e32 v9, 0, v16, vcc_lo
	s_delay_alu instid0(VALU_DEP_1) | instskip(NEXT) | instid1(VALU_DEP_4)
	v_add_nc_u32_e32 v16, v9, v20
	v_xor3_b32 v9, v46, v10, v8
	s_delay_alu instid0(VALU_DEP_2) | instskip(NEXT) | instid1(VALU_DEP_2)
	v_xor_b32_e32 v21, v16, v19
	v_mad_u64_u32 v[19:20], null, 0xd2511f53, v9, 0
	s_delay_alu instid0(VALU_DEP_2) | instskip(NEXT) | instid1(VALU_DEP_2)
	v_mad_u64_u32 v[46:47], null, 0xcd9e8d57, v21, 0
	v_xor3_b32 v9, v23, v20, v18
	s_delay_alu instid0(VALU_DEP_2) | instskip(NEXT) | instid1(VALU_DEP_2)
	v_xor3_b32 v18, v24, v47, v45
	v_mad_u64_u32 v[20:21], null, 0xcd9e8d57, v9, 0
	s_delay_alu instid0(VALU_DEP_2) | instskip(NEXT) | instid1(VALU_DEP_2)
	v_mad_u64_u32 v[47:48], null, 0xd2511f53, v18, 0
	v_xor3_b32 v9, v25, v21, v46
	s_delay_alu instid0(VALU_DEP_2) | instskip(NEXT) | instid1(VALU_DEP_2)
	v_xor3_b32 v21, v26, v48, v19
	;; [unrolled: 6-line block ×7, first 2 shown]
	v_mad_u64_u32 v[47:48], null, 0xcd9e8d57, v9, 0
	s_delay_alu instid0(VALU_DEP_2) | instskip(NEXT) | instid1(VALU_DEP_2)
	v_mad_u64_u32 v[49:50], null, 0xd2511f53, v18, 0
	v_xor3_b32 v9, v37, v48, v46
                                        ; implicit-def: $vgpr46
	s_delay_alu instid0(VALU_DEP_2) | instskip(NEXT) | instid1(VALU_DEP_2)
	v_xor3_b32 v45, v38, v50, v19
	v_mad_u64_u32 v[18:19], null, 0xd2511f53, v9, 0
	s_delay_alu instid0(VALU_DEP_2) | instskip(NEXT) | instid1(VALU_DEP_2)
	v_mad_u64_u32 v[20:21], null, 0xcd9e8d57, v45, 0
                                        ; implicit-def: $vgpr45
	v_xor3_b32 v48, v19, v49, v41
	s_delay_alu instid0(VALU_DEP_2)
	v_xor3_b32 v50, v21, v47, v40
                                        ; implicit-def: $vgpr21
	v_cmpx_lt_i32_e32 1, v39
	s_xor_b32 s0, exec_lo, s0
	s_cbranch_execz .LBB77_32
; %bb.27:                               ;   in Loop: Header=BB77_6 Depth=1
	s_mov_b32 s1, exec_lo
	v_cmpx_lt_i32_e32 2, v39
	s_xor_b32 s1, exec_lo, s1
; %bb.28:                               ;   in Loop: Header=BB77_6 Depth=1
                                        ; implicit-def: $vgpr2
; %bb.29:                               ;   in Loop: Header=BB77_6 Depth=1
	s_delay_alu instid0(SALU_CYCLE_1)
	s_or_saveexec_b32 s1, s1
	v_dual_mov_b32 v21, v48 :: v_dual_mov_b32 v46, v50
	v_mov_b32_e32 v45, v20
	s_xor_b32 exec_lo, exec_lo, s1
; %bb.30:                               ;   in Loop: Header=BB77_6 Depth=1
	v_dual_mov_b32 v21, v20 :: v_dual_mov_b32 v46, v17
	v_mov_b32_e32 v45, v50
	v_mov_b32_e32 v17, v2
; %bb.31:                               ;   in Loop: Header=BB77_6 Depth=1
	s_or_b32 exec_lo, exec_lo, s1
                                        ; implicit-def: $vgpr2
                                        ; implicit-def: $vgpr0
                                        ; implicit-def: $vgpr1
.LBB77_32:                              ;   in Loop: Header=BB77_6 Depth=1
	s_and_not1_saveexec_b32 s0, s0
	s_cbranch_execz .LBB77_36
; %bb.33:                               ;   in Loop: Header=BB77_6 Depth=1
	s_delay_alu instid0(VALU_DEP_1)
	v_dual_mov_b32 v21, v17 :: v_dual_mov_b32 v46, v0
	v_mov_b32_e32 v45, v2
	s_mov_b32 s1, exec_lo
	v_cmpx_eq_u32_e32 1, v39
; %bb.34:                               ;   in Loop: Header=BB77_6 Depth=1
	v_mov_b32_e32 v21, v50
	v_dual_mov_b32 v45, v17 :: v_dual_mov_b32 v46, v2
	v_mov_b32_e32 v1, v0
; %bb.35:                               ;   in Loop: Header=BB77_6 Depth=1
	s_or_b32 exec_lo, exec_lo, s1
	s_delay_alu instid0(VALU_DEP_1)
	v_mov_b32_e32 v17, v1
.LBB77_36:                              ;   in Loop: Header=BB77_6 Depth=1
	s_or_b32 exec_lo, exec_lo, s0
	v_add_nc_u32_e32 v22, 4, v22
	s_mov_b32 s0, exec_lo
                                        ; implicit-def: $vgpr49
	s_delay_alu instid0(VALU_DEP_1) | instskip(SKIP_2) | instid1(VALU_DEP_1)
	v_cmp_eq_u32_e32 vcc_lo, 0, v22
	v_cndmask_b32_e64 v0, 0, 1, vcc_lo
	v_add_co_ci_u32_e32 v9, vcc_lo, 0, v8, vcc_lo
	v_cmp_eq_u32_e32 vcc_lo, 0, v9
	s_delay_alu instid0(VALU_DEP_3) | instskip(NEXT) | instid1(VALU_DEP_1)
	v_cndmask_b32_e32 v0, 0, v0, vcc_lo
	v_add_nc_u32_e32 v8, v0, v15
	s_delay_alu instid0(VALU_DEP_1) | instskip(SKIP_1) | instid1(VALU_DEP_1)
	v_cmp_eq_u32_e32 vcc_lo, 0, v8
	v_cndmask_b32_e32 v0, 0, v0, vcc_lo
	v_add_nc_u32_e32 v19, v0, v16
	v_mad_u64_u32 v[0:1], null, 0xd2511f53, v22, 0
	v_mad_u64_u32 v[15:16], null, 0xcd9e8d57, v8, 0
	s_delay_alu instid0(VALU_DEP_2) | instskip(NEXT) | instid1(VALU_DEP_2)
	v_xor_b32_e32 v1, v1, v11
	v_xor3_b32 v16, v16, v10, v9
	s_delay_alu instid0(VALU_DEP_2) | instskip(NEXT) | instid1(VALU_DEP_2)
	v_xor_b32_e32 v47, v19, v1
	v_mad_u64_u32 v[51:52], null, 0xd2511f53, v16, 0
	s_delay_alu instid0(VALU_DEP_2) | instskip(NEXT) | instid1(VALU_DEP_2)
	v_mad_u64_u32 v[1:2], null, 0xcd9e8d57, v47, 0
	v_xor3_b32 v0, v23, v52, v0
	s_delay_alu instid0(VALU_DEP_2) | instskip(NEXT) | instid1(VALU_DEP_2)
	v_xor3_b32 v2, v24, v2, v15
	v_mad_u64_u32 v[52:53], null, 0xcd9e8d57, v0, 0
	s_delay_alu instid0(VALU_DEP_2) | instskip(NEXT) | instid1(VALU_DEP_1)
	v_mad_u64_u32 v[15:16], null, 0xd2511f53, v2, 0
	v_xor3_b32 v2, v26, v16, v51
	s_delay_alu instid0(VALU_DEP_3) | instskip(NEXT) | instid1(VALU_DEP_2)
	v_xor3_b32 v16, v25, v53, v1
	v_mad_u64_u32 v[0:1], null, 0xcd9e8d57, v2, 0
	s_delay_alu instid0(VALU_DEP_2) | instskip(NEXT) | instid1(VALU_DEP_2)
	v_mad_u64_u32 v[53:54], null, 0xd2511f53, v16, 0
	v_xor3_b32 v16, v28, v1, v52
	s_delay_alu instid0(VALU_DEP_2) | instskip(NEXT) | instid1(VALU_DEP_2)
	v_xor3_b32 v47, v27, v54, v15
	v_mad_u64_u32 v[1:2], null, 0xd2511f53, v16, 0
	s_delay_alu instid0(VALU_DEP_2) | instskip(NEXT) | instid1(VALU_DEP_2)
	v_mad_u64_u32 v[15:16], null, 0xcd9e8d57, v47, 0
	v_xor3_b32 v2, v30, v2, v53
	s_delay_alu instid0(VALU_DEP_2) | instskip(NEXT) | instid1(VALU_DEP_2)
	;; [unrolled: 6-line block ×6, first 2 shown]
	v_xor3_b32 v47, v37, v55, v1
	v_mad_u64_u32 v[1:2], null, 0xcd9e8d57, v0, 0
	s_delay_alu instid0(VALU_DEP_2) | instskip(NEXT) | instid1(VALU_DEP_2)
	v_mad_u64_u32 v[15:16], null, 0xd2511f53, v47, 0
                                        ; implicit-def: $vgpr47
	v_xor3_b32 v0, v2, v54, v40
	s_delay_alu instid0(VALU_DEP_2)
	v_xor3_b32 v2, v16, v52, v41
                                        ; implicit-def: $vgpr16
	v_cmpx_lt_i32_e32 1, v39
	s_xor_b32 s0, exec_lo, s0
	s_cbranch_execz .LBB77_42
; %bb.37:                               ;   in Loop: Header=BB77_6 Depth=1
	s_mov_b32 s1, exec_lo
	v_cmpx_lt_i32_e32 2, v39
	s_xor_b32 s1, exec_lo, s1
; %bb.38:                               ;   in Loop: Header=BB77_6 Depth=1
                                        ; implicit-def: $vgpr48
; %bb.39:                               ;   in Loop: Header=BB77_6 Depth=1
	s_delay_alu instid0(SALU_CYCLE_1)
	s_or_saveexec_b32 s1, s1
	v_dual_mov_b32 v16, v2 :: v_dual_mov_b32 v47, v1
	v_mov_b32_e32 v49, v0
	s_xor_b32 exec_lo, exec_lo, s1
; %bb.40:                               ;   in Loop: Header=BB77_6 Depth=1
	v_dual_mov_b32 v16, v1 :: v_dual_mov_b32 v47, v0
	v_dual_mov_b32 v49, v18 :: v_dual_mov_b32 v18, v48
; %bb.41:                               ;   in Loop: Header=BB77_6 Depth=1
	s_or_b32 exec_lo, exec_lo, s1
                                        ; implicit-def: $vgpr48
                                        ; implicit-def: $vgpr20
                                        ; implicit-def: $vgpr50
.LBB77_42:                              ;   in Loop: Header=BB77_6 Depth=1
	s_and_not1_saveexec_b32 s0, s0
	s_cbranch_execz .LBB77_5
; %bb.43:                               ;   in Loop: Header=BB77_6 Depth=1
	s_delay_alu instid0(VALU_DEP_1)
	v_dual_mov_b32 v16, v18 :: v_dual_mov_b32 v47, v48
	v_mov_b32_e32 v49, v20
	s_mov_b32 s1, exec_lo
	v_cmpx_eq_u32_e32 1, v39
	s_cbranch_execz .LBB77_4
; %bb.44:                               ;   in Loop: Header=BB77_6 Depth=1
	v_dual_mov_b32 v16, v0 :: v_dual_mov_b32 v47, v18
	v_mov_b32_e32 v49, v48
	v_mov_b32_e32 v50, v20
	s_branch .LBB77_4
.LBB77_45:
	s_endpgm
	.section	.rodata,"a",@progbits
	.p2align	6, 0x0
	.amdhsa_kernel _ZN2at6native12_GLOBAL__N_124fused_dropout_kernel_vecIN3c108BFloat16EfjLi1ELi16EhEEvNS_4cuda6detail10TensorInfoIKT_T1_EENS7_IS8_SA_EENS7_IT4_SA_EESA_T0_NS_15PhiloxCudaStateE
		.amdhsa_group_segment_fixed_size 0
		.amdhsa_private_segment_fixed_size 0
		.amdhsa_kernarg_size 944
		.amdhsa_user_sgpr_count 15
		.amdhsa_user_sgpr_dispatch_ptr 0
		.amdhsa_user_sgpr_queue_ptr 0
		.amdhsa_user_sgpr_kernarg_segment_ptr 1
		.amdhsa_user_sgpr_dispatch_id 0
		.amdhsa_user_sgpr_private_segment_size 0
		.amdhsa_wavefront_size32 1
		.amdhsa_uses_dynamic_stack 0
		.amdhsa_enable_private_segment 0
		.amdhsa_system_sgpr_workgroup_id_x 1
		.amdhsa_system_sgpr_workgroup_id_y 0
		.amdhsa_system_sgpr_workgroup_id_z 0
		.amdhsa_system_sgpr_workgroup_info 0
		.amdhsa_system_vgpr_workitem_id 0
		.amdhsa_next_free_vgpr 74
		.amdhsa_next_free_sgpr 26
		.amdhsa_reserve_vcc 1
		.amdhsa_float_round_mode_32 0
		.amdhsa_float_round_mode_16_64 0
		.amdhsa_float_denorm_mode_32 3
		.amdhsa_float_denorm_mode_16_64 3
		.amdhsa_dx10_clamp 1
		.amdhsa_ieee_mode 1
		.amdhsa_fp16_overflow 0
		.amdhsa_workgroup_processor_mode 1
		.amdhsa_memory_ordered 1
		.amdhsa_forward_progress 0
		.amdhsa_shared_vgpr_count 0
		.amdhsa_exception_fp_ieee_invalid_op 0
		.amdhsa_exception_fp_denorm_src 0
		.amdhsa_exception_fp_ieee_div_zero 0
		.amdhsa_exception_fp_ieee_overflow 0
		.amdhsa_exception_fp_ieee_underflow 0
		.amdhsa_exception_fp_ieee_inexact 0
		.amdhsa_exception_int_div_zero 0
	.end_amdhsa_kernel
	.section	.text._ZN2at6native12_GLOBAL__N_124fused_dropout_kernel_vecIN3c108BFloat16EfjLi1ELi16EhEEvNS_4cuda6detail10TensorInfoIKT_T1_EENS7_IS8_SA_EENS7_IT4_SA_EESA_T0_NS_15PhiloxCudaStateE,"axG",@progbits,_ZN2at6native12_GLOBAL__N_124fused_dropout_kernel_vecIN3c108BFloat16EfjLi1ELi16EhEEvNS_4cuda6detail10TensorInfoIKT_T1_EENS7_IS8_SA_EENS7_IT4_SA_EESA_T0_NS_15PhiloxCudaStateE,comdat
.Lfunc_end77:
	.size	_ZN2at6native12_GLOBAL__N_124fused_dropout_kernel_vecIN3c108BFloat16EfjLi1ELi16EhEEvNS_4cuda6detail10TensorInfoIKT_T1_EENS7_IS8_SA_EENS7_IT4_SA_EESA_T0_NS_15PhiloxCudaStateE, .Lfunc_end77-_ZN2at6native12_GLOBAL__N_124fused_dropout_kernel_vecIN3c108BFloat16EfjLi1ELi16EhEEvNS_4cuda6detail10TensorInfoIKT_T1_EENS7_IS8_SA_EENS7_IT4_SA_EESA_T0_NS_15PhiloxCudaStateE
                                        ; -- End function
	.section	.AMDGPU.csdata,"",@progbits
; Kernel info:
; codeLenInByte = 5532
; NumSgprs: 28
; NumVgprs: 74
; ScratchSize: 0
; MemoryBound: 0
; FloatMode: 240
; IeeeMode: 1
; LDSByteSize: 0 bytes/workgroup (compile time only)
; SGPRBlocks: 3
; VGPRBlocks: 9
; NumSGPRsForWavesPerEU: 28
; NumVGPRsForWavesPerEU: 74
; Occupancy: 16
; WaveLimiterHint : 1
; COMPUTE_PGM_RSRC2:SCRATCH_EN: 0
; COMPUTE_PGM_RSRC2:USER_SGPR: 15
; COMPUTE_PGM_RSRC2:TRAP_HANDLER: 0
; COMPUTE_PGM_RSRC2:TGID_X_EN: 1
; COMPUTE_PGM_RSRC2:TGID_Y_EN: 0
; COMPUTE_PGM_RSRC2:TGID_Z_EN: 0
; COMPUTE_PGM_RSRC2:TIDIG_COMP_CNT: 0
	.section	.text._ZN2at6native12_GLOBAL__N_124fused_dropout_kernel_vecIN3c108BFloat16EfjLi1ELi8EhEEvNS_4cuda6detail10TensorInfoIKT_T1_EENS7_IS8_SA_EENS7_IT4_SA_EESA_T0_NS_15PhiloxCudaStateE,"axG",@progbits,_ZN2at6native12_GLOBAL__N_124fused_dropout_kernel_vecIN3c108BFloat16EfjLi1ELi8EhEEvNS_4cuda6detail10TensorInfoIKT_T1_EENS7_IS8_SA_EENS7_IT4_SA_EESA_T0_NS_15PhiloxCudaStateE,comdat
	.globl	_ZN2at6native12_GLOBAL__N_124fused_dropout_kernel_vecIN3c108BFloat16EfjLi1ELi8EhEEvNS_4cuda6detail10TensorInfoIKT_T1_EENS7_IS8_SA_EENS7_IT4_SA_EESA_T0_NS_15PhiloxCudaStateE ; -- Begin function _ZN2at6native12_GLOBAL__N_124fused_dropout_kernel_vecIN3c108BFloat16EfjLi1ELi8EhEEvNS_4cuda6detail10TensorInfoIKT_T1_EENS7_IS8_SA_EENS7_IT4_SA_EESA_T0_NS_15PhiloxCudaStateE
	.p2align	8
	.type	_ZN2at6native12_GLOBAL__N_124fused_dropout_kernel_vecIN3c108BFloat16EfjLi1ELi8EhEEvNS_4cuda6detail10TensorInfoIKT_T1_EENS7_IS8_SA_EENS7_IT4_SA_EESA_T0_NS_15PhiloxCudaStateE,@function
_ZN2at6native12_GLOBAL__N_124fused_dropout_kernel_vecIN3c108BFloat16EfjLi1ELi8EhEEvNS_4cuda6detail10TensorInfoIKT_T1_EENS7_IS8_SA_EENS7_IT4_SA_EESA_T0_NS_15PhiloxCudaStateE: ; @_ZN2at6native12_GLOBAL__N_124fused_dropout_kernel_vecIN3c108BFloat16EfjLi1ELi8EhEEvNS_4cuda6detail10TensorInfoIKT_T1_EENS7_IS8_SA_EENS7_IT4_SA_EESA_T0_NS_15PhiloxCudaStateE
; %bb.0:
	s_clause 0x1
	s_load_b128 s[4:7], s[0:1], 0x290
	s_load_b32 s2, s[0:1], 0x2a8
	s_waitcnt lgkmcnt(0)
	v_dual_mov_b32 v3, s6 :: v_dual_mov_b32 v4, s7
	v_dual_mov_b32 v11, s5 :: v_dual_mov_b32 v10, s4
	s_bitcmp0_b32 s2, 0
	s_cbranch_scc1 .LBB78_2
; %bb.1:
	v_dual_mov_b32 v1, s6 :: v_dual_mov_b32 v2, s7
	v_dual_mov_b32 v3, s4 :: v_dual_mov_b32 v4, s5
	s_load_b64 s[2:3], s[0:1], 0x2a0
	flat_load_b64 v[1:2], v[1:2]
	flat_load_b64 v[10:11], v[3:4]
	s_waitcnt vmcnt(1) lgkmcnt(0)
	v_add_co_u32 v3, vcc_lo, v1, s2
	v_add_co_ci_u32_e32 v4, vcc_lo, s3, v2, vcc_lo
.LBB78_2:
	s_clause 0x1
	s_load_b32 s4, s[0:1], 0x2bc
	s_load_b64 s[8:9], s[0:1], 0x288
	s_add_u32 s2, s0, 0x2b0
	s_addc_u32 s3, s1, 0
	s_mov_b32 s5, exec_lo
	s_waitcnt lgkmcnt(0)
	s_and_b32 s4, s4, 0xffff
	s_delay_alu instid0(SALU_CYCLE_1) | instskip(NEXT) | instid1(VALU_DEP_1)
	v_mad_u64_u32 v[14:15], null, s15, s4, v[0:1]
	v_lshlrev_b32_e32 v12, 3, v14
	s_delay_alu instid0(VALU_DEP_1)
	v_cmpx_gt_u32_e64 s8, v12
	s_cbranch_execz .LBB78_25
; %bb.3:
	v_alignbit_b32 v19, v4, v3, 2
	v_mad_u64_u32 v[0:1], null, 0xcd9e8d57, v14, 0
	v_lshrrev_b32_e32 v18, 2, v4
	v_div_scale_f32 v15, null, s9, s9, 1.0
	s_delay_alu instid0(VALU_DEP_4)
	v_mad_u64_u32 v[5:6], null, 0xd2511f53, v19, 0
	s_waitcnt vmcnt(0)
	v_add_co_u32 v21, null, 0x9e3779b9, v10
	v_xor3_b32 v4, v10, v1, v18
	v_rcp_f32_e32 v16, v15
	v_mov_b32_e32 v9, v11
	v_add_co_u32 v22, null, 0x3c6ef372, v10
	v_xor_b32_e32 v8, v6, v11
	v_mad_u64_u32 v[1:2], null, 0xd2511f53, v4, 0
	s_delay_alu instid0(VALU_DEP_4) | instskip(NEXT) | instid1(VALU_DEP_3)
	v_add_co_u32 v20, null, 0xbb67ae85, v9
	v_mad_u64_u32 v[6:7], null, 0xcd9e8d57, v8, 0
	v_add_co_u32 v23, null, 0x76cf5d0a, v9
	s_delay_alu instid0(VALU_DEP_3) | instskip(SKIP_3) | instid1(VALU_DEP_4)
	v_xor3_b32 v2, v20, v2, v5
	v_add_co_u32 v24, null, 0x32370b8f, v9
	v_add_co_u32 v25, null, 0xdaa66d2b, v10
	v_xor3_b32 v0, v7, v21, v0
	v_mad_u64_u32 v[4:5], null, 0xcd9e8d57, v2, 0
	v_add_co_u32 v26, null, 0x78dde6e4, v10
	s_delay_alu instid0(VALU_DEP_3) | instskip(SKIP_1) | instid1(VALU_DEP_4)
	v_mad_u64_u32 v[7:8], null, 0xd2511f53, v0, 0
	v_add_co_u32 v27, null, 0xed9eba14, v9
	v_xor3_b32 v2, v22, v5, v6
	v_add_co_u32 v28, null, 0xa9066899, v9
	v_add_co_u32 v29, null, 0x1715609d, v10
	v_xor3_b32 v8, v8, v23, v1
	s_delay_alu instid0(VALU_DEP_4) | instskip(SKIP_1) | instid1(VALU_DEP_3)
	v_mad_u64_u32 v[0:1], null, 0xd2511f53, v2, 0
	v_add_co_u32 v30, null, 0xb54cda56, v10
	v_mad_u64_u32 v[5:6], null, 0xcd9e8d57, v8, 0
	v_add_co_u32 v32, null, 0x5384540f, v10
	s_delay_alu instid0(VALU_DEP_4)
	v_xor3_b32 v7, v24, v1, v7
	v_div_scale_f32 v17, vcc_lo, 1.0, s9, 1.0
	s_clause 0x2
	s_load_b64 s[10:11], s[0:1], 0x0
	s_load_b64 s[12:13], s[0:1], 0xd8
	s_load_b64 s[14:15], s[0:1], 0x1b0
	v_xor3_b32 v4, v6, v25, v4
	v_mad_u64_u32 v[1:2], null, 0xcd9e8d57, v7, 0
	s_load_b32 s0, s[2:3], 0x0
	v_add_co_u32 v34, null, 0xf1bbcdc8, v10
	s_delay_alu instid0(VALU_DEP_3) | instskip(SKIP_1) | instid1(VALU_DEP_4)
	v_mad_u64_u32 v[6:7], null, 0xd2511f53, v4, 0
	v_add_nc_u32_e32 v38, 0x96a522ad, v11
	v_xor3_b32 v2, v26, v2, v5
	s_mov_b32 s7, 0
	s_mov_b32 s17, s9
	v_add_nc_u32_e32 v37, 0x8ff34781, v10
	s_delay_alu instid0(VALU_DEP_4) | instskip(SKIP_1) | instid1(VALU_DEP_2)
	v_xor3_b32 v0, v7, v27, v0
	v_mad_u64_u32 v[4:5], null, 0xd2511f53, v2, 0
	v_mad_u64_u32 v[7:8], null, 0xcd9e8d57, v0, 0
	s_delay_alu instid0(VALU_DEP_2) | instskip(SKIP_2) | instid1(SALU_CYCLE_1)
	v_xor3_b32 v2, v28, v5, v6
	s_waitcnt lgkmcnt(0)
	s_mul_i32 s0, s0, s4
	s_lshl_b32 s16, s0, 3
	s_delay_alu instid0(VALU_DEP_2) | instskip(SKIP_2) | instid1(VALU_DEP_3)
	v_xor3_b32 v8, v8, v29, v1
	v_mad_u64_u32 v[0:1], null, 0xcd9e8d57, v2, 0
	v_fma_f32 v2, -v15, v16, 1.0
	v_mad_u64_u32 v[5:6], null, 0xd2511f53, v8, 0
	s_delay_alu instid0(VALU_DEP_2) | instskip(SKIP_3) | instid1(VALU_DEP_3)
	v_fmac_f32_e32 v16, v2, v16
	v_add_co_u32 v31, null, 0x646e171e, v9
	v_xor3_b32 v7, v30, v1, v7
	v_add_co_u32 v33, null, 0x1fd5c5a3, v9
	v_xor3_b32 v4, v6, v31, v4
	v_mul_f32_e32 v36, v17, v16
	s_delay_alu instid0(VALU_DEP_4) | instskip(SKIP_1) | instid1(VALU_DEP_4)
	v_mad_u64_u32 v[1:2], null, 0xd2511f53, v7, 0
	v_add_co_u32 v35, null, 0xdb3d7428, v9
	v_mad_u64_u32 v[6:7], null, 0xcd9e8d57, v4, 0
	s_delay_alu instid0(VALU_DEP_4) | instskip(NEXT) | instid1(VALU_DEP_4)
	v_fma_f32 v13, -v15, v36, v17
	v_xor3_b32 v2, v33, v2, v5
	s_delay_alu instid0(VALU_DEP_2) | instskip(NEXT) | instid1(VALU_DEP_4)
	v_fmac_f32_e32 v36, v13, v16
	v_xor3_b32 v0, v7, v32, v0
	s_delay_alu instid0(VALU_DEP_3) | instskip(SKIP_1) | instid1(VALU_DEP_4)
	v_mad_u64_u32 v[4:5], null, 0xcd9e8d57, v2, 0
	v_mov_b32_e32 v13, 0
	v_fma_f32 v9, -v15, v36, v17
	s_delay_alu instid0(VALU_DEP_4) | instskip(NEXT) | instid1(VALU_DEP_3)
	v_mad_u64_u32 v[7:8], null, 0xd2511f53, v0, 0
	v_mov_b32_e32 v40, v13
	v_xor3_b32 v0, v34, v5, v6
	s_delay_alu instid0(VALU_DEP_3) | instskip(NEXT) | instid1(VALU_DEP_2)
	v_xor3_b32 v8, v8, v35, v1
	v_mad_u64_u32 v[5:6], null, 0xd2511f53, v0, 0
	v_div_fmas_f32 v0, v9, v16, v36
	v_and_b32_e32 v36, 3, v3
	s_delay_alu instid0(VALU_DEP_4) | instskip(NEXT) | instid1(VALU_DEP_3)
	v_mad_u64_u32 v[1:2], null, 0xcd9e8d57, v8, 0
	v_div_fixup_f32 v39, v0, s9, 1.0
	v_mov_b32_e32 v3, v5
	s_delay_alu instid0(VALU_DEP_3)
	v_xor3_b32 v0, v4, v2, v37
	v_xor3_b32 v2, v6, v7, v38
	s_branch .LBB78_6
.LBB78_4:                               ;   in Loop: Header=BB78_6 Depth=1
	s_or_b32 exec_lo, exec_lo, s1
	s_delay_alu instid0(VALU_DEP_1)
	v_mov_b32_e32 v17, v41
.LBB78_5:                               ;   in Loop: Header=BB78_6 Depth=1
	s_or_b32 exec_lo, exec_lo, s0
	v_lshlrev_b64 v[8:9], 1, v[12:13]
	v_cvt_f32_u32_e32 v5, v5
	v_cvt_f32_u32_e32 v4, v4
	;; [unrolled: 1-line block ×5, first 2 shown]
	v_add_co_u32 v43, vcc_lo, s10, v8
	v_add_co_ci_u32_e32 v44, vcc_lo, s11, v9, vcc_lo
	v_cvt_f32_u32_e32 v17, v17
	v_cvt_f32_u32_e32 v3, v3
	;; [unrolled: 1-line block ×3, first 2 shown]
	global_load_b128 v[43:46], v[43:44], off
	v_dual_fmaak_f32 v4, 0x2f800000, v4, 0x2f800000 :: v_dual_fmaak_f32 v5, 0x2f800000, v5, 0x2f800000
	v_dual_fmaak_f32 v42, 0x2f800000, v7, 0x2f800000 :: v_dual_fmaak_f32 v41, 0x2f800000, v41, 0x2f800000
	;; [unrolled: 1-line block ×4, first 2 shown]
	s_delay_alu instid0(VALU_DEP_4) | instskip(NEXT) | instid1(VALU_DEP_4)
	v_cmp_gt_f32_e64 s0, s9, v5
	v_cmp_gt_f32_e64 s2, s9, v42
	;; [unrolled: 1-line block ×3, first 2 shown]
	v_add_co_u32 v7, vcc_lo, s12, v8
	v_add_co_ci_u32_e32 v8, vcc_lo, s13, v9, vcc_lo
	v_cmp_gt_f32_e32 vcc_lo, s17, v4
	v_cndmask_b32_e64 v5, 0, 1, s0
	v_cmp_gt_f32_e64 s1, s17, v6
	v_cndmask_b32_e64 v9, 0, 1, s2
	v_cmp_gt_f32_e64 s3, s17, v17
	v_cmp_gt_f32_e64 s6, s9, v3
	v_cndmask_b32_e64 v49, 0, 1, s4
	v_cndmask_b32_e64 v4, 0, 1, vcc_lo
	v_cndmask_b32_e64 v6, 0, 1, s1
	v_cmp_gt_f32_e64 s5, s17, v16
	v_cndmask_b32_e64 v48, 0, 1, s3
	v_cndmask_b32_e64 v50, 0, 1, s6
	v_lshlrev_b16 v5, 8, v5
	v_lshlrev_b16 v9, 8, v9
	;; [unrolled: 1-line block ×3, first 2 shown]
	v_cndmask_b32_e64 v3, 0, 1.0, s6
	v_cndmask_b32_e64 v51, 0, 1, s5
	v_lshlrev_b16 v50, 8, v50
	v_or_b32_e32 v4, v4, v5
	v_or_b32_e32 v5, v6, v9
	;; [unrolled: 1-line block ×3, first 2 shown]
	v_cndmask_b32_e64 v17, 0, 1.0, s3
	v_cndmask_b32_e64 v41, 0, 1.0, s4
	;; [unrolled: 1-line block ×4, first 2 shown]
	v_or_b32_e32 v9, v51, v50
	v_cndmask_b32_e64 v48, 0, 1.0, s2
	v_cndmask_b32_e64 v42, 0, 1.0, vcc_lo
	v_cndmask_b32_e64 v52, 0, 1.0, s1
	s_waitcnt vmcnt(0)
	v_lshlrev_b32_e32 v53, 16, v46
	v_and_b32_e32 v46, 0xffff0000, v46
	v_lshlrev_b32_e32 v51, 16, v45
	v_lshlrev_b32_e32 v50, 16, v44
	v_and_b32_e32 v44, 0xffff0000, v44
	v_and_b32_e32 v45, 0xffff0000, v45
	v_mul_f32_e32 v3, v3, v46
	v_and_b32_e32 v49, 0xffff, v6
	v_lshlrev_b32_e32 v6, 16, v43
	v_dual_mul_f32 v16, v16, v53 :: v_dual_and_b32 v43, 0xffff0000, v43
	v_dual_mul_f32 v41, v41, v45 :: v_dual_and_b32 v4, 0xffff, v4
	s_delay_alu instid0(VALU_DEP_3) | instskip(NEXT) | instid1(VALU_DEP_3)
	v_dual_mul_f32 v6, v42, v6 :: v_dual_lshlrev_b32 v5, 16, v5
	v_dual_mul_f32 v43, v47, v43 :: v_dual_mul_f32 v42, v48, v44
	s_delay_alu instid0(VALU_DEP_4) | instskip(NEXT) | instid1(VALU_DEP_3)
	v_mul_f32_e32 v16, v39, v16
	v_mul_f32_e32 v6, v39, v6
	s_delay_alu instid0(VALU_DEP_3) | instskip(SKIP_2) | instid1(VALU_DEP_4)
	v_mul_f32_e32 v43, v39, v43
	v_mul_f32_e32 v17, v17, v51
	v_dual_mul_f32 v44, v52, v50 :: v_dual_lshlrev_b32 v9, 16, v9
	v_bfe_u32 v46, v6, 16, 1
	s_delay_alu instid0(VALU_DEP_4)
	v_bfe_u32 v45, v43, 16, 1
	v_cmp_o_f32_e32 vcc_lo, v43, v43
	v_bfe_u32 v53, v16, 16, 1
	v_mul_f32_e32 v44, v39, v44
	v_add3_u32 v46, v6, v46, 0x7fff
	v_add3_u32 v45, v43, v45, 0x7fff
	s_delay_alu instid0(VALU_DEP_4) | instskip(NEXT) | instid1(VALU_DEP_4)
	v_add3_u32 v53, v16, v53, 0x7fff
	v_bfe_u32 v48, v44, 16, 1
	s_delay_alu instid0(VALU_DEP_4) | instskip(NEXT) | instid1(VALU_DEP_4)
	v_lshrrev_b32_e32 v46, 16, v46
	v_lshrrev_b32_e32 v45, 16, v45
	v_mul_f32_e32 v42, v39, v42
	v_mul_f32_e32 v3, v39, v3
	v_add3_u32 v48, v44, v48, 0x7fff
	v_lshrrev_b32_e32 v53, 16, v53
	v_cndmask_b32_e32 v43, 0x7fc0, v45, vcc_lo
	v_bfe_u32 v47, v42, 16, 1
	v_cmp_o_f32_e32 vcc_lo, v42, v42
	v_lshrrev_b32_e32 v48, 16, v48
	v_bfe_u32 v52, v3, 16, 1
	s_delay_alu instid0(VALU_DEP_4) | instskip(NEXT) | instid1(VALU_DEP_2)
	v_add3_u32 v47, v42, v47, 0x7fff
	v_add3_u32 v52, v3, v52, 0x7fff
	s_delay_alu instid0(VALU_DEP_2) | instskip(SKIP_1) | instid1(VALU_DEP_3)
	v_lshrrev_b32_e32 v47, 16, v47
	v_mul_f32_e32 v17, v39, v17
	v_lshrrev_b32_e32 v52, 16, v52
	s_delay_alu instid0(VALU_DEP_3) | instskip(SKIP_4) | instid1(VALU_DEP_3)
	v_cndmask_b32_e32 v42, 0x7fc0, v47, vcc_lo
	v_cmp_o_f32_e32 vcc_lo, v44, v44
	v_mul_f32_e32 v41, v39, v41
	v_bfe_u32 v51, v17, 16, 1
	v_cndmask_b32_e32 v44, 0x7fc0, v48, vcc_lo
	v_bfe_u32 v50, v41, 16, 1
	v_cmp_o_f32_e32 vcc_lo, v41, v41
	s_delay_alu instid0(VALU_DEP_4) | instskip(NEXT) | instid1(VALU_DEP_3)
	v_add3_u32 v51, v17, v51, 0x7fff
	v_add3_u32 v50, v41, v50, 0x7fff
	s_delay_alu instid0(VALU_DEP_2) | instskip(NEXT) | instid1(VALU_DEP_2)
	v_lshrrev_b32_e32 v51, 16, v51
	v_lshrrev_b32_e32 v50, 16, v50
	s_delay_alu instid0(VALU_DEP_1)
	v_cndmask_b32_e32 v41, 0x7fc0, v50, vcc_lo
	v_cmp_o_f32_e32 vcc_lo, v3, v3
	v_cndmask_b32_e32 v3, 0x7fc0, v52, vcc_lo
	v_cmp_o_f32_e32 vcc_lo, v16, v16
	v_or_b32_e32 v16, v4, v5
	v_perm_b32 v4, v42, v44, 0x5040100
	v_cndmask_b32_e32 v45, 0x7fc0, v53, vcc_lo
	v_cmp_o_f32_e32 vcc_lo, v17, v17
	v_cndmask_b32_e32 v17, 0x7fc0, v51, vcc_lo
	v_cmp_o_f32_e32 vcc_lo, v6, v6
	s_delay_alu instid0(VALU_DEP_4) | instskip(NEXT) | instid1(VALU_DEP_3)
	v_perm_b32 v6, v3, v45, 0x5040100
	v_perm_b32 v5, v41, v17, 0x5040100
	v_cndmask_b32_e32 v46, 0x7fc0, v46, vcc_lo
	v_or_b32_e32 v17, v49, v9
	s_delay_alu instid0(VALU_DEP_2)
	v_perm_b32 v3, v43, v46, 0x5040100
	global_store_b128 v[7:8], v[3:6], off
	global_store_b64 v12, v[16:17], s[14:15]
	v_dual_mov_b32 v3, v15 :: v_dual_add_nc_u32 v12, s16, v12
	s_waitcnt_vscnt null, 0x0
	s_barrier
	buffer_gl0_inv
	v_cmp_le_u32_e32 vcc_lo, s8, v12
	s_or_b32 s7, vcc_lo, s7
	s_delay_alu instid0(SALU_CYCLE_1)
	s_and_not1_b32 exec_lo, exec_lo, s7
	s_cbranch_execz .LBB78_25
.LBB78_6:                               ; =>This Inner Loop Header: Depth=1
	v_add_co_u32 v6, vcc_lo, v19, 1
	s_delay_alu instid0(VALU_DEP_1) | instskip(SKIP_2) | instid1(VALU_DEP_1)
	v_cndmask_b32_e64 v4, 0, 1, vcc_lo
	v_add_co_ci_u32_e32 v15, vcc_lo, 0, v18, vcc_lo
	s_mov_b32 s0, exec_lo
	v_cmp_eq_u32_e32 vcc_lo, 0, v15
	s_delay_alu instid0(VALU_DEP_3) | instskip(SKIP_1) | instid1(VALU_DEP_2)
	v_cndmask_b32_e32 v7, 0, v4, vcc_lo
	v_mad_u64_u32 v[4:5], null, 0xd2511f53, v6, 0
	v_add_nc_u32_e32 v14, v7, v14
	s_delay_alu instid0(VALU_DEP_2) | instskip(NEXT) | instid1(VALU_DEP_2)
	v_xor_b32_e32 v8, v5, v11
	v_cmp_eq_u32_e32 vcc_lo, 0, v14
	v_cndmask_b32_e32 v7, 0, v7, vcc_lo
	v_mad_u64_u32 v[5:6], null, 0xcd9e8d57, v14, 0
	s_delay_alu instid0(VALU_DEP_2) | instskip(NEXT) | instid1(VALU_DEP_2)
	v_add_nc_u32_e32 v16, v7, v40
	v_xor3_b32 v17, v6, v10, v15
	s_delay_alu instid0(VALU_DEP_2) | instskip(NEXT) | instid1(VALU_DEP_1)
	v_xor_b32_e32 v8, v16, v8
	v_mad_u64_u32 v[6:7], null, 0xcd9e8d57, v8, 0
	s_delay_alu instid0(VALU_DEP_3) | instskip(NEXT) | instid1(VALU_DEP_2)
	v_mad_u64_u32 v[8:9], null, 0xd2511f53, v17, 0
	v_xor3_b32 v7, v21, v7, v5
	s_delay_alu instid0(VALU_DEP_2) | instskip(NEXT) | instid1(VALU_DEP_2)
	v_xor3_b32 v9, v20, v9, v4
	v_mad_u64_u32 v[4:5], null, 0xd2511f53, v7, 0
	s_delay_alu instid0(VALU_DEP_2) | instskip(NEXT) | instid1(VALU_DEP_2)
	v_mad_u64_u32 v[17:18], null, 0xcd9e8d57, v9, 0
	v_xor3_b32 v7, v23, v5, v8
	s_delay_alu instid0(VALU_DEP_2) | instskip(NEXT) | instid1(VALU_DEP_2)
	v_xor3_b32 v9, v22, v18, v6
	v_mad_u64_u32 v[5:6], null, 0xcd9e8d57, v7, 0
	s_delay_alu instid0(VALU_DEP_2) | instskip(NEXT) | instid1(VALU_DEP_2)
	v_mad_u64_u32 v[7:8], null, 0xd2511f53, v9, 0
	v_xor3_b32 v6, v25, v6, v17
	s_delay_alu instid0(VALU_DEP_2) | instskip(NEXT) | instid1(VALU_DEP_2)
	v_xor3_b32 v4, v24, v8, v4
	v_mad_u64_u32 v[8:9], null, 0xd2511f53, v6, 0
	s_delay_alu instid0(VALU_DEP_2) | instskip(NEXT) | instid1(VALU_DEP_2)
	v_mad_u64_u32 v[17:18], null, 0xcd9e8d57, v4, 0
	v_xor3_b32 v6, v27, v9, v7
	s_delay_alu instid0(VALU_DEP_2) | instskip(NEXT) | instid1(VALU_DEP_2)
	v_xor3_b32 v9, v26, v18, v5
	v_mad_u64_u32 v[4:5], null, 0xcd9e8d57, v6, 0
	s_delay_alu instid0(VALU_DEP_2) | instskip(NEXT) | instid1(VALU_DEP_2)
	v_mad_u64_u32 v[6:7], null, 0xd2511f53, v9, 0
	v_xor3_b32 v5, v29, v5, v17
	s_delay_alu instid0(VALU_DEP_2) | instskip(NEXT) | instid1(VALU_DEP_2)
	v_xor3_b32 v9, v28, v7, v8
	v_mad_u64_u32 v[7:8], null, 0xd2511f53, v5, 0
	s_delay_alu instid0(VALU_DEP_2) | instskip(NEXT) | instid1(VALU_DEP_2)
	v_mad_u64_u32 v[17:18], null, 0xcd9e8d57, v9, 0
	v_xor3_b32 v6, v31, v8, v6
	s_delay_alu instid0(VALU_DEP_2) | instskip(NEXT) | instid1(VALU_DEP_2)
	v_xor3_b32 v18, v30, v18, v4
	v_mad_u64_u32 v[4:5], null, 0xcd9e8d57, v6, 0
	s_delay_alu instid0(VALU_DEP_2) | instskip(NEXT) | instid1(VALU_DEP_2)
	v_mad_u64_u32 v[8:9], null, 0xd2511f53, v18, 0
	v_xor3_b32 v17, v32, v5, v17
	s_delay_alu instid0(VALU_DEP_2) | instskip(NEXT) | instid1(VALU_DEP_2)
	v_xor3_b32 v7, v33, v9, v7
	v_mad_u64_u32 v[5:6], null, 0xd2511f53, v17, 0
	s_delay_alu instid0(VALU_DEP_2) | instskip(NEXT) | instid1(VALU_DEP_2)
	v_mad_u64_u32 v[40:41], null, 0xcd9e8d57, v7, 0
	v_xor3_b32 v6, v35, v6, v8
	s_delay_alu instid0(VALU_DEP_2) | instskip(NEXT) | instid1(VALU_DEP_2)
	v_xor3_b32 v4, v34, v41, v4
	v_mad_u64_u32 v[8:9], null, 0xcd9e8d57, v6, 0
	s_delay_alu instid0(VALU_DEP_2) | instskip(NEXT) | instid1(VALU_DEP_2)
	v_mad_u64_u32 v[17:18], null, 0xd2511f53, v4, 0
	v_xor3_b32 v41, v9, v40, v37
	s_delay_alu instid0(VALU_DEP_2)
	v_xor3_b32 v9, v18, v5, v38
                                        ; implicit-def: $vgpr4_vgpr5_vgpr6_vgpr7
	v_cmpx_lt_i32_e32 1, v36
	s_xor_b32 s0, exec_lo, s0
	s_cbranch_execz .LBB78_12
; %bb.7:                                ;   in Loop: Header=BB78_6 Depth=1
	s_mov_b32 s1, exec_lo
                                        ; implicit-def: $vgpr4_vgpr5_vgpr6_vgpr7
	v_cmpx_lt_i32_e32 2, v36
	s_xor_b32 s1, exec_lo, s1
; %bb.8:                                ;   in Loop: Header=BB78_6 Depth=1
	v_dual_mov_b32 v6, v3 :: v_dual_mov_b32 v7, v41
                                        ; implicit-def: $vgpr0_vgpr1_vgpr2_vgpr3
	s_delay_alu instid0(VALU_DEP_1) | instskip(NEXT) | instid1(VALU_DEP_2)
	v_mov_b32_e32 v4, v6
	v_dual_mov_b32 v5, v7 :: v_dual_mov_b32 v6, v8
	v_mov_b32_e32 v7, v9
; %bb.9:                                ;   in Loop: Header=BB78_6 Depth=1
	s_and_not1_saveexec_b32 s1, s1
; %bb.10:                               ;   in Loop: Header=BB78_6 Depth=1
	v_dual_mov_b32 v4, v2 :: v_dual_mov_b32 v5, v3
	v_dual_mov_b32 v6, v41 :: v_dual_mov_b32 v7, v8
; %bb.11:                               ;   in Loop: Header=BB78_6 Depth=1
	s_or_b32 exec_lo, exec_lo, s1
                                        ; implicit-def: $vgpr0_vgpr1_vgpr2_vgpr3
.LBB78_12:                              ;   in Loop: Header=BB78_6 Depth=1
	s_and_not1_saveexec_b32 s0, s0
	s_cbranch_execz .LBB78_16
; %bb.13:                               ;   in Loop: Header=BB78_6 Depth=1
	s_mov_b32 s1, exec_lo
	v_cmpx_eq_u32_e32 1, v36
; %bb.14:                               ;   in Loop: Header=BB78_6 Depth=1
	v_dual_mov_b32 v0, v1 :: v_dual_mov_b32 v1, v2
	v_dual_mov_b32 v2, v3 :: v_dual_mov_b32 v3, v41
; %bb.15:                               ;   in Loop: Header=BB78_6 Depth=1
	s_or_b32 exec_lo, exec_lo, s1
	s_delay_alu instid0(VALU_DEP_1) | instskip(NEXT) | instid1(VALU_DEP_3)
	v_dual_mov_b32 v7, v3 :: v_dual_mov_b32 v6, v2
	v_dual_mov_b32 v5, v1 :: v_dual_mov_b32 v4, v0
.LBB78_16:                              ;   in Loop: Header=BB78_6 Depth=1
	s_or_b32 exec_lo, exec_lo, s0
	v_add_nc_u32_e32 v19, 2, v19
	s_mov_b32 s0, exec_lo
	s_delay_alu instid0(VALU_DEP_1) | instskip(SKIP_2) | instid1(VALU_DEP_1)
	v_cmp_eq_u32_e32 vcc_lo, 0, v19
	v_cndmask_b32_e64 v0, 0, 1, vcc_lo
	v_add_co_ci_u32_e32 v18, vcc_lo, 0, v15, vcc_lo
	v_cmp_eq_u32_e32 vcc_lo, 0, v18
	s_delay_alu instid0(VALU_DEP_3) | instskip(NEXT) | instid1(VALU_DEP_1)
	v_cndmask_b32_e32 v0, 0, v0, vcc_lo
	v_add_nc_u32_e32 v14, v0, v14
	s_delay_alu instid0(VALU_DEP_1) | instskip(SKIP_2) | instid1(VALU_DEP_2)
	v_cmp_eq_u32_e32 vcc_lo, 0, v14
	v_mad_u64_u32 v[2:3], null, 0xcd9e8d57, v14, 0
	v_cndmask_b32_e32 v0, 0, v0, vcc_lo
	v_xor3_b32 v3, v3, v10, v18
	s_delay_alu instid0(VALU_DEP_2) | instskip(SKIP_1) | instid1(VALU_DEP_3)
	v_add_nc_u32_e32 v40, v0, v16
	v_mad_u64_u32 v[0:1], null, 0xd2511f53, v19, 0
	v_mad_u64_u32 v[42:43], null, 0xd2511f53, v3, 0
	s_delay_alu instid0(VALU_DEP_2) | instskip(NEXT) | instid1(VALU_DEP_1)
	v_xor_b32_e32 v1, v1, v11
	v_xor_b32_e32 v1, v40, v1
	s_delay_alu instid0(VALU_DEP_1) | instskip(NEXT) | instid1(VALU_DEP_1)
	v_mad_u64_u32 v[15:16], null, 0xcd9e8d57, v1, 0
	v_xor3_b32 v2, v21, v16, v2
	v_xor3_b32 v16, v20, v43, v0
	s_delay_alu instid0(VALU_DEP_2) | instskip(NEXT) | instid1(VALU_DEP_2)
	v_mad_u64_u32 v[0:1], null, 0xd2511f53, v2, 0
	v_mad_u64_u32 v[2:3], null, 0xcd9e8d57, v16, 0
	s_delay_alu instid0(VALU_DEP_2) | instskip(NEXT) | instid1(VALU_DEP_2)
	v_xor3_b32 v1, v23, v1, v42
	v_xor3_b32 v3, v22, v3, v15
	s_delay_alu instid0(VALU_DEP_2) | instskip(NEXT) | instid1(VALU_DEP_2)
	v_mad_u64_u32 v[15:16], null, 0xcd9e8d57, v1, 0
	v_mad_u64_u32 v[42:43], null, 0xd2511f53, v3, 0
	s_delay_alu instid0(VALU_DEP_2) | instskip(NEXT) | instid1(VALU_DEP_2)
	v_xor3_b32 v2, v25, v16, v2
	v_xor3_b32 v16, v24, v43, v0
	s_delay_alu instid0(VALU_DEP_2) | instskip(NEXT) | instid1(VALU_DEP_2)
	v_mad_u64_u32 v[0:1], null, 0xd2511f53, v2, 0
	v_mad_u64_u32 v[2:3], null, 0xcd9e8d57, v16, 0
	s_delay_alu instid0(VALU_DEP_2) | instskip(NEXT) | instid1(VALU_DEP_2)
	v_xor3_b32 v1, v27, v1, v42
	v_xor3_b32 v3, v26, v3, v15
	s_delay_alu instid0(VALU_DEP_2) | instskip(NEXT) | instid1(VALU_DEP_2)
	v_mad_u64_u32 v[15:16], null, 0xcd9e8d57, v1, 0
	v_mad_u64_u32 v[42:43], null, 0xd2511f53, v3, 0
	s_delay_alu instid0(VALU_DEP_2) | instskip(NEXT) | instid1(VALU_DEP_2)
	v_xor3_b32 v2, v29, v16, v2
	v_xor3_b32 v16, v28, v43, v0
	s_delay_alu instid0(VALU_DEP_2) | instskip(NEXT) | instid1(VALU_DEP_2)
	v_mad_u64_u32 v[0:1], null, 0xd2511f53, v2, 0
	v_mad_u64_u32 v[2:3], null, 0xcd9e8d57, v16, 0
	s_delay_alu instid0(VALU_DEP_2) | instskip(NEXT) | instid1(VALU_DEP_2)
	v_xor3_b32 v1, v31, v1, v42
	v_xor3_b32 v3, v30, v3, v15
	s_delay_alu instid0(VALU_DEP_2) | instskip(NEXT) | instid1(VALU_DEP_2)
	v_mad_u64_u32 v[15:16], null, 0xcd9e8d57, v1, 0
	v_mad_u64_u32 v[42:43], null, 0xd2511f53, v3, 0
	s_delay_alu instid0(VALU_DEP_2) | instskip(NEXT) | instid1(VALU_DEP_2)
	v_xor3_b32 v1, v32, v16, v2
	v_xor3_b32 v2, v33, v43, v0
	s_delay_alu instid0(VALU_DEP_2) | instskip(NEXT) | instid1(VALU_DEP_2)
	v_mad_u64_u32 v[43:44], null, 0xd2511f53, v1, 0
	v_mad_u64_u32 v[0:1], null, 0xcd9e8d57, v2, 0
	s_delay_alu instid0(VALU_DEP_2) | instskip(NEXT) | instid1(VALU_DEP_2)
	v_xor3_b32 v3, v35, v44, v42
	v_xor3_b32 v42, v34, v1, v15
	s_delay_alu instid0(VALU_DEP_2) | instskip(NEXT) | instid1(VALU_DEP_2)
	v_mad_u64_u32 v[1:2], null, 0xcd9e8d57, v3, 0
	v_mad_u64_u32 v[15:16], null, 0xd2511f53, v42, 0
                                        ; implicit-def: $vgpr3
                                        ; implicit-def: $vgpr42
	s_delay_alu instid0(VALU_DEP_2) | instskip(NEXT) | instid1(VALU_DEP_2)
	v_xor3_b32 v0, v2, v0, v37
	v_xor3_b32 v2, v16, v43, v38
                                        ; implicit-def: $vgpr16
	v_cmpx_lt_i32_e32 1, v36
	s_xor_b32 s0, exec_lo, s0
	s_cbranch_execz .LBB78_22
; %bb.17:                               ;   in Loop: Header=BB78_6 Depth=1
	s_mov_b32 s1, exec_lo
	v_cmpx_lt_i32_e32 2, v36
	s_xor_b32 s1, exec_lo, s1
; %bb.18:                               ;   in Loop: Header=BB78_6 Depth=1
                                        ; implicit-def: $vgpr9
; %bb.19:                               ;   in Loop: Header=BB78_6 Depth=1
	s_delay_alu instid0(SALU_CYCLE_1)
	s_or_saveexec_b32 s1, s1
	v_dual_mov_b32 v3, v2 :: v_dual_mov_b32 v16, v1
	v_mov_b32_e32 v42, v0
	s_xor_b32 exec_lo, exec_lo, s1
; %bb.20:                               ;   in Loop: Header=BB78_6 Depth=1
	v_dual_mov_b32 v3, v1 :: v_dual_mov_b32 v16, v0
	v_mov_b32_e32 v42, v17
	v_mov_b32_e32 v17, v9
; %bb.21:                               ;   in Loop: Header=BB78_6 Depth=1
	s_or_b32 exec_lo, exec_lo, s1
                                        ; implicit-def: $vgpr9
                                        ; implicit-def: $vgpr41
.LBB78_22:                              ;   in Loop: Header=BB78_6 Depth=1
	s_and_not1_saveexec_b32 s0, s0
	s_cbranch_execz .LBB78_5
; %bb.23:                               ;   in Loop: Header=BB78_6 Depth=1
	s_delay_alu instid0(VALU_DEP_1)
	v_dual_mov_b32 v3, v17 :: v_dual_mov_b32 v42, v8
	v_mov_b32_e32 v16, v9
	s_mov_b32 s1, exec_lo
	v_cmpx_eq_u32_e32 1, v36
	s_cbranch_execz .LBB78_4
; %bb.24:                               ;   in Loop: Header=BB78_6 Depth=1
	v_dual_mov_b32 v3, v0 :: v_dual_mov_b32 v16, v17
	v_dual_mov_b32 v42, v9 :: v_dual_mov_b32 v41, v8
	s_branch .LBB78_4
.LBB78_25:
	s_endpgm
	.section	.rodata,"a",@progbits
	.p2align	6, 0x0
	.amdhsa_kernel _ZN2at6native12_GLOBAL__N_124fused_dropout_kernel_vecIN3c108BFloat16EfjLi1ELi8EhEEvNS_4cuda6detail10TensorInfoIKT_T1_EENS7_IS8_SA_EENS7_IT4_SA_EESA_T0_NS_15PhiloxCudaStateE
		.amdhsa_group_segment_fixed_size 0
		.amdhsa_private_segment_fixed_size 0
		.amdhsa_kernarg_size 944
		.amdhsa_user_sgpr_count 15
		.amdhsa_user_sgpr_dispatch_ptr 0
		.amdhsa_user_sgpr_queue_ptr 0
		.amdhsa_user_sgpr_kernarg_segment_ptr 1
		.amdhsa_user_sgpr_dispatch_id 0
		.amdhsa_user_sgpr_private_segment_size 0
		.amdhsa_wavefront_size32 1
		.amdhsa_uses_dynamic_stack 0
		.amdhsa_enable_private_segment 0
		.amdhsa_system_sgpr_workgroup_id_x 1
		.amdhsa_system_sgpr_workgroup_id_y 0
		.amdhsa_system_sgpr_workgroup_id_z 0
		.amdhsa_system_sgpr_workgroup_info 0
		.amdhsa_system_vgpr_workitem_id 0
		.amdhsa_next_free_vgpr 54
		.amdhsa_next_free_sgpr 18
		.amdhsa_reserve_vcc 1
		.amdhsa_float_round_mode_32 0
		.amdhsa_float_round_mode_16_64 0
		.amdhsa_float_denorm_mode_32 3
		.amdhsa_float_denorm_mode_16_64 3
		.amdhsa_dx10_clamp 1
		.amdhsa_ieee_mode 1
		.amdhsa_fp16_overflow 0
		.amdhsa_workgroup_processor_mode 1
		.amdhsa_memory_ordered 1
		.amdhsa_forward_progress 0
		.amdhsa_shared_vgpr_count 0
		.amdhsa_exception_fp_ieee_invalid_op 0
		.amdhsa_exception_fp_denorm_src 0
		.amdhsa_exception_fp_ieee_div_zero 0
		.amdhsa_exception_fp_ieee_overflow 0
		.amdhsa_exception_fp_ieee_underflow 0
		.amdhsa_exception_fp_ieee_inexact 0
		.amdhsa_exception_int_div_zero 0
	.end_amdhsa_kernel
	.section	.text._ZN2at6native12_GLOBAL__N_124fused_dropout_kernel_vecIN3c108BFloat16EfjLi1ELi8EhEEvNS_4cuda6detail10TensorInfoIKT_T1_EENS7_IS8_SA_EENS7_IT4_SA_EESA_T0_NS_15PhiloxCudaStateE,"axG",@progbits,_ZN2at6native12_GLOBAL__N_124fused_dropout_kernel_vecIN3c108BFloat16EfjLi1ELi8EhEEvNS_4cuda6detail10TensorInfoIKT_T1_EENS7_IS8_SA_EENS7_IT4_SA_EESA_T0_NS_15PhiloxCudaStateE,comdat
.Lfunc_end78:
	.size	_ZN2at6native12_GLOBAL__N_124fused_dropout_kernel_vecIN3c108BFloat16EfjLi1ELi8EhEEvNS_4cuda6detail10TensorInfoIKT_T1_EENS7_IS8_SA_EENS7_IT4_SA_EESA_T0_NS_15PhiloxCudaStateE, .Lfunc_end78-_ZN2at6native12_GLOBAL__N_124fused_dropout_kernel_vecIN3c108BFloat16EfjLi1ELi8EhEEvNS_4cuda6detail10TensorInfoIKT_T1_EENS7_IS8_SA_EENS7_IT4_SA_EESA_T0_NS_15PhiloxCudaStateE
                                        ; -- End function
	.section	.AMDGPU.csdata,"",@progbits
; Kernel info:
; codeLenInByte = 3348
; NumSgprs: 20
; NumVgprs: 54
; ScratchSize: 0
; MemoryBound: 0
; FloatMode: 240
; IeeeMode: 1
; LDSByteSize: 0 bytes/workgroup (compile time only)
; SGPRBlocks: 2
; VGPRBlocks: 6
; NumSGPRsForWavesPerEU: 20
; NumVGPRsForWavesPerEU: 54
; Occupancy: 16
; WaveLimiterHint : 1
; COMPUTE_PGM_RSRC2:SCRATCH_EN: 0
; COMPUTE_PGM_RSRC2:USER_SGPR: 15
; COMPUTE_PGM_RSRC2:TRAP_HANDLER: 0
; COMPUTE_PGM_RSRC2:TGID_X_EN: 1
; COMPUTE_PGM_RSRC2:TGID_Y_EN: 0
; COMPUTE_PGM_RSRC2:TGID_Z_EN: 0
; COMPUTE_PGM_RSRC2:TIDIG_COMP_CNT: 0
	.section	.text._ZN2at6native12_GLOBAL__N_124fused_dropout_kernel_vecIN3c108BFloat16EfjLi1ELi4EhEEvNS_4cuda6detail10TensorInfoIKT_T1_EENS7_IS8_SA_EENS7_IT4_SA_EESA_T0_NS_15PhiloxCudaStateE,"axG",@progbits,_ZN2at6native12_GLOBAL__N_124fused_dropout_kernel_vecIN3c108BFloat16EfjLi1ELi4EhEEvNS_4cuda6detail10TensorInfoIKT_T1_EENS7_IS8_SA_EENS7_IT4_SA_EESA_T0_NS_15PhiloxCudaStateE,comdat
	.globl	_ZN2at6native12_GLOBAL__N_124fused_dropout_kernel_vecIN3c108BFloat16EfjLi1ELi4EhEEvNS_4cuda6detail10TensorInfoIKT_T1_EENS7_IS8_SA_EENS7_IT4_SA_EESA_T0_NS_15PhiloxCudaStateE ; -- Begin function _ZN2at6native12_GLOBAL__N_124fused_dropout_kernel_vecIN3c108BFloat16EfjLi1ELi4EhEEvNS_4cuda6detail10TensorInfoIKT_T1_EENS7_IS8_SA_EENS7_IT4_SA_EESA_T0_NS_15PhiloxCudaStateE
	.p2align	8
	.type	_ZN2at6native12_GLOBAL__N_124fused_dropout_kernel_vecIN3c108BFloat16EfjLi1ELi4EhEEvNS_4cuda6detail10TensorInfoIKT_T1_EENS7_IS8_SA_EENS7_IT4_SA_EESA_T0_NS_15PhiloxCudaStateE,@function
_ZN2at6native12_GLOBAL__N_124fused_dropout_kernel_vecIN3c108BFloat16EfjLi1ELi4EhEEvNS_4cuda6detail10TensorInfoIKT_T1_EENS7_IS8_SA_EENS7_IT4_SA_EESA_T0_NS_15PhiloxCudaStateE: ; @_ZN2at6native12_GLOBAL__N_124fused_dropout_kernel_vecIN3c108BFloat16EfjLi1ELi4EhEEvNS_4cuda6detail10TensorInfoIKT_T1_EENS7_IS8_SA_EENS7_IT4_SA_EESA_T0_NS_15PhiloxCudaStateE
; %bb.0:
	s_clause 0x1
	s_load_b128 s[4:7], s[0:1], 0x290
	s_load_b32 s2, s[0:1], 0x2a8
	s_waitcnt lgkmcnt(0)
	v_dual_mov_b32 v1, s6 :: v_dual_mov_b32 v2, s7
	v_dual_mov_b32 v9, s5 :: v_dual_mov_b32 v8, s4
	s_bitcmp0_b32 s2, 0
	s_cbranch_scc1 .LBB79_2
; %bb.1:
	v_dual_mov_b32 v1, s6 :: v_dual_mov_b32 v2, s7
	v_dual_mov_b32 v3, s4 :: v_dual_mov_b32 v4, s5
	s_load_b64 s[2:3], s[0:1], 0x2a0
	flat_load_b64 v[1:2], v[1:2]
	flat_load_b64 v[8:9], v[3:4]
	s_waitcnt vmcnt(1) lgkmcnt(0)
	v_add_co_u32 v1, vcc_lo, v1, s2
	v_add_co_ci_u32_e32 v2, vcc_lo, s3, v2, vcc_lo
.LBB79_2:
	s_clause 0x1
	s_load_b32 s6, s[0:1], 0x2bc
	s_load_b64 s[4:5], s[0:1], 0x288
	s_add_u32 s2, s0, 0x2b0
	s_addc_u32 s3, s1, 0
	s_waitcnt lgkmcnt(0)
	s_and_b32 s12, s6, 0xffff
	s_mov_b32 s6, exec_lo
	v_mad_u64_u32 v[10:11], null, s15, s12, v[0:1]
	s_delay_alu instid0(VALU_DEP_1) | instskip(NEXT) | instid1(VALU_DEP_1)
	v_lshlrev_b32_e32 v11, 2, v10
	v_cmpx_gt_u32_e64 s4, v11
	s_cbranch_execz .LBB79_15
; %bb.3:
	v_mad_u64_u32 v[3:4], null, 0xcd9e8d57, v10, 0
	v_alignbit_b32 v15, v2, v1, 2
	v_lshrrev_b32_e32 v16, 2, v2
	s_waitcnt vmcnt(0)
	v_mov_b32_e32 v32, v9
	v_add_co_u32 v18, null, 0x9e3779b9, v8
	v_mad_u64_u32 v[5:6], null, 0xd2511f53, v15, 0
	v_xor3_b32 v0, v8, v4, v16
	s_delay_alu instid0(VALU_DEP_4) | instskip(SKIP_1) | instid1(VALU_DEP_3)
	v_add_co_u32 v17, null, 0xbb67ae85, v32
	v_add_co_u32 v19, null, 0x3c6ef372, v8
	v_mad_u64_u32 v[12:13], null, 0xd2511f53, v0, 0
	v_xor_b32_e32 v0, v6, v9
	v_add_co_u32 v20, null, 0x76cf5d0a, v32
	v_add_co_u32 v21, null, 0x32370b8f, v32
	s_delay_alu instid0(VALU_DEP_3) | instskip(SKIP_3) | instid1(VALU_DEP_3)
	v_mad_u64_u32 v[6:7], null, 0xcd9e8d57, v0, 0
	v_xor3_b32 v0, v17, v13, v5
	v_add_co_u32 v22, null, 0xdaa66d2b, v8
	v_add_co_u32 v23, null, 0x78dde6e4, v8
	v_mad_u64_u32 v[4:5], null, 0xcd9e8d57, v0, 0
	v_xor3_b32 v0, v7, v18, v3
	v_add_co_u32 v24, null, 0xed9eba14, v32
	v_add_co_u32 v25, null, 0xa9066899, v32
	s_delay_alu instid0(VALU_DEP_3) | instskip(SKIP_3) | instid1(VALU_DEP_3)
	v_mad_u64_u32 v[2:3], null, 0xd2511f53, v0, 0
	v_xor3_b32 v0, v19, v5, v6
	v_add_co_u32 v26, null, 0x1715609d, v8
	v_div_scale_f32 v33, null, s5, s5, 1.0
	v_mad_u64_u32 v[5:6], null, 0xd2511f53, v0, 0
	v_xor3_b32 v0, v3, v20, v12
	s_delay_alu instid0(VALU_DEP_3) | instskip(SKIP_2) | instid1(VALU_DEP_3)
	v_rcp_f32_e32 v34, v33
	v_add_co_u32 v27, null, 0xb54cda56, v8
	v_add_co_u32 v28, null, 0x646e171e, v32
	v_mad_u64_u32 v[12:13], null, 0xcd9e8d57, v0, 0
	v_xor3_b32 v0, v21, v6, v2
	v_add_co_u32 v29, null, 0x1fd5c5a3, v32
	v_add_co_u32 v30, null, 0x5384540f, v8
	s_delay_alu instid0(VALU_DEP_3)
	v_mad_u64_u32 v[2:3], null, 0xcd9e8d57, v0, 0
	v_xor3_b32 v0, v13, v22, v4
	s_load_b32 s2, s[2:3], 0x0
	v_add_co_u32 v31, null, 0xf1bbcdc8, v8
	s_clause 0x2
	s_load_b64 s[6:7], s[0:1], 0x0
	s_load_b64 s[8:9], s[0:1], 0xd8
	;; [unrolled: 1-line block ×3, first 2 shown]
	v_mad_u64_u32 v[6:7], null, 0xd2511f53, v0, 0
	v_xor3_b32 v0, v23, v3, v12
	s_mov_b32 s3, 0
	s_delay_alu instid0(VALU_DEP_1) | instskip(NEXT) | instid1(VALU_DEP_3)
	v_mad_u64_u32 v[3:4], null, 0xd2511f53, v0, 0
	v_xor3_b32 v0, v7, v24, v5
	s_delay_alu instid0(VALU_DEP_1) | instskip(NEXT) | instid1(VALU_DEP_3)
	v_mad_u64_u32 v[12:13], null, 0xcd9e8d57, v0, 0
	v_xor3_b32 v0, v25, v4, v6
	s_waitcnt lgkmcnt(0)
	s_mul_i32 s2, s2, s12
	s_delay_alu instid0(SALU_CYCLE_1) | instskip(NEXT) | instid1(VALU_DEP_1)
	s_lshl_b32 s12, s2, 2
	v_mad_u64_u32 v[4:5], null, 0xcd9e8d57, v0, 0
	s_delay_alu instid0(VALU_DEP_3) | instskip(SKIP_1) | instid1(VALU_DEP_2)
	v_xor3_b32 v0, v13, v26, v2
	v_fma_f32 v2, -v33, v34, 1.0
	v_mad_u64_u32 v[6:7], null, 0xd2511f53, v0, 0
	s_delay_alu instid0(VALU_DEP_4) | instskip(NEXT) | instid1(VALU_DEP_3)
	v_xor3_b32 v0, v27, v5, v12
	v_fmac_f32_e32 v34, v2, v34
	v_div_scale_f32 v5, vcc_lo, 1.0, s5, 1.0
	s_delay_alu instid0(VALU_DEP_3) | instskip(SKIP_1) | instid1(VALU_DEP_3)
	v_mad_u64_u32 v[12:13], null, 0xd2511f53, v0, 0
	v_xor3_b32 v0, v7, v28, v3
	v_mul_f32_e32 v35, v5, v34
	s_delay_alu instid0(VALU_DEP_2) | instskip(NEXT) | instid1(VALU_DEP_4)
	v_mad_u64_u32 v[2:3], null, 0xcd9e8d57, v0, 0
	v_xor3_b32 v0, v29, v13, v6
	s_delay_alu instid0(VALU_DEP_1) | instskip(NEXT) | instid1(VALU_DEP_3)
	v_mad_u64_u32 v[13:14], null, 0xcd9e8d57, v0, 0
	v_xor3_b32 v0, v3, v30, v4
	v_fma_f32 v3, -v33, v35, v5
	s_delay_alu instid0(VALU_DEP_2) | instskip(NEXT) | instid1(VALU_DEP_2)
	v_mad_u64_u32 v[37:38], null, 0xd2511f53, v0, 0
	v_fmac_f32_e32 v35, v3, v34
	v_add_co_u32 v32, null, 0xdb3d7428, v32
	v_xor3_b32 v0, v31, v14, v2
	s_delay_alu instid0(VALU_DEP_3) | instskip(NEXT) | instid1(VALU_DEP_3)
	v_fma_f32 v3, -v33, v35, v5
	v_xor3_b32 v2, v38, v32, v12
	v_mov_b32_e32 v12, 0
	s_delay_alu instid0(VALU_DEP_4) | instskip(SKIP_1) | instid1(VALU_DEP_4)
	v_mad_u64_u32 v[6:7], null, 0xd2511f53, v0, 0
	v_add_nc_u32_e32 v33, 0x8ff34781, v8
	v_mad_u64_u32 v[4:5], null, 0xcd9e8d57, v2, 0
	v_div_fmas_f32 v0, v3, v34, v35
	v_add_nc_u32_e32 v34, 0x96a522ad, v9
	v_and_b32_e32 v35, 3, v1
	s_delay_alu instid0(VALU_DEP_3) | instskip(SKIP_1) | instid1(VALU_DEP_4)
	v_div_fixup_f32 v36, v0, s5, 1.0
	v_xor3_b32 v3, v13, v5, v33
	v_xor3_b32 v5, v7, v37, v34
	v_mov_b32_e32 v37, v12
	s_branch .LBB79_6
.LBB79_4:                               ;   in Loop: Header=BB79_6 Depth=1
	s_or_b32 exec_lo, exec_lo, s1
.LBB79_5:                               ;   in Loop: Header=BB79_6 Depth=1
	s_delay_alu instid0(SALU_CYCLE_1)
	s_or_b32 exec_lo, exec_lo, s0
	v_lshlrev_b64 v[38:39], 1, v[11:12]
	v_cvt_f32_u32_e32 v3, v3
	v_cvt_f32_u32_e32 v4, v4
	;; [unrolled: 1-line block ×4, first 2 shown]
	s_delay_alu instid0(VALU_DEP_3) | instskip(SKIP_2) | instid1(VALU_DEP_4)
	v_dual_fmaak_f32 v3, 0x2f800000, v3, 0x2f800000 :: v_dual_fmaak_f32 v4, 0x2f800000, v4, 0x2f800000
	v_add_co_u32 v40, vcc_lo, s6, v38
	v_add_co_ci_u32_e32 v41, vcc_lo, s7, v39, vcc_lo
	v_dual_fmaak_f32 v5, 0x2f800000, v5, 0x2f800000 :: v_dual_fmaak_f32 v6, 0x2f800000, v6, 0x2f800000
	s_delay_alu instid0(VALU_DEP_4)
	v_cmp_gt_f32_e32 vcc_lo, s5, v3
	global_load_b64 v[40:41], v[40:41], off
	v_cmp_gt_f32_e64 s0, s5, v4
	v_cmp_gt_f32_e64 s1, s5, v5
	;; [unrolled: 1-line block ×3, first 2 shown]
	v_cndmask_b32_e64 v3, 0, 1.0, vcc_lo
	v_cndmask_b32_e64 v14, 0, 1, vcc_lo
	v_cndmask_b32_e64 v4, 0, 1.0, s0
	v_cndmask_b32_e64 v5, 0, 1.0, s1
	;; [unrolled: 1-line block ×3, first 2 shown]
	v_cndmask_b32_e64 v7, 0, 1, s0
	v_cndmask_b32_e64 v44, 0, 1, s2
	;; [unrolled: 1-line block ×3, first 2 shown]
	s_delay_alu instid0(VALU_DEP_3) | instskip(NEXT) | instid1(VALU_DEP_3)
	v_lshlrev_b16 v7, 8, v7
	v_lshlrev_b16 v44, 8, v44
	s_delay_alu instid0(VALU_DEP_2) | instskip(NEXT) | instid1(VALU_DEP_2)
	v_or_b32_e32 v7, v14, v7
	v_or_b32_e32 v14, v42, v44
	s_delay_alu instid0(VALU_DEP_2) | instskip(NEXT) | instid1(VALU_DEP_2)
	v_and_b32_e32 v7, 0xffff, v7
	v_lshlrev_b32_e32 v14, 16, v14
	s_delay_alu instid0(VALU_DEP_1) | instskip(SKIP_4) | instid1(VALU_DEP_1)
	v_or_b32_e32 v7, v7, v14
	s_waitcnt vmcnt(0)
	v_alignbit_b32 v43, v41, v40, 16
	v_lshlrev_b32_e32 v45, 16, v40
	v_and_b32_e32 v40, 0xffff0000, v40
	v_dual_mul_f32 v4, v4, v40 :: v_dual_and_b32 v41, 0xffff0000, v41
	s_delay_alu instid0(VALU_DEP_1) | instskip(NEXT) | instid1(VALU_DEP_2)
	v_dual_mul_f32 v6, v6, v41 :: v_dual_and_b32 v43, 0xffff0000, v43
	v_dual_mul_f32 v3, v3, v45 :: v_dual_mul_f32 v4, v36, v4
	s_delay_alu instid0(VALU_DEP_2) | instskip(NEXT) | instid1(VALU_DEP_2)
	v_dual_mul_f32 v6, v36, v6 :: v_dual_mul_f32 v5, v5, v43
	v_mul_f32_e32 v3, v36, v3
	s_delay_alu instid0(VALU_DEP_3) | instskip(NEXT) | instid1(VALU_DEP_3)
	v_bfe_u32 v43, v4, 16, 1
	v_bfe_u32 v40, v6, 16, 1
	v_cmp_o_f32_e32 vcc_lo, v6, v6
	s_delay_alu instid0(VALU_DEP_4) | instskip(NEXT) | instid1(VALU_DEP_4)
	v_bfe_u32 v41, v3, 16, 1
	v_add3_u32 v43, v4, v43, 0x7fff
	s_delay_alu instid0(VALU_DEP_4) | instskip(SKIP_1) | instid1(VALU_DEP_4)
	v_add3_u32 v40, v6, v40, 0x7fff
	v_mul_f32_e32 v5, v36, v5
	v_add3_u32 v41, v3, v41, 0x7fff
	s_delay_alu instid0(VALU_DEP_4) | instskip(NEXT) | instid1(VALU_DEP_4)
	v_and_b32_e32 v43, 0xffff0000, v43
	v_and_b32_e32 v40, 0xffff0000, v40
	s_delay_alu instid0(VALU_DEP_4) | instskip(NEXT) | instid1(VALU_DEP_4)
	v_bfe_u32 v42, v5, 16, 1
	v_lshrrev_b32_e32 v41, 16, v41
	s_delay_alu instid0(VALU_DEP_3) | instskip(NEXT) | instid1(VALU_DEP_3)
	v_cndmask_b32_e32 v6, 0x7fc00000, v40, vcc_lo
	v_add3_u32 v42, v5, v42, 0x7fff
	v_cmp_o_f32_e32 vcc_lo, v5, v5
	s_delay_alu instid0(VALU_DEP_2) | instskip(NEXT) | instid1(VALU_DEP_1)
	v_lshrrev_b32_e32 v42, 16, v42
	v_cndmask_b32_e32 v5, 0x7fc0, v42, vcc_lo
	v_cmp_o_f32_e32 vcc_lo, v4, v4
	s_delay_alu instid0(VALU_DEP_2) | instskip(SKIP_2) | instid1(VALU_DEP_3)
	v_or_b32_e32 v6, v6, v5
	v_cndmask_b32_e32 v40, 0x7fc00000, v43, vcc_lo
	v_cmp_o_f32_e32 vcc_lo, v3, v3
	v_or3_b32 v6, v6, 0, 0
	v_cndmask_b32_e32 v41, 0x7fc0, v41, vcc_lo
	v_add_co_u32 v3, vcc_lo, s8, v38
	v_add_co_ci_u32_e32 v4, vcc_lo, s9, v39, vcc_lo
	s_delay_alu instid0(VALU_DEP_3)
	v_or3_b32 v5, 0, v40, v41
	global_store_b64 v[3:4], v[5:6], off
	global_store_b32 v11, v7, s[10:11]
	v_add_nc_u32_e32 v11, s12, v11
	v_mov_b32_e32 v3, v13
	s_waitcnt_vscnt null, 0x0
	s_barrier
	buffer_gl0_inv
	v_cmp_le_u32_e32 vcc_lo, s4, v11
	v_mov_b32_e32 v6, v3
	v_dual_mov_b32 v5, v2 :: v_dual_mov_b32 v4, v1
	v_mov_b32_e32 v3, v0
	s_or_b32 s3, vcc_lo, s3
	s_delay_alu instid0(SALU_CYCLE_1)
	s_and_not1_b32 exec_lo, exec_lo, s3
	s_cbranch_execz .LBB79_15
.LBB79_6:                               ; =>This Inner Loop Header: Depth=1
	v_add_co_u32 v15, vcc_lo, v15, 1
	s_delay_alu instid0(VALU_DEP_1) | instskip(SKIP_2) | instid1(VALU_DEP_1)
	v_cndmask_b32_e64 v0, 0, 1, vcc_lo
	v_add_co_ci_u32_e32 v16, vcc_lo, 0, v16, vcc_lo
	s_mov_b32 s0, exec_lo
	v_cmp_eq_u32_e32 vcc_lo, 0, v16
	s_delay_alu instid0(VALU_DEP_3) | instskip(NEXT) | instid1(VALU_DEP_1)
	v_cndmask_b32_e32 v0, 0, v0, vcc_lo
	v_add_nc_u32_e32 v10, v0, v10
	s_delay_alu instid0(VALU_DEP_1) | instskip(SKIP_2) | instid1(VALU_DEP_2)
	v_cmp_eq_u32_e32 vcc_lo, 0, v10
	v_mad_u64_u32 v[13:14], null, 0xcd9e8d57, v10, 0
	v_cndmask_b32_e32 v0, 0, v0, vcc_lo
	v_xor3_b32 v7, v14, v8, v16
	s_delay_alu instid0(VALU_DEP_2) | instskip(SKIP_1) | instid1(VALU_DEP_1)
	v_add_nc_u32_e32 v37, v0, v37
	v_mad_u64_u32 v[0:1], null, 0xd2511f53, v15, 0
	v_xor_b32_e32 v1, v1, v9
	s_delay_alu instid0(VALU_DEP_1) | instskip(SKIP_1) | instid1(VALU_DEP_2)
	v_xor_b32_e32 v14, v37, v1
	v_mad_u64_u32 v[1:2], null, 0xd2511f53, v7, 0
	v_mad_u64_u32 v[38:39], null, 0xcd9e8d57, v14, 0
	s_delay_alu instid0(VALU_DEP_2) | instskip(NEXT) | instid1(VALU_DEP_2)
	v_xor3_b32 v0, v17, v2, v0
	v_xor3_b32 v2, v18, v39, v13
	s_delay_alu instid0(VALU_DEP_2) | instskip(NEXT) | instid1(VALU_DEP_2)
	v_mad_u64_u32 v[13:14], null, 0xcd9e8d57, v0, 0
	v_mad_u64_u32 v[39:40], null, 0xd2511f53, v2, 0
	s_delay_alu instid0(VALU_DEP_2) | instskip(NEXT) | instid1(VALU_DEP_2)
	v_xor3_b32 v2, v19, v14, v38
	v_xor3_b32 v7, v20, v40, v1
	s_delay_alu instid0(VALU_DEP_2) | instskip(NEXT) | instid1(VALU_DEP_2)
	;; [unrolled: 6-line block ×8, first 2 shown]
	v_mad_u64_u32 v[13:14], null, 0xd2511f53, v0, 0
	v_mad_u64_u32 v[1:2], null, 0xcd9e8d57, v7, 0
	s_delay_alu instid0(VALU_DEP_2) | instskip(NEXT) | instid1(VALU_DEP_2)
	v_xor3_b32 v7, v14, v41, v34
	v_xor3_b32 v0, v2, v39, v33
	s_delay_alu instid0(VALU_DEP_2)
	v_mov_b32_e32 v2, v7
	v_cmpx_lt_i32_e32 1, v35
	s_xor_b32 s0, exec_lo, s0
	s_cbranch_execz .LBB79_12
; %bb.7:                                ;   in Loop: Header=BB79_6 Depth=1
	s_mov_b32 s1, exec_lo
	v_cmpx_lt_i32_e32 2, v35
	s_xor_b32 s1, exec_lo, s1
; %bb.8:                                ;   in Loop: Header=BB79_6 Depth=1
	v_dual_mov_b32 v4, v6 :: v_dual_mov_b32 v5, v0
	v_mov_b32_e32 v6, v1
	s_delay_alu instid0(VALU_DEP_2) | instskip(NEXT) | instid1(VALU_DEP_3)
	v_mov_b32_e32 v3, v4
	v_mov_b32_e32 v4, v5
	s_delay_alu instid0(VALU_DEP_3)
	v_mov_b32_e32 v5, v6
	v_mov_b32_e32 v6, v7
; %bb.9:                                ;   in Loop: Header=BB79_6 Depth=1
	s_and_not1_saveexec_b32 s1, s1
; %bb.10:                               ;   in Loop: Header=BB79_6 Depth=1
	s_delay_alu instid0(VALU_DEP_1)
	v_dual_mov_b32 v3, v5 :: v_dual_mov_b32 v4, v6
	v_dual_mov_b32 v5, v0 :: v_dual_mov_b32 v6, v1
; %bb.11:                               ;   in Loop: Header=BB79_6 Depth=1
	s_or_b32 exec_lo, exec_lo, s1
.LBB79_12:                              ;   in Loop: Header=BB79_6 Depth=1
	s_and_not1_saveexec_b32 s0, s0
	s_cbranch_execz .LBB79_5
; %bb.13:                               ;   in Loop: Header=BB79_6 Depth=1
	s_mov_b32 s1, exec_lo
	v_cmpx_eq_u32_e32 1, v35
	s_cbranch_execz .LBB79_4
; %bb.14:                               ;   in Loop: Header=BB79_6 Depth=1
	v_dual_mov_b32 v3, v4 :: v_dual_mov_b32 v4, v5
	v_dual_mov_b32 v5, v6 :: v_dual_mov_b32 v6, v0
	s_branch .LBB79_4
.LBB79_15:
	s_endpgm
	.section	.rodata,"a",@progbits
	.p2align	6, 0x0
	.amdhsa_kernel _ZN2at6native12_GLOBAL__N_124fused_dropout_kernel_vecIN3c108BFloat16EfjLi1ELi4EhEEvNS_4cuda6detail10TensorInfoIKT_T1_EENS7_IS8_SA_EENS7_IT4_SA_EESA_T0_NS_15PhiloxCudaStateE
		.amdhsa_group_segment_fixed_size 0
		.amdhsa_private_segment_fixed_size 0
		.amdhsa_kernarg_size 944
		.amdhsa_user_sgpr_count 15
		.amdhsa_user_sgpr_dispatch_ptr 0
		.amdhsa_user_sgpr_queue_ptr 0
		.amdhsa_user_sgpr_kernarg_segment_ptr 1
		.amdhsa_user_sgpr_dispatch_id 0
		.amdhsa_user_sgpr_private_segment_size 0
		.amdhsa_wavefront_size32 1
		.amdhsa_uses_dynamic_stack 0
		.amdhsa_enable_private_segment 0
		.amdhsa_system_sgpr_workgroup_id_x 1
		.amdhsa_system_sgpr_workgroup_id_y 0
		.amdhsa_system_sgpr_workgroup_id_z 0
		.amdhsa_system_sgpr_workgroup_info 0
		.amdhsa_system_vgpr_workitem_id 0
		.amdhsa_next_free_vgpr 46
		.amdhsa_next_free_sgpr 16
		.amdhsa_reserve_vcc 1
		.amdhsa_float_round_mode_32 0
		.amdhsa_float_round_mode_16_64 0
		.amdhsa_float_denorm_mode_32 3
		.amdhsa_float_denorm_mode_16_64 3
		.amdhsa_dx10_clamp 1
		.amdhsa_ieee_mode 1
		.amdhsa_fp16_overflow 0
		.amdhsa_workgroup_processor_mode 1
		.amdhsa_memory_ordered 1
		.amdhsa_forward_progress 0
		.amdhsa_shared_vgpr_count 0
		.amdhsa_exception_fp_ieee_invalid_op 0
		.amdhsa_exception_fp_denorm_src 0
		.amdhsa_exception_fp_ieee_div_zero 0
		.amdhsa_exception_fp_ieee_overflow 0
		.amdhsa_exception_fp_ieee_underflow 0
		.amdhsa_exception_fp_ieee_inexact 0
		.amdhsa_exception_int_div_zero 0
	.end_amdhsa_kernel
	.section	.text._ZN2at6native12_GLOBAL__N_124fused_dropout_kernel_vecIN3c108BFloat16EfjLi1ELi4EhEEvNS_4cuda6detail10TensorInfoIKT_T1_EENS7_IS8_SA_EENS7_IT4_SA_EESA_T0_NS_15PhiloxCudaStateE,"axG",@progbits,_ZN2at6native12_GLOBAL__N_124fused_dropout_kernel_vecIN3c108BFloat16EfjLi1ELi4EhEEvNS_4cuda6detail10TensorInfoIKT_T1_EENS7_IS8_SA_EENS7_IT4_SA_EESA_T0_NS_15PhiloxCudaStateE,comdat
.Lfunc_end79:
	.size	_ZN2at6native12_GLOBAL__N_124fused_dropout_kernel_vecIN3c108BFloat16EfjLi1ELi4EhEEvNS_4cuda6detail10TensorInfoIKT_T1_EENS7_IS8_SA_EENS7_IT4_SA_EESA_T0_NS_15PhiloxCudaStateE, .Lfunc_end79-_ZN2at6native12_GLOBAL__N_124fused_dropout_kernel_vecIN3c108BFloat16EfjLi1ELi4EhEEvNS_4cuda6detail10TensorInfoIKT_T1_EENS7_IS8_SA_EENS7_IT4_SA_EESA_T0_NS_15PhiloxCudaStateE
                                        ; -- End function
	.section	.AMDGPU.csdata,"",@progbits
; Kernel info:
; codeLenInByte = 2300
; NumSgprs: 18
; NumVgprs: 46
; ScratchSize: 0
; MemoryBound: 0
; FloatMode: 240
; IeeeMode: 1
; LDSByteSize: 0 bytes/workgroup (compile time only)
; SGPRBlocks: 2
; VGPRBlocks: 5
; NumSGPRsForWavesPerEU: 18
; NumVGPRsForWavesPerEU: 46
; Occupancy: 16
; WaveLimiterHint : 1
; COMPUTE_PGM_RSRC2:SCRATCH_EN: 0
; COMPUTE_PGM_RSRC2:USER_SGPR: 15
; COMPUTE_PGM_RSRC2:TRAP_HANDLER: 0
; COMPUTE_PGM_RSRC2:TGID_X_EN: 1
; COMPUTE_PGM_RSRC2:TGID_Y_EN: 0
; COMPUTE_PGM_RSRC2:TGID_Z_EN: 0
; COMPUTE_PGM_RSRC2:TIDIG_COMP_CNT: 0
	.section	.text._ZN2at6native12_GLOBAL__N_124fused_dropout_kernel_vecIN3c108BFloat16EfjLi1ELi2EhEEvNS_4cuda6detail10TensorInfoIKT_T1_EENS7_IS8_SA_EENS7_IT4_SA_EESA_T0_NS_15PhiloxCudaStateE,"axG",@progbits,_ZN2at6native12_GLOBAL__N_124fused_dropout_kernel_vecIN3c108BFloat16EfjLi1ELi2EhEEvNS_4cuda6detail10TensorInfoIKT_T1_EENS7_IS8_SA_EENS7_IT4_SA_EESA_T0_NS_15PhiloxCudaStateE,comdat
	.globl	_ZN2at6native12_GLOBAL__N_124fused_dropout_kernel_vecIN3c108BFloat16EfjLi1ELi2EhEEvNS_4cuda6detail10TensorInfoIKT_T1_EENS7_IS8_SA_EENS7_IT4_SA_EESA_T0_NS_15PhiloxCudaStateE ; -- Begin function _ZN2at6native12_GLOBAL__N_124fused_dropout_kernel_vecIN3c108BFloat16EfjLi1ELi2EhEEvNS_4cuda6detail10TensorInfoIKT_T1_EENS7_IS8_SA_EENS7_IT4_SA_EESA_T0_NS_15PhiloxCudaStateE
	.p2align	8
	.type	_ZN2at6native12_GLOBAL__N_124fused_dropout_kernel_vecIN3c108BFloat16EfjLi1ELi2EhEEvNS_4cuda6detail10TensorInfoIKT_T1_EENS7_IS8_SA_EENS7_IT4_SA_EESA_T0_NS_15PhiloxCudaStateE,@function
_ZN2at6native12_GLOBAL__N_124fused_dropout_kernel_vecIN3c108BFloat16EfjLi1ELi2EhEEvNS_4cuda6detail10TensorInfoIKT_T1_EENS7_IS8_SA_EENS7_IT4_SA_EESA_T0_NS_15PhiloxCudaStateE: ; @_ZN2at6native12_GLOBAL__N_124fused_dropout_kernel_vecIN3c108BFloat16EfjLi1ELi2EhEEvNS_4cuda6detail10TensorInfoIKT_T1_EENS7_IS8_SA_EENS7_IT4_SA_EESA_T0_NS_15PhiloxCudaStateE
; %bb.0:
	s_clause 0x1
	s_load_b128 s[4:7], s[0:1], 0x290
	s_load_b32 s2, s[0:1], 0x2a8
	s_waitcnt lgkmcnt(0)
	v_dual_mov_b32 v3, s6 :: v_dual_mov_b32 v4, s7
	v_dual_mov_b32 v9, s5 :: v_dual_mov_b32 v8, s4
	s_bitcmp0_b32 s2, 0
	s_cbranch_scc1 .LBB80_2
; %bb.1:
	v_dual_mov_b32 v1, s6 :: v_dual_mov_b32 v2, s7
	v_dual_mov_b32 v3, s4 :: v_dual_mov_b32 v4, s5
	s_load_b64 s[2:3], s[0:1], 0x2a0
	flat_load_b64 v[1:2], v[1:2]
	flat_load_b64 v[8:9], v[3:4]
	s_waitcnt vmcnt(1) lgkmcnt(0)
	v_add_co_u32 v3, vcc_lo, v1, s2
	v_add_co_ci_u32_e32 v4, vcc_lo, s3, v2, vcc_lo
.LBB80_2:
	s_clause 0x1
	s_load_b32 s6, s[0:1], 0x2bc
	s_load_b64 s[2:3], s[0:1], 0x288
	s_add_u32 s4, s0, 0x2b0
	s_addc_u32 s5, s1, 0
	s_waitcnt lgkmcnt(0)
	s_and_b32 s10, s6, 0xffff
	s_mov_b32 s6, exec_lo
	v_mad_u64_u32 v[10:11], null, s15, s10, v[0:1]
	s_delay_alu instid0(VALU_DEP_1) | instskip(NEXT) | instid1(VALU_DEP_1)
	v_lshlrev_b32_e32 v11, 1, v10
	v_cmpx_gt_u32_e64 s2, v11
	s_cbranch_execz .LBB80_15
; %bb.3:
	v_mad_u64_u32 v[0:1], null, 0xcd9e8d57, v10, 0
	v_alignbit_b32 v15, v4, v3, 2
	v_lshrrev_b32_e32 v16, 2, v4
	s_waitcnt vmcnt(0)
	v_mov_b32_e32 v32, v9
	v_add_co_u32 v18, null, 0x9e3779b9, v8
	v_mad_u64_u32 v[4:5], null, 0xd2511f53, v15, 0
	v_xor3_b32 v6, v8, v1, v16
	s_delay_alu instid0(VALU_DEP_4) | instskip(SKIP_1) | instid1(VALU_DEP_3)
	v_add_co_u32 v17, null, 0xbb67ae85, v32
	v_add_co_u32 v19, null, 0x3c6ef372, v8
	v_mad_u64_u32 v[1:2], null, 0xd2511f53, v6, 0
	v_xor_b32_e32 v7, v5, v9
	v_add_co_u32 v20, null, 0x76cf5d0a, v32
	v_add_co_u32 v21, null, 0x32370b8f, v32
	s_delay_alu instid0(VALU_DEP_3) | instskip(SKIP_3) | instid1(VALU_DEP_3)
	v_mad_u64_u32 v[5:6], null, 0xcd9e8d57, v7, 0
	v_xor3_b32 v2, v17, v2, v4
	v_add_co_u32 v22, null, 0xdaa66d2b, v8
	v_add_co_u32 v23, null, 0x78dde6e4, v8
	v_mad_u64_u32 v[12:13], null, 0xcd9e8d57, v2, 0
	v_xor3_b32 v0, v6, v18, v0
	v_add_co_u32 v24, null, 0xed9eba14, v32
	v_add_co_u32 v25, null, 0xa9066899, v32
	s_delay_alu instid0(VALU_DEP_3) | instskip(SKIP_3) | instid1(VALU_DEP_3)
	v_mad_u64_u32 v[6:7], null, 0xd2511f53, v0, 0
	v_xor3_b32 v0, v19, v13, v5
	v_add_co_u32 v26, null, 0x1715609d, v8
	v_add_co_u32 v27, null, 0xb54cda56, v8
	v_mad_u64_u32 v[4:5], null, 0xd2511f53, v0, 0
	v_xor3_b32 v2, v7, v20, v1
	v_add_co_u32 v28, null, 0x646e171e, v32
	v_div_scale_f32 v33, null, s3, s3, 1.0
	s_delay_alu instid0(VALU_DEP_3) | instskip(SKIP_2) | instid1(VALU_DEP_4)
	v_mad_u64_u32 v[0:1], null, 0xcd9e8d57, v2, 0
	v_xor3_b32 v2, v21, v5, v6
	v_add_co_u32 v29, null, 0x1fd5c5a3, v32
	v_rcp_f32_e32 v34, v33
	v_add_co_u32 v30, null, 0x5384540f, v8
	s_delay_alu instid0(VALU_DEP_3) | instskip(SKIP_3) | instid1(VALU_DEP_3)
	v_mad_u64_u32 v[5:6], null, 0xcd9e8d57, v2, 0
	v_xor3_b32 v7, v1, v22, v12
	v_add_co_u32 v31, null, 0xf1bbcdc8, v8
	v_div_scale_f32 v35, vcc_lo, 1.0, s3, 1.0
	v_mad_u64_u32 v[1:2], null, 0xd2511f53, v7, 0
	v_xor3_b32 v0, v23, v6, v0
	s_load_b32 s11, s[4:5], 0x0
	s_clause 0x2
	s_load_b64 s[4:5], s[0:1], 0x0
	s_load_b64 s[6:7], s[0:1], 0xd8
	;; [unrolled: 1-line block ×3, first 2 shown]
	s_mov_b32 s1, 0
	v_mad_u64_u32 v[6:7], null, 0xd2511f53, v0, 0
	v_xor3_b32 v0, v2, v24, v4
	s_delay_alu instid0(VALU_DEP_1) | instskip(NEXT) | instid1(VALU_DEP_3)
	v_mad_u64_u32 v[12:13], null, 0xcd9e8d57, v0, 0
	v_xor3_b32 v2, v25, v7, v1
	s_delay_alu instid0(VALU_DEP_1) | instskip(NEXT) | instid1(VALU_DEP_3)
	v_mad_u64_u32 v[0:1], null, 0xcd9e8d57, v2, 0
	v_xor3_b32 v2, v13, v26, v5
	s_waitcnt lgkmcnt(0)
	s_mul_i32 s11, s11, s10
	s_delay_alu instid0(SALU_CYCLE_1) | instskip(NEXT) | instid1(VALU_DEP_1)
	s_lshl_b32 s10, s11, 1
	v_mad_u64_u32 v[4:5], null, 0xd2511f53, v2, 0
	s_delay_alu instid0(VALU_DEP_3) | instskip(SKIP_1) | instid1(VALU_DEP_2)
	v_xor3_b32 v7, v27, v1, v12
	v_fma_f32 v12, -v33, v34, 1.0
	v_mad_u64_u32 v[1:2], null, 0xd2511f53, v7, 0
	s_delay_alu instid0(VALU_DEP_4) | instskip(NEXT) | instid1(VALU_DEP_3)
	v_xor3_b32 v7, v5, v28, v6
	v_fmac_f32_e32 v34, v12, v34
	s_delay_alu instid0(VALU_DEP_2) | instskip(NEXT) | instid1(VALU_DEP_4)
	v_mad_u64_u32 v[5:6], null, 0xcd9e8d57, v7, 0
	v_xor3_b32 v2, v29, v2, v4
	s_delay_alu instid0(VALU_DEP_1) | instskip(NEXT) | instid1(VALU_DEP_3)
	v_mad_u64_u32 v[13:14], null, 0xcd9e8d57, v2, 0
	v_xor3_b32 v0, v6, v30, v0
	s_delay_alu instid0(VALU_DEP_1) | instskip(NEXT) | instid1(VALU_DEP_3)
	v_mad_u64_u32 v[6:7], null, 0xd2511f53, v0, 0
	v_xor3_b32 v0, v31, v14, v5
	s_delay_alu instid0(VALU_DEP_1) | instskip(SKIP_1) | instid1(VALU_DEP_1)
	v_mad_u64_u32 v[4:5], null, 0xd2511f53, v0, 0
	v_mul_f32_e32 v12, v35, v34
	v_fma_f32 v2, -v33, v12, v35
	s_delay_alu instid0(VALU_DEP_1) | instskip(NEXT) | instid1(VALU_DEP_1)
	v_fmac_f32_e32 v12, v2, v34
	v_fma_f32 v14, -v33, v12, v35
	v_add_nc_u32_e32 v33, 0x8ff34781, v8
	v_add_co_u32 v32, null, 0xdb3d7428, v32
	v_and_b32_e32 v35, 3, v3
	v_mov_b32_e32 v3, v4
	v_div_fmas_f32 v0, v14, v34, v12
	s_delay_alu instid0(VALU_DEP_4) | instskip(SKIP_2) | instid1(VALU_DEP_4)
	v_xor3_b32 v7, v7, v32, v1
	v_mov_b32_e32 v12, 0
	v_add_nc_u32_e32 v34, 0x96a522ad, v9
	v_div_fixup_f32 v36, v0, s3, 1.0
	s_delay_alu instid0(VALU_DEP_4) | instskip(NEXT) | instid1(VALU_DEP_4)
	v_mad_u64_u32 v[1:2], null, 0xcd9e8d57, v7, 0
	v_mov_b32_e32 v37, v12
	s_delay_alu instid0(VALU_DEP_2)
	v_xor3_b32 v0, v13, v2, v33
	v_xor3_b32 v2, v5, v6, v34
	s_branch .LBB80_6
.LBB80_4:                               ;   in Loop: Header=BB80_6 Depth=1
	s_or_b32 exec_lo, exec_lo, s11
.LBB80_5:                               ;   in Loop: Header=BB80_6 Depth=1
	s_delay_alu instid0(SALU_CYCLE_1) | instskip(SKIP_3) | instid1(VALU_DEP_1)
	s_or_b32 exec_lo, exec_lo, s0
	v_lshlrev_b64 v[2:3], 1, v[11:12]
	v_cvt_f32_u32_e32 v1, v1
	v_cvt_f32_u32_e32 v0, v0
	v_dual_fmaak_f32 v1, 0x2f800000, v1, 0x2f800000 :: v_dual_fmaak_f32 v0, 0x2f800000, v0, 0x2f800000
	s_delay_alu instid0(VALU_DEP_4) | instskip(SKIP_1) | instid1(VALU_DEP_3)
	v_add_co_u32 v38, vcc_lo, s4, v2
	v_add_co_ci_u32_e32 v39, vcc_lo, s5, v3, vcc_lo
	v_cmp_gt_f32_e32 vcc_lo, s3, v1
	s_delay_alu instid0(VALU_DEP_4)
	v_cmp_gt_f32_e64 s0, s3, v0
	global_load_b32 v7, v[38:39], off
	v_cndmask_b32_e64 v1, 0, 1.0, vcc_lo
	v_cndmask_b32_e64 v0, 0, 1.0, s0
	v_cndmask_b32_e64 v38, 0, 1, vcc_lo
	v_cndmask_b32_e64 v39, 0, 1, s0
	s_delay_alu instid0(VALU_DEP_2) | instskip(SKIP_3) | instid1(VALU_DEP_1)
	v_lshlrev_b16 v38, 8, v38
	s_waitcnt vmcnt(0)
	v_and_b32_e32 v14, 0xffff0000, v7
	v_lshlrev_b32_e32 v7, 16, v7
	v_dual_mul_f32 v1, v1, v14 :: v_dual_mul_f32 v0, v0, v7
	s_delay_alu instid0(VALU_DEP_1) | instskip(NEXT) | instid1(VALU_DEP_2)
	v_mul_f32_e32 v1, v36, v1
	v_mul_f32_e32 v0, v36, v0
	s_delay_alu instid0(VALU_DEP_2) | instskip(NEXT) | instid1(VALU_DEP_2)
	v_bfe_u32 v7, v1, 16, 1
	v_bfe_u32 v14, v0, 16, 1
	v_cmp_o_f32_e32 vcc_lo, v1, v1
	s_delay_alu instid0(VALU_DEP_3) | instskip(NEXT) | instid1(VALU_DEP_3)
	v_add3_u32 v7, v1, v7, 0x7fff
	v_add3_u32 v14, v0, v14, 0x7fff
	s_delay_alu instid0(VALU_DEP_2) | instskip(NEXT) | instid1(VALU_DEP_2)
	v_and_b32_e32 v7, 0xffff0000, v7
	v_lshrrev_b32_e32 v14, 16, v14
	s_delay_alu instid0(VALU_DEP_2) | instskip(SKIP_1) | instid1(VALU_DEP_3)
	v_cndmask_b32_e32 v7, 0x7fc00000, v7, vcc_lo
	v_cmp_o_f32_e32 vcc_lo, v0, v0
	v_cndmask_b32_e32 v14, 0x7fc0, v14, vcc_lo
	v_add_co_u32 v0, vcc_lo, s6, v2
	v_add_co_ci_u32_e32 v1, vcc_lo, s7, v3, vcc_lo
	s_delay_alu instid0(VALU_DEP_3)
	v_or_b32_e32 v2, v7, v14
	v_mov_b32_e32 v7, v13
	v_or_b32_e32 v3, v39, v38
	global_store_b32 v[0:1], v2, off
	global_store_b16 v11, v3, s[8:9]
	v_dual_mov_b32 v0, v4 :: v_dual_add_nc_u32 v11, s10, v11
	v_dual_mov_b32 v1, v5 :: v_dual_mov_b32 v2, v6
	v_mov_b32_e32 v3, v7
	s_delay_alu instid0(VALU_DEP_3) | instskip(SKIP_4) | instid1(SALU_CYCLE_1)
	v_cmp_le_u32_e32 vcc_lo, s2, v11
	s_waitcnt_vscnt null, 0x0
	s_barrier
	buffer_gl0_inv
	s_or_b32 s1, vcc_lo, s1
	s_and_not1_b32 exec_lo, exec_lo, s1
	s_cbranch_execz .LBB80_15
.LBB80_6:                               ; =>This Inner Loop Header: Depth=1
	v_add_co_u32 v15, vcc_lo, v15, 1
	s_delay_alu instid0(VALU_DEP_1) | instskip(SKIP_2) | instid1(VALU_DEP_1)
	v_cndmask_b32_e64 v4, 0, 1, vcc_lo
	v_add_co_ci_u32_e32 v16, vcc_lo, 0, v16, vcc_lo
	s_mov_b32 s0, exec_lo
	v_cmp_eq_u32_e32 vcc_lo, 0, v16
	s_delay_alu instid0(VALU_DEP_3) | instskip(NEXT) | instid1(VALU_DEP_1)
	v_cndmask_b32_e32 v4, 0, v4, vcc_lo
	v_add_nc_u32_e32 v10, v4, v10
	s_delay_alu instid0(VALU_DEP_1) | instskip(SKIP_2) | instid1(VALU_DEP_2)
	v_cmp_eq_u32_e32 vcc_lo, 0, v10
	v_mad_u64_u32 v[6:7], null, 0xcd9e8d57, v10, 0
	v_cndmask_b32_e32 v4, 0, v4, vcc_lo
	v_xor3_b32 v7, v7, v8, v16
	s_delay_alu instid0(VALU_DEP_2) | instskip(SKIP_1) | instid1(VALU_DEP_3)
	v_add_nc_u32_e32 v37, v4, v37
	v_mad_u64_u32 v[4:5], null, 0xd2511f53, v15, 0
	v_mad_u64_u32 v[38:39], null, 0xd2511f53, v7, 0
	s_delay_alu instid0(VALU_DEP_2) | instskip(NEXT) | instid1(VALU_DEP_1)
	v_xor_b32_e32 v5, v5, v9
	v_xor_b32_e32 v5, v37, v5
	s_delay_alu instid0(VALU_DEP_1) | instskip(NEXT) | instid1(VALU_DEP_1)
	v_mad_u64_u32 v[13:14], null, 0xcd9e8d57, v5, 0
	v_xor3_b32 v6, v18, v14, v6
	v_xor3_b32 v14, v17, v39, v4
	s_delay_alu instid0(VALU_DEP_2) | instskip(NEXT) | instid1(VALU_DEP_2)
	v_mad_u64_u32 v[4:5], null, 0xd2511f53, v6, 0
	v_mad_u64_u32 v[6:7], null, 0xcd9e8d57, v14, 0
	s_delay_alu instid0(VALU_DEP_2) | instskip(NEXT) | instid1(VALU_DEP_2)
	v_xor3_b32 v5, v20, v5, v38
	v_xor3_b32 v7, v19, v7, v13
	s_delay_alu instid0(VALU_DEP_2) | instskip(NEXT) | instid1(VALU_DEP_2)
	v_mad_u64_u32 v[13:14], null, 0xcd9e8d57, v5, 0
	v_mad_u64_u32 v[38:39], null, 0xd2511f53, v7, 0
	s_delay_alu instid0(VALU_DEP_2) | instskip(NEXT) | instid1(VALU_DEP_2)
	;; [unrolled: 6-line block ×8, first 2 shown]
	v_xor3_b32 v4, v6, v4, v33
	v_xor3_b32 v6, v14, v39, v34
	v_cmpx_lt_i32_e32 1, v35
	s_xor_b32 s0, exec_lo, s0
	s_cbranch_execz .LBB80_12
; %bb.7:                                ;   in Loop: Header=BB80_6 Depth=1
	s_mov_b32 s11, exec_lo
	v_cmpx_lt_i32_e32 2, v35
	s_xor_b32 s11, exec_lo, s11
; %bb.8:                                ;   in Loop: Header=BB80_6 Depth=1
	v_dual_mov_b32 v0, v3 :: v_dual_mov_b32 v1, v4
; %bb.9:                                ;   in Loop: Header=BB80_6 Depth=1
	s_and_not1_saveexec_b32 s11, s11
; %bb.10:                               ;   in Loop: Header=BB80_6 Depth=1
	v_dual_mov_b32 v0, v2 :: v_dual_mov_b32 v1, v3
; %bb.11:                               ;   in Loop: Header=BB80_6 Depth=1
	s_or_b32 exec_lo, exec_lo, s11
.LBB80_12:                              ;   in Loop: Header=BB80_6 Depth=1
	s_and_not1_saveexec_b32 s0, s0
	s_cbranch_execz .LBB80_5
; %bb.13:                               ;   in Loop: Header=BB80_6 Depth=1
	s_mov_b32 s11, exec_lo
	v_cmpx_eq_u32_e32 1, v35
	s_cbranch_execz .LBB80_4
; %bb.14:                               ;   in Loop: Header=BB80_6 Depth=1
	v_dual_mov_b32 v0, v1 :: v_dual_mov_b32 v1, v2
	s_branch .LBB80_4
.LBB80_15:
	s_endpgm
	.section	.rodata,"a",@progbits
	.p2align	6, 0x0
	.amdhsa_kernel _ZN2at6native12_GLOBAL__N_124fused_dropout_kernel_vecIN3c108BFloat16EfjLi1ELi2EhEEvNS_4cuda6detail10TensorInfoIKT_T1_EENS7_IS8_SA_EENS7_IT4_SA_EESA_T0_NS_15PhiloxCudaStateE
		.amdhsa_group_segment_fixed_size 0
		.amdhsa_private_segment_fixed_size 0
		.amdhsa_kernarg_size 944
		.amdhsa_user_sgpr_count 15
		.amdhsa_user_sgpr_dispatch_ptr 0
		.amdhsa_user_sgpr_queue_ptr 0
		.amdhsa_user_sgpr_kernarg_segment_ptr 1
		.amdhsa_user_sgpr_dispatch_id 0
		.amdhsa_user_sgpr_private_segment_size 0
		.amdhsa_wavefront_size32 1
		.amdhsa_uses_dynamic_stack 0
		.amdhsa_enable_private_segment 0
		.amdhsa_system_sgpr_workgroup_id_x 1
		.amdhsa_system_sgpr_workgroup_id_y 0
		.amdhsa_system_sgpr_workgroup_id_z 0
		.amdhsa_system_sgpr_workgroup_info 0
		.amdhsa_system_vgpr_workitem_id 0
		.amdhsa_next_free_vgpr 41
		.amdhsa_next_free_sgpr 16
		.amdhsa_reserve_vcc 1
		.amdhsa_float_round_mode_32 0
		.amdhsa_float_round_mode_16_64 0
		.amdhsa_float_denorm_mode_32 3
		.amdhsa_float_denorm_mode_16_64 3
		.amdhsa_dx10_clamp 1
		.amdhsa_ieee_mode 1
		.amdhsa_fp16_overflow 0
		.amdhsa_workgroup_processor_mode 1
		.amdhsa_memory_ordered 1
		.amdhsa_forward_progress 0
		.amdhsa_shared_vgpr_count 0
		.amdhsa_exception_fp_ieee_invalid_op 0
		.amdhsa_exception_fp_denorm_src 0
		.amdhsa_exception_fp_ieee_div_zero 0
		.amdhsa_exception_fp_ieee_overflow 0
		.amdhsa_exception_fp_ieee_underflow 0
		.amdhsa_exception_fp_ieee_inexact 0
		.amdhsa_exception_int_div_zero 0
	.end_amdhsa_kernel
	.section	.text._ZN2at6native12_GLOBAL__N_124fused_dropout_kernel_vecIN3c108BFloat16EfjLi1ELi2EhEEvNS_4cuda6detail10TensorInfoIKT_T1_EENS7_IS8_SA_EENS7_IT4_SA_EESA_T0_NS_15PhiloxCudaStateE,"axG",@progbits,_ZN2at6native12_GLOBAL__N_124fused_dropout_kernel_vecIN3c108BFloat16EfjLi1ELi2EhEEvNS_4cuda6detail10TensorInfoIKT_T1_EENS7_IS8_SA_EENS7_IT4_SA_EESA_T0_NS_15PhiloxCudaStateE,comdat
.Lfunc_end80:
	.size	_ZN2at6native12_GLOBAL__N_124fused_dropout_kernel_vecIN3c108BFloat16EfjLi1ELi2EhEEvNS_4cuda6detail10TensorInfoIKT_T1_EENS7_IS8_SA_EENS7_IT4_SA_EESA_T0_NS_15PhiloxCudaStateE, .Lfunc_end80-_ZN2at6native12_GLOBAL__N_124fused_dropout_kernel_vecIN3c108BFloat16EfjLi1ELi2EhEEvNS_4cuda6detail10TensorInfoIKT_T1_EENS7_IS8_SA_EENS7_IT4_SA_EESA_T0_NS_15PhiloxCudaStateE
                                        ; -- End function
	.section	.AMDGPU.csdata,"",@progbits
; Kernel info:
; codeLenInByte = 1992
; NumSgprs: 18
; NumVgprs: 41
; ScratchSize: 0
; MemoryBound: 0
; FloatMode: 240
; IeeeMode: 1
; LDSByteSize: 0 bytes/workgroup (compile time only)
; SGPRBlocks: 2
; VGPRBlocks: 5
; NumSGPRsForWavesPerEU: 18
; NumVGPRsForWavesPerEU: 41
; Occupancy: 16
; WaveLimiterHint : 1
; COMPUTE_PGM_RSRC2:SCRATCH_EN: 0
; COMPUTE_PGM_RSRC2:USER_SGPR: 15
; COMPUTE_PGM_RSRC2:TRAP_HANDLER: 0
; COMPUTE_PGM_RSRC2:TGID_X_EN: 1
; COMPUTE_PGM_RSRC2:TGID_Y_EN: 0
; COMPUTE_PGM_RSRC2:TGID_Z_EN: 0
; COMPUTE_PGM_RSRC2:TIDIG_COMP_CNT: 0
	.section	.text._ZN2at6native12_GLOBAL__N_120fused_dropout_kernelIN3c108BFloat16EfjLi1ELi1EhEEvNS_4cuda6detail10TensorInfoIKT_T1_EENS7_IS8_SA_EENS7_IT4_SA_EESA_T0_NS_15PhiloxCudaStateE,"axG",@progbits,_ZN2at6native12_GLOBAL__N_120fused_dropout_kernelIN3c108BFloat16EfjLi1ELi1EhEEvNS_4cuda6detail10TensorInfoIKT_T1_EENS7_IS8_SA_EENS7_IT4_SA_EESA_T0_NS_15PhiloxCudaStateE,comdat
	.globl	_ZN2at6native12_GLOBAL__N_120fused_dropout_kernelIN3c108BFloat16EfjLi1ELi1EhEEvNS_4cuda6detail10TensorInfoIKT_T1_EENS7_IS8_SA_EENS7_IT4_SA_EESA_T0_NS_15PhiloxCudaStateE ; -- Begin function _ZN2at6native12_GLOBAL__N_120fused_dropout_kernelIN3c108BFloat16EfjLi1ELi1EhEEvNS_4cuda6detail10TensorInfoIKT_T1_EENS7_IS8_SA_EENS7_IT4_SA_EESA_T0_NS_15PhiloxCudaStateE
	.p2align	8
	.type	_ZN2at6native12_GLOBAL__N_120fused_dropout_kernelIN3c108BFloat16EfjLi1ELi1EhEEvNS_4cuda6detail10TensorInfoIKT_T1_EENS7_IS8_SA_EENS7_IT4_SA_EESA_T0_NS_15PhiloxCudaStateE,@function
_ZN2at6native12_GLOBAL__N_120fused_dropout_kernelIN3c108BFloat16EfjLi1ELi1EhEEvNS_4cuda6detail10TensorInfoIKT_T1_EENS7_IS8_SA_EENS7_IT4_SA_EESA_T0_NS_15PhiloxCudaStateE: ; @_ZN2at6native12_GLOBAL__N_120fused_dropout_kernelIN3c108BFloat16EfjLi1ELi1EhEEvNS_4cuda6detail10TensorInfoIKT_T1_EENS7_IS8_SA_EENS7_IT4_SA_EESA_T0_NS_15PhiloxCudaStateE
; %bb.0:
	s_clause 0x1
	s_load_b128 s[4:7], s[0:1], 0x290
	s_load_b32 s2, s[0:1], 0x2a8
	s_waitcnt lgkmcnt(0)
	v_dual_mov_b32 v1, s6 :: v_dual_mov_b32 v2, s7
	v_dual_mov_b32 v13, s5 :: v_dual_mov_b32 v12, s4
	s_bitcmp0_b32 s2, 0
	s_cbranch_scc1 .LBB81_2
; %bb.1:
	v_dual_mov_b32 v1, s6 :: v_dual_mov_b32 v2, s7
	v_dual_mov_b32 v3, s4 :: v_dual_mov_b32 v4, s5
	s_load_b64 s[2:3], s[0:1], 0x2a0
	flat_load_b64 v[1:2], v[1:2]
	flat_load_b64 v[12:13], v[3:4]
	s_waitcnt vmcnt(1) lgkmcnt(0)
	v_add_co_u32 v1, vcc_lo, v1, s2
	v_add_co_ci_u32_e32 v2, vcc_lo, s3, v2, vcc_lo
.LBB81_2:
	s_clause 0x1
	s_load_b32 s2, s[0:1], 0x2bc
	s_load_b32 s3, s[0:1], 0x2b0
	s_waitcnt lgkmcnt(0)
	s_and_b32 s2, s2, 0xffff
	s_delay_alu instid0(SALU_CYCLE_1)
	s_mul_i32 s4, s3, s2
	s_mul_i32 s13, s15, s2
	s_lshl_b32 s12, s4, 2
	s_load_b64 s[4:5], s[0:1], 0x288
	v_cvt_f32_u32_e32 v3, s12
	s_sub_i32 s7, 0, s12
	v_add_nc_u32_e32 v18, s13, v0
	s_delay_alu instid0(VALU_DEP_2) | instskip(SKIP_4) | instid1(VALU_DEP_1)
	v_rcp_iflag_f32_e32 v3, v3
	s_waitcnt_depctr 0xfff
	v_mul_f32_e32 v3, 0x4f7ffffe, v3
	s_waitcnt lgkmcnt(0)
	s_add_i32 s8, s4, -1
	v_cvt_u32_f32_e32 v3, v3
	s_delay_alu instid0(VALU_DEP_1) | instskip(NEXT) | instid1(VALU_DEP_1)
	v_readfirstlane_b32 s6, v3
	s_mul_i32 s7, s7, s6
	s_delay_alu instid0(SALU_CYCLE_1) | instskip(NEXT) | instid1(SALU_CYCLE_1)
	s_mul_hi_u32 s7, s6, s7
	s_add_i32 s6, s6, s7
	s_delay_alu instid0(SALU_CYCLE_1) | instskip(NEXT) | instid1(SALU_CYCLE_1)
	s_mul_hi_u32 s6, s8, s6
	s_mul_i32 s7, s6, s12
	s_delay_alu instid0(SALU_CYCLE_1)
	s_sub_i32 s7, s8, s7
	s_add_i32 s8, s6, 1
	s_sub_i32 s9, s7, s12
	s_cmp_ge_u32 s7, s12
	s_cselect_b32 s6, s8, s6
	s_cselect_b32 s7, s9, s7
	s_add_i32 s8, s6, 1
	s_cmp_ge_u32 s7, s12
	s_cselect_b32 s6, s8, s6
	s_delay_alu instid0(SALU_CYCLE_1) | instskip(NEXT) | instid1(SALU_CYCLE_1)
	s_add_i32 s6, s6, 1
	s_mul_i32 s14, s12, s6
	s_mov_b32 s6, exec_lo
	v_cmpx_gt_u32_e64 s14, v18
	s_cbranch_execz .LBB81_31
; %bb.3:
	v_alignbit_b32 v19, v2, v1, 2
	v_mad_u64_u32 v[3:4], null, 0xcd9e8d57, v18, 0
	v_lshrrev_b32_e32 v20, 2, v2
	s_waitcnt vmcnt(0)
	v_dual_mov_b32 v10, v13 :: v_dual_mov_b32 v15, 0
	v_mad_u64_u32 v[5:6], null, 0xd2511f53, v19, 0
	v_add_co_u32 v22, null, 0x9e3779b9, v12
	v_xor3_b32 v2, v12, v4, v20
	s_delay_alu instid0(VALU_DEP_4) | instskip(SKIP_2) | instid1(VALU_DEP_4)
	v_add_co_u32 v21, null, 0xbb67ae85, v10
	v_add_co_u32 v23, null, 0x3c6ef372, v12
	v_xor_b32_e32 v4, v6, v13
	v_mad_u64_u32 v[6:7], null, 0xd2511f53, v2, 0
	v_add_co_u32 v24, null, 0x76cf5d0a, v10
	s_delay_alu instid0(VALU_DEP_3) | instskip(SKIP_1) | instid1(VALU_DEP_4)
	v_mad_u64_u32 v[8:9], null, 0xcd9e8d57, v4, 0
	v_add_co_u32 v25, null, 0x32370b8f, v10
	v_xor3_b32 v4, v21, v7, v5
	v_add_co_u32 v26, null, 0xdaa66d2b, v12
	v_add_co_u32 v27, null, 0x78dde6e4, v12
	v_xor3_b32 v7, v9, v22, v3
	s_delay_alu instid0(VALU_DEP_4) | instskip(SKIP_1) | instid1(VALU_DEP_3)
	v_mad_u64_u32 v[2:3], null, 0xcd9e8d57, v4, 0
	v_add_co_u32 v28, null, 0xed9eba14, v10
	v_mad_u64_u32 v[4:5], null, 0xd2511f53, v7, 0
	v_and_b32_e32 v29, 3, v1
	v_add_co_u32 v32, null, 0xa9066899, v10
	v_xor3_b32 v3, v23, v3, v8
	v_add_co_u32 v33, null, 0x1715609d, v12
	v_xor3_b32 v9, v5, v24, v6
	v_add_co_u32 v34, null, 0xb54cda56, v12
	s_delay_alu instid0(VALU_DEP_4) | instskip(NEXT) | instid1(VALU_DEP_3)
	v_mad_u64_u32 v[5:6], null, 0xd2511f53, v3, 0
	v_mad_u64_u32 v[7:8], null, 0xcd9e8d57, v9, 0
	v_add_co_u32 v36, null, 0x646e171e, v10
	v_add_co_u32 v35, null, 0x5384540f, v12
	s_delay_alu instid0(VALU_DEP_4) | instskip(SKIP_3) | instid1(VALU_DEP_4)
	v_xor3_b32 v4, v25, v6, v4
	v_add_co_u32 v38, null, 0x1fd5c5a3, v10
	v_xor3_b32 v6, v8, v26, v2
	v_div_scale_f32 v11, vcc_lo, 1.0, s5, 1.0
	v_mad_u64_u32 v[2:3], null, 0xcd9e8d57, v4, 0
	s_delay_alu instid0(VALU_DEP_3) | instskip(SKIP_3) | instid1(VALU_DEP_4)
	v_mad_u64_u32 v[8:9], null, 0xd2511f53, v6, 0
	s_mul_i32 s17, s3, 3
	v_add_co_u32 v37, null, 0xf1bbcdc8, v12
	v_add_co_u32 v39, null, 0xdb3d7428, v10
	v_xor3_b32 v1, v27, v3, v7
	s_delay_alu instid0(VALU_DEP_4) | instskip(SKIP_2) | instid1(VALU_DEP_3)
	v_xor3_b32 v7, v9, v28, v5
	v_div_scale_f32 v9, null, s5, s5, 1.0
	s_add_i32 s18, s15, s17
	v_mad_u64_u32 v[3:4], null, 0xd2511f53, v1, 0
	s_delay_alu instid0(VALU_DEP_3) | instskip(NEXT) | instid1(VALU_DEP_3)
	v_mad_u64_u32 v[5:6], null, 0xcd9e8d57, v7, 0
	v_rcp_f32_e32 v14, v9
	s_clause 0x2
	s_load_b64 s[6:7], s[0:1], 0x0
	s_load_b32 s19, s[0:1], 0x144
	s_load_b64 s[8:9], s[0:1], 0x1b0
	s_delay_alu instid0(VALU_DEP_2)
	v_xor3_b32 v4, v32, v4, v8
	s_clause 0x1
	s_load_b64 s[10:11], s[0:1], 0xd8
	s_load_b32 s0, s[0:1], 0x6c
	v_xor3_b32 v8, v6, v33, v2
	s_mul_i32 s18, s18, s2
	s_lshl_b32 s1, s3, 1
	v_mad_u64_u32 v[1:2], null, 0xcd9e8d57, v4, 0
	s_delay_alu instid0(VALU_DEP_2)
	v_mad_u64_u32 v[6:7], null, 0xd2511f53, v8, 0
	s_waitcnt_depctr 0xfff
	v_fma_f32 v4, -v9, v14, 1.0
	v_dual_mov_b32 v49, 0 :: v_dual_add_nc_u32 v30, 0x8ff34781, v12
	s_add_i32 s1, s15, s1
	v_xor3_b32 v5, v34, v2, v5
	s_delay_alu instid0(VALU_DEP_3)
	v_fmac_f32_e32 v14, v4, v14
	v_xor3_b32 v7, v7, v36, v3
	v_add_nc_u32_e32 v31, 0x96a522ad, v13
	s_add_i32 s15, s15, s3
	v_mad_u64_u32 v[2:3], null, 0xd2511f53, v5, 0
	v_mul_f32_e32 v16, v11, v14
	v_mad_u64_u32 v[4:5], null, 0xcd9e8d57, v7, 0
	s_mul_i32 s17, s1, s2
	s_mul_i32 s15, s15, s2
	s_delay_alu instid0(VALU_DEP_2) | instskip(NEXT) | instid1(VALU_DEP_4)
	v_fma_f32 v17, -v9, v16, v11
	v_xor3_b32 v3, v38, v3, v6
	s_waitcnt lgkmcnt(0)
	v_mul_lo_u32 v40, s19, v18
	v_mul_lo_u32 v41, s0, v18
	v_xor3_b32 v1, v5, v35, v1
	v_fmac_f32_e32 v16, v17, v14
	v_mad_u64_u32 v[5:6], null, 0xcd9e8d57, v3, 0
	s_mul_i32 s1, s3, s19
	s_delay_alu instid0(VALU_DEP_3) | instskip(NEXT) | instid1(VALU_DEP_3)
	v_mad_u64_u32 v[7:8], null, 0xd2511f53, v1, 0
	v_fma_f32 v10, -v9, v16, v11
	s_mul_i32 s3, s3, s0
	s_mul_i32 s1, s1, s2
	s_delay_alu instid0(VALU_DEP_3) | instskip(SKIP_2) | instid1(VALU_DEP_4)
	v_xor3_b32 v1, v37, v6, v4
	v_add_nc_u32_e32 v6, s17, v0
	s_mul_i32 s3, s3, s2
	v_xor3_b32 v4, v8, v39, v2
	s_mov_b32 s16, 0
	v_mad_u64_u32 v[8:9], null, 0xd2511f53, v1, 0
	v_div_fmas_f32 v1, v10, v14, v16
	s_delay_alu instid0(VALU_DEP_3) | instskip(SKIP_2) | instid1(VALU_DEP_4)
	v_mad_u64_u32 v[2:3], null, 0xcd9e8d57, v4, 0
	v_mul_lo_u32 v43, s0, v6
	v_mul_lo_u32 v44, s19, v6
	v_div_fixup_f32 v42, v1, s5, 1.0
	v_mov_b32_e32 v4, v8
	s_lshl_b32 s20, s3, 2
	s_mov_b32 s21, 0
	v_xor3_b32 v1, v5, v3, v30
	v_xor3_b32 v3, v9, v7, v31
	v_add_nc_u32_e32 v7, s15, v0
	v_add_nc_u32_e32 v5, s18, v0
	s_mov_b32 s22, 0
                                        ; implicit-def: $vgpr50
                                        ; implicit-def: $vgpr51
                                        ; implicit-def: $vgpr52
                                        ; implicit-def: $vgpr53
	s_delay_alu instid0(VALU_DEP_2) | instskip(NEXT) | instid1(VALU_DEP_2)
	v_mul_lo_u32 v47, s19, v7
	v_mul_lo_u32 v45, s0, v5
	;; [unrolled: 1-line block ×4, first 2 shown]
	s_lshl_b32 s19, s1, 2
	s_branch .LBB81_5
.LBB81_4:                               ;   in Loop: Header=BB81_5 Depth=1
	s_or_b32 exec_lo, exec_lo, s1
	v_mov_b32_e32 v8, v16
	v_add_nc_u32_e32 v0, s12, v0
	s_add_i32 s22, s22, s19
	s_add_i32 s21, s21, s20
	s_waitcnt vmcnt(0)
	s_waitcnt_vscnt null, 0x0
	s_barrier
	v_add_nc_u32_e32 v1, s13, v0
	buffer_gl0_inv
	v_cmp_le_u32_e32 vcc_lo, s14, v1
	v_dual_mov_b32 v1, v5 :: v_dual_mov_b32 v2, v6
	v_dual_mov_b32 v3, v7 :: v_dual_mov_b32 v4, v8
	s_or_b32 s16, vcc_lo, s16
	s_delay_alu instid0(SALU_CYCLE_1)
	s_and_not1_b32 exec_lo, exec_lo, s16
	s_cbranch_execz .LBB81_31
.LBB81_5:                               ; =>This Inner Loop Header: Depth=1
	v_add_co_u32 v19, vcc_lo, v19, 1
	s_delay_alu instid0(VALU_DEP_1) | instskip(SKIP_2) | instid1(VALU_DEP_1)
	v_cndmask_b32_e64 v5, 0, 1, vcc_lo
	v_add_co_ci_u32_e32 v20, vcc_lo, 0, v20, vcc_lo
	s_mov_b32 s0, exec_lo
	v_cmp_eq_u32_e32 vcc_lo, 0, v20
	s_delay_alu instid0(VALU_DEP_3) | instskip(NEXT) | instid1(VALU_DEP_1)
	v_cndmask_b32_e32 v5, 0, v5, vcc_lo
	v_add_nc_u32_e32 v18, v5, v18
	s_delay_alu instid0(VALU_DEP_1) | instskip(SKIP_2) | instid1(VALU_DEP_2)
	v_cmp_eq_u32_e32 vcc_lo, 0, v18
	v_cndmask_b32_e32 v5, 0, v5, vcc_lo
	v_mad_u64_u32 v[7:8], null, 0xcd9e8d57, v18, 0
	v_add_nc_u32_e32 v49, v5, v49
	v_mad_u64_u32 v[5:6], null, 0xd2511f53, v19, 0
	s_delay_alu instid0(VALU_DEP_3) | instskip(NEXT) | instid1(VALU_DEP_2)
	v_xor3_b32 v10, v8, v12, v20
	v_xor_b32_e32 v6, v6, v13
	s_delay_alu instid0(VALU_DEP_2) | instskip(NEXT) | instid1(VALU_DEP_2)
	v_mad_u64_u32 v[8:9], null, 0xd2511f53, v10, 0
	v_xor_b32_e32 v6, v49, v6
	s_delay_alu instid0(VALU_DEP_2) | instskip(NEXT) | instid1(VALU_DEP_2)
	v_xor3_b32 v9, v21, v9, v5
	v_mad_u64_u32 v[10:11], null, 0xcd9e8d57, v6, 0
	s_delay_alu instid0(VALU_DEP_2) | instskip(NEXT) | instid1(VALU_DEP_2)
	v_mad_u64_u32 v[5:6], null, 0xcd9e8d57, v9, 0
	v_xor3_b32 v7, v22, v11, v7
	s_delay_alu instid0(VALU_DEP_2) | instskip(NEXT) | instid1(VALU_DEP_2)
	v_xor3_b32 v9, v23, v6, v10
	v_mad_u64_u32 v[16:17], null, 0xd2511f53, v7, 0
	s_delay_alu instid0(VALU_DEP_2) | instskip(NEXT) | instid1(VALU_DEP_2)
	v_mad_u64_u32 v[6:7], null, 0xd2511f53, v9, 0
	v_xor3_b32 v10, v24, v17, v8
	s_delay_alu instid0(VALU_DEP_2) | instskip(NEXT) | instid1(VALU_DEP_2)
	v_xor3_b32 v7, v25, v7, v16
	v_mad_u64_u32 v[8:9], null, 0xcd9e8d57, v10, 0
	s_delay_alu instid0(VALU_DEP_1) | instskip(NEXT) | instid1(VALU_DEP_3)
	v_xor3_b32 v5, v26, v9, v5
	v_mad_u64_u32 v[9:10], null, 0xcd9e8d57, v7, 0
	s_delay_alu instid0(VALU_DEP_2) | instskip(NEXT) | instid1(VALU_DEP_2)
	v_mad_u64_u32 v[16:17], null, 0xd2511f53, v5, 0
	v_xor3_b32 v7, v27, v10, v8
	s_delay_alu instid0(VALU_DEP_2) | instskip(NEXT) | instid1(VALU_DEP_2)
	v_xor3_b32 v10, v28, v17, v6
	v_mad_u64_u32 v[5:6], null, 0xd2511f53, v7, 0
	s_delay_alu instid0(VALU_DEP_2) | instskip(NEXT) | instid1(VALU_DEP_2)
	v_mad_u64_u32 v[7:8], null, 0xcd9e8d57, v10, 0
	v_xor3_b32 v6, v32, v6, v16
	s_delay_alu instid0(VALU_DEP_2) | instskip(NEXT) | instid1(VALU_DEP_2)
	;; [unrolled: 6-line block ×6, first 2 shown]
	v_xor3_b32 v5, v7, v8, v30
	v_mov_b32_e32 v7, v11
	v_cmpx_lt_i32_e32 1, v29
	s_xor_b32 s0, exec_lo, s0
	s_cbranch_execz .LBB81_11
; %bb.6:                                ;   in Loop: Header=BB81_5 Depth=1
	s_mov_b32 s1, exec_lo
	v_cmpx_lt_i32_e32 2, v29
	s_xor_b32 s1, exec_lo, s1
; %bb.7:                                ;   in Loop: Header=BB81_5 Depth=1
	v_dual_mov_b32 v8, v4 :: v_dual_mov_b32 v9, v5
	v_mov_b32_e32 v10, v6
	s_delay_alu instid0(VALU_DEP_2) | instskip(NEXT) | instid1(VALU_DEP_2)
	v_dual_mov_b32 v1, v8 :: v_dual_mov_b32 v2, v9
	v_dual_mov_b32 v3, v10 :: v_dual_mov_b32 v4, v11
; %bb.8:                                ;   in Loop: Header=BB81_5 Depth=1
	s_and_not1_saveexec_b32 s1, s1
; %bb.9:                                ;   in Loop: Header=BB81_5 Depth=1
	s_delay_alu instid0(VALU_DEP_1)
	v_dual_mov_b32 v1, v3 :: v_dual_mov_b32 v2, v4
	v_dual_mov_b32 v3, v5 :: v_dual_mov_b32 v4, v6
; %bb.10:                               ;   in Loop: Header=BB81_5 Depth=1
	s_or_b32 exec_lo, exec_lo, s1
.LBB81_11:                              ;   in Loop: Header=BB81_5 Depth=1
	s_and_not1_saveexec_b32 s0, s0
	s_cbranch_execz .LBB81_15
; %bb.12:                               ;   in Loop: Header=BB81_5 Depth=1
	s_mov_b32 s1, exec_lo
	v_cmpx_eq_u32_e32 1, v29
; %bb.13:                               ;   in Loop: Header=BB81_5 Depth=1
	v_dual_mov_b32 v1, v2 :: v_dual_mov_b32 v2, v3
	v_dual_mov_b32 v3, v4 :: v_dual_mov_b32 v4, v5
; %bb.14:                               ;   in Loop: Header=BB81_5 Depth=1
	s_or_b32 exec_lo, exec_lo, s1
.LBB81_15:                              ;   in Loop: Header=BB81_5 Depth=1
	s_delay_alu instid0(SALU_CYCLE_1) | instskip(SKIP_1) | instid1(VALU_DEP_1)
	s_or_b32 exec_lo, exec_lo, s0
	v_add_nc_u32_e32 v8, s13, v0
	v_cmp_gt_u32_e64 s2, s4, v8
	s_delay_alu instid0(VALU_DEP_1)
	s_and_saveexec_b32 s0, s2
	s_cbranch_execz .LBB81_17
; %bb.16:                               ;   in Loop: Header=BB81_5 Depth=1
	v_add_nc_u32_e32 v14, s21, v41
	s_delay_alu instid0(VALU_DEP_1) | instskip(NEXT) | instid1(VALU_DEP_1)
	v_lshlrev_b64 v[8:9], 1, v[14:15]
	v_add_co_u32 v8, vcc_lo, s6, v8
	s_delay_alu instid0(VALU_DEP_2)
	v_add_co_ci_u32_e32 v9, vcc_lo, s7, v9, vcc_lo
	global_load_u16 v53, v[8:9], off
.LBB81_17:                              ;   in Loop: Header=BB81_5 Depth=1
	s_or_b32 exec_lo, exec_lo, s0
	v_add_nc_u32_e32 v8, s15, v0
	s_delay_alu instid0(VALU_DEP_1) | instskip(NEXT) | instid1(VALU_DEP_1)
	v_cmp_gt_u32_e64 s1, s4, v8
	s_and_saveexec_b32 s0, s1
	s_cbranch_execz .LBB81_19
; %bb.18:                               ;   in Loop: Header=BB81_5 Depth=1
	v_add_nc_u32_e32 v14, s21, v48
	s_delay_alu instid0(VALU_DEP_1) | instskip(NEXT) | instid1(VALU_DEP_1)
	v_lshlrev_b64 v[8:9], 1, v[14:15]
	v_add_co_u32 v8, vcc_lo, s6, v8
	s_delay_alu instid0(VALU_DEP_2)
	v_add_co_ci_u32_e32 v9, vcc_lo, s7, v9, vcc_lo
	global_load_u16 v52, v[8:9], off
.LBB81_19:                              ;   in Loop: Header=BB81_5 Depth=1
	s_or_b32 exec_lo, exec_lo, s0
	v_add_nc_u32_e32 v8, s17, v0
	s_delay_alu instid0(VALU_DEP_1) | instskip(NEXT) | instid1(VALU_DEP_1)
	v_cmp_gt_u32_e64 s0, s4, v8
	s_and_saveexec_b32 s3, s0
	s_cbranch_execz .LBB81_21
; %bb.20:                               ;   in Loop: Header=BB81_5 Depth=1
	v_add_nc_u32_e32 v14, s21, v43
	s_delay_alu instid0(VALU_DEP_1) | instskip(NEXT) | instid1(VALU_DEP_1)
	v_lshlrev_b64 v[8:9], 1, v[14:15]
	v_add_co_u32 v8, vcc_lo, s6, v8
	s_delay_alu instid0(VALU_DEP_2)
	v_add_co_ci_u32_e32 v9, vcc_lo, s7, v9, vcc_lo
	global_load_u16 v51, v[8:9], off
.LBB81_21:                              ;   in Loop: Header=BB81_5 Depth=1
	s_or_b32 exec_lo, exec_lo, s3
	v_add_nc_u32_e32 v8, s18, v0
	s_delay_alu instid0(VALU_DEP_1)
	v_cmp_gt_u32_e32 vcc_lo, s4, v8
	s_and_saveexec_b32 s23, vcc_lo
	s_cbranch_execnz .LBB81_26
; %bb.22:                               ;   in Loop: Header=BB81_5 Depth=1
	s_or_b32 exec_lo, exec_lo, s23
	s_and_saveexec_b32 s23, s2
	s_cbranch_execnz .LBB81_27
.LBB81_23:                              ;   in Loop: Header=BB81_5 Depth=1
	s_or_b32 exec_lo, exec_lo, s23
	s_and_saveexec_b32 s3, s1
	s_cbranch_execnz .LBB81_28
.LBB81_24:                              ;   in Loop: Header=BB81_5 Depth=1
	s_or_b32 exec_lo, exec_lo, s3
	s_and_saveexec_b32 s2, s0
	s_cbranch_execnz .LBB81_29
.LBB81_25:                              ;   in Loop: Header=BB81_5 Depth=1
	s_or_b32 exec_lo, exec_lo, s2
	s_and_saveexec_b32 s1, vcc_lo
	s_cbranch_execz .LBB81_4
	s_branch .LBB81_30
.LBB81_26:                              ;   in Loop: Header=BB81_5 Depth=1
	v_add_nc_u32_e32 v14, s21, v45
	s_delay_alu instid0(VALU_DEP_1) | instskip(NEXT) | instid1(VALU_DEP_1)
	v_lshlrev_b64 v[8:9], 1, v[14:15]
	v_add_co_u32 v8, s3, s6, v8
	s_delay_alu instid0(VALU_DEP_1)
	v_add_co_ci_u32_e64 v9, s3, s7, v9, s3
	global_load_u16 v50, v[8:9], off
	s_or_b32 exec_lo, exec_lo, s23
	s_and_saveexec_b32 s23, s2
	s_cbranch_execz .LBB81_23
.LBB81_27:                              ;   in Loop: Header=BB81_5 Depth=1
	v_cvt_f32_u32_e32 v1, v1
	s_waitcnt vmcnt(0)
	v_lshlrev_b32_e32 v8, 16, v53
	s_delay_alu instid0(VALU_DEP_2) | instskip(NEXT) | instid1(VALU_DEP_1)
	v_dual_fmaak_f32 v1, 0x2f800000, v1, 0x2f800000 :: v_dual_add_nc_u32 v14, s22, v40
	v_cmp_gt_f32_e64 s2, s5, v1
	s_delay_alu instid0(VALU_DEP_1) | instskip(NEXT) | instid1(VALU_DEP_1)
	v_cndmask_b32_e64 v1, 0, 1.0, s2
	v_mul_f32_e32 v1, v1, v8
	s_delay_alu instid0(VALU_DEP_1) | instskip(NEXT) | instid1(VALU_DEP_1)
	v_mul_f32_e32 v1, v42, v1
	v_bfe_u32 v8, v1, 16, 1
	s_delay_alu instid0(VALU_DEP_1) | instskip(SKIP_1) | instid1(VALU_DEP_2)
	v_add3_u32 v10, v1, v8, 0x7fff
	v_lshlrev_b64 v[8:9], 1, v[14:15]
	v_lshrrev_b32_e32 v10, 16, v10
	s_delay_alu instid0(VALU_DEP_2) | instskip(NEXT) | instid1(VALU_DEP_1)
	v_add_co_u32 v8, s3, s10, v8
	v_add_co_ci_u32_e64 v9, s3, s11, v9, s3
	v_cmp_o_f32_e64 s3, v1, v1
	s_delay_alu instid0(VALU_DEP_1)
	v_cndmask_b32_e64 v1, 0x7fc0, v10, s3
	v_cndmask_b32_e64 v10, 0, 1, s2
	global_store_b16 v[8:9], v1, off
	global_store_b8 v14, v10, s[8:9]
	s_or_b32 exec_lo, exec_lo, s23
	s_and_saveexec_b32 s3, s1
	s_cbranch_execz .LBB81_24
.LBB81_28:                              ;   in Loop: Header=BB81_5 Depth=1
	v_cvt_f32_u32_e32 v1, v2
	s_waitcnt vmcnt(0)
	v_lshlrev_b32_e32 v2, 16, v52
	s_delay_alu instid0(VALU_DEP_2) | instskip(NEXT) | instid1(VALU_DEP_1)
	v_dual_fmaak_f32 v1, 0x2f800000, v1, 0x2f800000 :: v_dual_add_nc_u32 v14, s22, v47
	v_cmp_gt_f32_e64 s1, s5, v1
	s_delay_alu instid0(VALU_DEP_1) | instskip(NEXT) | instid1(VALU_DEP_1)
	v_cndmask_b32_e64 v1, 0, 1.0, s1
	v_mul_f32_e32 v1, v1, v2
	s_delay_alu instid0(VALU_DEP_1) | instskip(NEXT) | instid1(VALU_DEP_1)
	v_mul_f32_e32 v8, v42, v1
	v_bfe_u32 v1, v8, 16, 1
	s_delay_alu instid0(VALU_DEP_1) | instskip(SKIP_1) | instid1(VALU_DEP_2)
	v_add3_u32 v9, v8, v1, 0x7fff
	v_lshlrev_b64 v[1:2], 1, v[14:15]
	v_lshrrev_b32_e32 v9, 16, v9
	s_delay_alu instid0(VALU_DEP_2) | instskip(NEXT) | instid1(VALU_DEP_1)
	v_add_co_u32 v1, s2, s10, v1
	v_add_co_ci_u32_e64 v2, s2, s11, v2, s2
	v_cmp_o_f32_e64 s2, v8, v8
	s_delay_alu instid0(VALU_DEP_1)
	v_cndmask_b32_e64 v8, 0x7fc0, v9, s2
	v_cndmask_b32_e64 v9, 0, 1, s1
	global_store_b16 v[1:2], v8, off
	global_store_b8 v14, v9, s[8:9]
	s_or_b32 exec_lo, exec_lo, s3
	s_and_saveexec_b32 s2, s0
	s_cbranch_execz .LBB81_25
.LBB81_29:                              ;   in Loop: Header=BB81_5 Depth=1
	v_cvt_f32_u32_e32 v1, v3
	s_waitcnt vmcnt(0)
	v_lshlrev_b32_e32 v2, 16, v51
	s_delay_alu instid0(VALU_DEP_2) | instskip(NEXT) | instid1(VALU_DEP_1)
	v_dual_fmaak_f32 v1, 0x2f800000, v1, 0x2f800000 :: v_dual_add_nc_u32 v14, s22, v44
	v_cmp_gt_f32_e64 s0, s5, v1
	s_delay_alu instid0(VALU_DEP_1) | instskip(NEXT) | instid1(VALU_DEP_1)
	v_cndmask_b32_e64 v1, 0, 1.0, s0
	v_mul_f32_e32 v1, v1, v2
	s_delay_alu instid0(VALU_DEP_1) | instskip(NEXT) | instid1(VALU_DEP_1)
	v_mul_f32_e32 v3, v42, v1
	v_bfe_u32 v1, v3, 16, 1
	s_delay_alu instid0(VALU_DEP_1) | instskip(SKIP_1) | instid1(VALU_DEP_2)
	v_add3_u32 v8, v3, v1, 0x7fff
	v_lshlrev_b64 v[1:2], 1, v[14:15]
	v_lshrrev_b32_e32 v8, 16, v8
	s_delay_alu instid0(VALU_DEP_2) | instskip(NEXT) | instid1(VALU_DEP_1)
	v_add_co_u32 v1, s1, s10, v1
	v_add_co_ci_u32_e64 v2, s1, s11, v2, s1
	v_cmp_o_f32_e64 s1, v3, v3
	s_delay_alu instid0(VALU_DEP_1)
	v_cndmask_b32_e64 v3, 0x7fc0, v8, s1
	v_cndmask_b32_e64 v8, 0, 1, s0
	global_store_b16 v[1:2], v3, off
	global_store_b8 v14, v8, s[8:9]
	s_or_b32 exec_lo, exec_lo, s2
	s_and_saveexec_b32 s1, vcc_lo
	s_cbranch_execz .LBB81_4
.LBB81_30:                              ;   in Loop: Header=BB81_5 Depth=1
	v_cvt_f32_u32_e32 v1, v4
	s_waitcnt vmcnt(0)
	v_lshlrev_b32_e32 v2, 16, v50
	s_delay_alu instid0(VALU_DEP_2) | instskip(NEXT) | instid1(VALU_DEP_1)
	v_dual_fmaak_f32 v1, 0x2f800000, v1, 0x2f800000 :: v_dual_add_nc_u32 v14, s22, v46
	v_cmp_gt_f32_e32 vcc_lo, s5, v1
	v_cndmask_b32_e64 v1, 0, 1.0, vcc_lo
	s_delay_alu instid0(VALU_DEP_1) | instskip(NEXT) | instid1(VALU_DEP_1)
	v_mul_f32_e32 v1, v1, v2
	v_mul_f32_e32 v3, v42, v1
	s_delay_alu instid0(VALU_DEP_1) | instskip(NEXT) | instid1(VALU_DEP_1)
	v_bfe_u32 v1, v3, 16, 1
	v_add3_u32 v4, v3, v1, 0x7fff
	v_lshlrev_b64 v[1:2], 1, v[14:15]
	s_delay_alu instid0(VALU_DEP_2) | instskip(NEXT) | instid1(VALU_DEP_2)
	v_lshrrev_b32_e32 v4, 16, v4
	v_add_co_u32 v1, s0, s10, v1
	s_delay_alu instid0(VALU_DEP_1) | instskip(SKIP_1) | instid1(VALU_DEP_1)
	v_add_co_ci_u32_e64 v2, s0, s11, v2, s0
	v_cmp_o_f32_e64 s0, v3, v3
	v_cndmask_b32_e64 v3, 0x7fc0, v4, s0
	v_cndmask_b32_e64 v4, 0, 1, vcc_lo
	global_store_b16 v[1:2], v3, off
	global_store_b8 v14, v4, s[8:9]
	s_branch .LBB81_4
.LBB81_31:
	s_endpgm
	.section	.rodata,"a",@progbits
	.p2align	6, 0x0
	.amdhsa_kernel _ZN2at6native12_GLOBAL__N_120fused_dropout_kernelIN3c108BFloat16EfjLi1ELi1EhEEvNS_4cuda6detail10TensorInfoIKT_T1_EENS7_IS8_SA_EENS7_IT4_SA_EESA_T0_NS_15PhiloxCudaStateE
		.amdhsa_group_segment_fixed_size 0
		.amdhsa_private_segment_fixed_size 0
		.amdhsa_kernarg_size 944
		.amdhsa_user_sgpr_count 15
		.amdhsa_user_sgpr_dispatch_ptr 0
		.amdhsa_user_sgpr_queue_ptr 0
		.amdhsa_user_sgpr_kernarg_segment_ptr 1
		.amdhsa_user_sgpr_dispatch_id 0
		.amdhsa_user_sgpr_private_segment_size 0
		.amdhsa_wavefront_size32 1
		.amdhsa_uses_dynamic_stack 0
		.amdhsa_enable_private_segment 0
		.amdhsa_system_sgpr_workgroup_id_x 1
		.amdhsa_system_sgpr_workgroup_id_y 0
		.amdhsa_system_sgpr_workgroup_id_z 0
		.amdhsa_system_sgpr_workgroup_info 0
		.amdhsa_system_vgpr_workitem_id 0
		.amdhsa_next_free_vgpr 54
		.amdhsa_next_free_sgpr 24
		.amdhsa_reserve_vcc 1
		.amdhsa_float_round_mode_32 0
		.amdhsa_float_round_mode_16_64 0
		.amdhsa_float_denorm_mode_32 3
		.amdhsa_float_denorm_mode_16_64 3
		.amdhsa_dx10_clamp 1
		.amdhsa_ieee_mode 1
		.amdhsa_fp16_overflow 0
		.amdhsa_workgroup_processor_mode 1
		.amdhsa_memory_ordered 1
		.amdhsa_forward_progress 0
		.amdhsa_shared_vgpr_count 0
		.amdhsa_exception_fp_ieee_invalid_op 0
		.amdhsa_exception_fp_denorm_src 0
		.amdhsa_exception_fp_ieee_div_zero 0
		.amdhsa_exception_fp_ieee_overflow 0
		.amdhsa_exception_fp_ieee_underflow 0
		.amdhsa_exception_fp_ieee_inexact 0
		.amdhsa_exception_int_div_zero 0
	.end_amdhsa_kernel
	.section	.text._ZN2at6native12_GLOBAL__N_120fused_dropout_kernelIN3c108BFloat16EfjLi1ELi1EhEEvNS_4cuda6detail10TensorInfoIKT_T1_EENS7_IS8_SA_EENS7_IT4_SA_EESA_T0_NS_15PhiloxCudaStateE,"axG",@progbits,_ZN2at6native12_GLOBAL__N_120fused_dropout_kernelIN3c108BFloat16EfjLi1ELi1EhEEvNS_4cuda6detail10TensorInfoIKT_T1_EENS7_IS8_SA_EENS7_IT4_SA_EESA_T0_NS_15PhiloxCudaStateE,comdat
.Lfunc_end81:
	.size	_ZN2at6native12_GLOBAL__N_120fused_dropout_kernelIN3c108BFloat16EfjLi1ELi1EhEEvNS_4cuda6detail10TensorInfoIKT_T1_EENS7_IS8_SA_EENS7_IT4_SA_EESA_T0_NS_15PhiloxCudaStateE, .Lfunc_end81-_ZN2at6native12_GLOBAL__N_120fused_dropout_kernelIN3c108BFloat16EfjLi1ELi1EhEEvNS_4cuda6detail10TensorInfoIKT_T1_EENS7_IS8_SA_EENS7_IT4_SA_EESA_T0_NS_15PhiloxCudaStateE
                                        ; -- End function
	.section	.AMDGPU.csdata,"",@progbits
; Kernel info:
; codeLenInByte = 3064
; NumSgprs: 26
; NumVgprs: 54
; ScratchSize: 0
; MemoryBound: 0
; FloatMode: 240
; IeeeMode: 1
; LDSByteSize: 0 bytes/workgroup (compile time only)
; SGPRBlocks: 3
; VGPRBlocks: 6
; NumSGPRsForWavesPerEU: 26
; NumVGPRsForWavesPerEU: 54
; Occupancy: 16
; WaveLimiterHint : 1
; COMPUTE_PGM_RSRC2:SCRATCH_EN: 0
; COMPUTE_PGM_RSRC2:USER_SGPR: 15
; COMPUTE_PGM_RSRC2:TRAP_HANDLER: 0
; COMPUTE_PGM_RSRC2:TGID_X_EN: 1
; COMPUTE_PGM_RSRC2:TGID_Y_EN: 0
; COMPUTE_PGM_RSRC2:TGID_Z_EN: 0
; COMPUTE_PGM_RSRC2:TIDIG_COMP_CNT: 0
	.section	.text._ZN2at6native12_GLOBAL__N_120fused_dropout_kernelIN3c108BFloat16EfjLin1ELi1EhEEvNS_4cuda6detail10TensorInfoIKT_T1_EENS7_IS8_SA_EENS7_IT4_SA_EESA_T0_NS_15PhiloxCudaStateE,"axG",@progbits,_ZN2at6native12_GLOBAL__N_120fused_dropout_kernelIN3c108BFloat16EfjLin1ELi1EhEEvNS_4cuda6detail10TensorInfoIKT_T1_EENS7_IS8_SA_EENS7_IT4_SA_EESA_T0_NS_15PhiloxCudaStateE,comdat
	.globl	_ZN2at6native12_GLOBAL__N_120fused_dropout_kernelIN3c108BFloat16EfjLin1ELi1EhEEvNS_4cuda6detail10TensorInfoIKT_T1_EENS7_IS8_SA_EENS7_IT4_SA_EESA_T0_NS_15PhiloxCudaStateE ; -- Begin function _ZN2at6native12_GLOBAL__N_120fused_dropout_kernelIN3c108BFloat16EfjLin1ELi1EhEEvNS_4cuda6detail10TensorInfoIKT_T1_EENS7_IS8_SA_EENS7_IT4_SA_EESA_T0_NS_15PhiloxCudaStateE
	.p2align	8
	.type	_ZN2at6native12_GLOBAL__N_120fused_dropout_kernelIN3c108BFloat16EfjLin1ELi1EhEEvNS_4cuda6detail10TensorInfoIKT_T1_EENS7_IS8_SA_EENS7_IT4_SA_EESA_T0_NS_15PhiloxCudaStateE,@function
_ZN2at6native12_GLOBAL__N_120fused_dropout_kernelIN3c108BFloat16EfjLin1ELi1EhEEvNS_4cuda6detail10TensorInfoIKT_T1_EENS7_IS8_SA_EENS7_IT4_SA_EESA_T0_NS_15PhiloxCudaStateE: ; @_ZN2at6native12_GLOBAL__N_120fused_dropout_kernelIN3c108BFloat16EfjLin1ELi1EhEEvNS_4cuda6detail10TensorInfoIKT_T1_EENS7_IS8_SA_EENS7_IT4_SA_EESA_T0_NS_15PhiloxCudaStateE
; %bb.0:
	s_clause 0x1
	s_load_b128 s[4:7], s[0:1], 0x290
	s_load_b32 s2, s[0:1], 0x2a8
	s_waitcnt lgkmcnt(0)
	v_dual_mov_b32 v1, s6 :: v_dual_mov_b32 v2, s7
	v_dual_mov_b32 v12, s5 :: v_dual_mov_b32 v11, s4
	s_bitcmp0_b32 s2, 0
	s_cbranch_scc1 .LBB82_2
; %bb.1:
	v_dual_mov_b32 v1, s6 :: v_dual_mov_b32 v2, s7
	v_dual_mov_b32 v3, s4 :: v_dual_mov_b32 v4, s5
	s_load_b64 s[2:3], s[0:1], 0x2a0
	flat_load_b64 v[1:2], v[1:2]
	flat_load_b64 v[11:12], v[3:4]
	s_waitcnt vmcnt(1) lgkmcnt(0)
	v_add_co_u32 v1, vcc_lo, v1, s2
	v_add_co_ci_u32_e32 v2, vcc_lo, s3, v2, vcc_lo
.LBB82_2:
	s_clause 0x2
	s_load_b32 s2, s[0:1], 0x2bc
	s_load_b32 s18, s[0:1], 0x2b0
	s_load_b64 s[4:5], s[0:1], 0x288
	s_waitcnt lgkmcnt(0)
	s_and_b32 s2, s2, 0xffff
	s_add_i32 s7, s4, -1
	s_mul_i32 s18, s18, s2
	v_mad_u64_u32 v[13:14], null, s15, s2, v[0:1]
	s_lshl_b32 s19, s18, 2
	s_delay_alu instid0(SALU_CYCLE_1) | instskip(SKIP_1) | instid1(VALU_DEP_1)
	v_cvt_f32_u32_e32 v3, s19
	s_sub_i32 s6, 0, s19
	v_rcp_iflag_f32_e32 v3, v3
	s_waitcnt_depctr 0xfff
	v_mul_f32_e32 v3, 0x4f7ffffe, v3
	s_delay_alu instid0(VALU_DEP_1) | instskip(NEXT) | instid1(VALU_DEP_1)
	v_cvt_u32_f32_e32 v3, v3
	v_readfirstlane_b32 s3, v3
	s_delay_alu instid0(VALU_DEP_1) | instskip(NEXT) | instid1(SALU_CYCLE_1)
	s_mul_i32 s6, s6, s3
	s_mul_hi_u32 s6, s3, s6
	s_delay_alu instid0(SALU_CYCLE_1) | instskip(NEXT) | instid1(SALU_CYCLE_1)
	s_add_i32 s3, s3, s6
	s_mul_hi_u32 s3, s7, s3
	s_delay_alu instid0(SALU_CYCLE_1) | instskip(NEXT) | instid1(SALU_CYCLE_1)
	s_mul_i32 s6, s3, s19
	s_sub_i32 s6, s7, s6
	s_add_i32 s7, s3, 1
	s_sub_i32 s8, s6, s19
	s_cmp_ge_u32 s6, s19
	s_cselect_b32 s2, s7, s3
	s_cselect_b32 s3, s8, s6
	s_add_i32 s6, s2, 1
	s_cmp_ge_u32 s3, s19
	s_cselect_b32 s2, s6, s2
	s_delay_alu instid0(SALU_CYCLE_1) | instskip(NEXT) | instid1(SALU_CYCLE_1)
	s_add_i32 s2, s2, 1
	s_mul_i32 s20, s19, s2
	s_mov_b32 s2, exec_lo
	v_cmpx_gt_u32_e64 s20, v13
	s_cbranch_execz .LBB82_43
; %bb.3:
	v_alignbit_b32 v18, v2, v1, 2
	v_mad_u64_u32 v[3:4], null, 0xcd9e8d57, v13, 0
	v_lshrrev_b32_e32 v19, 2, v2
	s_waitcnt vmcnt(0)
	v_dual_mov_b32 v10, v12 :: v_dual_mov_b32 v15, 0
	v_mad_u64_u32 v[5:6], null, 0xd2511f53, v18, 0
	v_add_co_u32 v21, null, 0x9e3779b9, v11
	v_xor3_b32 v0, v11, v4, v19
	s_delay_alu instid0(VALU_DEP_4) | instskip(SKIP_2) | instid1(VALU_DEP_4)
	v_add_co_u32 v20, null, 0xbb67ae85, v10
	v_add_co_u32 v22, null, 0x3c6ef372, v11
	v_xor_b32_e32 v2, v6, v12
	v_mad_u64_u32 v[6:7], null, 0xd2511f53, v0, 0
	v_add_co_u32 v23, null, 0x76cf5d0a, v10
	s_delay_alu instid0(VALU_DEP_3) | instskip(SKIP_1) | instid1(VALU_DEP_4)
	v_mad_u64_u32 v[8:9], null, 0xcd9e8d57, v2, 0
	v_add_co_u32 v24, null, 0x32370b8f, v10
	v_xor3_b32 v0, v20, v7, v5
	v_add_co_u32 v25, null, 0xdaa66d2b, v11
	v_add_co_u32 v26, null, 0x78dde6e4, v11
	v_xor3_b32 v7, v9, v21, v3
	s_delay_alu instid0(VALU_DEP_4) | instskip(SKIP_1) | instid1(VALU_DEP_3)
	v_mad_u64_u32 v[2:3], null, 0xcd9e8d57, v0, 0
	v_add_co_u32 v27, null, 0xed9eba14, v10
	v_mad_u64_u32 v[4:5], null, 0xd2511f53, v7, 0
	v_dual_mov_b32 v39, v13 :: v_dual_and_b32 v28, 3, v1
	s_delay_alu instid0(VALU_DEP_4) | instskip(SKIP_3) | instid1(VALU_DEP_4)
	v_xor3_b32 v0, v22, v3, v8
	v_add_co_u32 v31, null, 0xa9066899, v10
	v_add_co_u32 v32, null, 0x1715609d, v11
	v_xor3_b32 v3, v5, v23, v6
	v_mad_u64_u32 v[5:6], null, 0xd2511f53, v0, 0
	v_add_co_u32 v33, null, 0xb54cda56, v11
	s_delay_alu instid0(VALU_DEP_3) | instskip(SKIP_1) | instid1(VALU_DEP_4)
	v_mad_u64_u32 v[7:8], null, 0xcd9e8d57, v3, 0
	v_add_co_u32 v34, null, 0x646e171e, v10
	v_xor3_b32 v0, v24, v6, v4
	v_add_co_u32 v35, null, 0x1fd5c5a3, v10
	v_add_co_u32 v36, null, 0x5384540f, v11
	v_xor3_b32 v4, v8, v25, v2
	s_delay_alu instid0(VALU_DEP_4) | instskip(SKIP_1) | instid1(VALU_DEP_3)
	v_mad_u64_u32 v[2:3], null, 0xcd9e8d57, v0, 0
	v_div_scale_f32 v16, vcc_lo, 1.0, s5, 1.0
	v_mad_u64_u32 v[8:9], null, 0xd2511f53, v4, 0
	s_clause 0x3
	s_load_b64 s[6:7], s[0:1], 0x1b0
	s_load_b32 s21, s[0:1], 0x144
	s_load_b64 s[10:11], s[0:1], 0xd8
	s_load_b32 s14, s[0:1], 0xd0
	v_xor3_b32 v3, v26, v3, v7
	v_add_co_u32 v37, null, 0xf1bbcdc8, v11
	v_add_co_u32 v38, null, 0xdb3d7428, v10
	v_xor3_b32 v5, v9, v27, v5
	s_delay_alu instid0(VALU_DEP_4) | instskip(SKIP_1) | instid1(VALU_DEP_3)
	v_mad_u64_u32 v[0:1], null, 0xd2511f53, v3, 0
	v_div_scale_f32 v9, null, s5, s5, 1.0
	v_mad_u64_u32 v[3:4], null, 0xcd9e8d57, v5, 0
	s_clause 0x1
	s_load_b32 s22, s[0:1], 0x6c
	s_load_b64 s[12:13], s[0:1], 0x0
	v_rcp_f32_e32 v14, v9
	s_delay_alu instid0(VALU_DEP_3) | instskip(SKIP_3) | instid1(VALU_DEP_3)
	v_xor3_b32 v5, v31, v1, v8
	v_dual_mov_b32 v41, 0 :: v_dual_add_nc_u32 v30, 0x96a522ad, v12
	s_mov_b32 s9, 0
	v_xor3_b32 v6, v4, v32, v2
	v_mad_u64_u32 v[1:2], null, 0xcd9e8d57, v5, 0
	s_waitcnt lgkmcnt(0)
	s_cmp_gt_i32 s14, 1
                                        ; implicit-def: $vgpr42
                                        ; implicit-def: $vgpr43
                                        ; implicit-def: $vgpr44
                                        ; implicit-def: $vgpr45
	s_delay_alu instid0(VALU_DEP_2)
	v_mad_u64_u32 v[4:5], null, 0xd2511f53, v6, 0
	s_waitcnt_depctr 0xfff
	v_fma_f32 v6, -v9, v14, 1.0
	v_add_nc_u32_e32 v29, 0x8ff34781, v11
	s_cselect_b32 s23, -1, 0
	s_add_i32 s8, s14, -1
	s_delay_alu instid0(VALU_DEP_2)
	v_fmac_f32_e32 v14, v6, v14
	v_xor3_b32 v6, v33, v2, v3
	v_xor3_b32 v0, v5, v34, v0
	s_lshl_b64 s[2:3], s[8:9], 2
	s_add_i32 s8, s14, 1
	v_mul_f32_e32 v8, v16, v14
	v_mad_u64_u32 v[2:3], null, 0xd2511f53, v6, 0
	v_mad_u64_u32 v[5:6], null, 0xcd9e8d57, v0, 0
	s_delay_alu instid0(VALU_DEP_3) | instskip(SKIP_3) | instid1(VALU_DEP_3)
	v_fma_f32 v17, -v9, v8, v16
	s_add_u32 s0, s2, s0
	s_addc_u32 s1, s3, s1
	s_add_u32 s14, s0, 8
	v_xor3_b32 v3, v35, v3, v4
	v_fmac_f32_e32 v8, v17, v14
	s_delay_alu instid0(VALU_DEP_4) | instskip(SKIP_1) | instid1(VALU_DEP_3)
	v_xor3_b32 v4, v6, v36, v1
	s_addc_u32 s15, s1, 0
	v_mad_u64_u32 v[0:1], null, 0xcd9e8d57, v3, 0
	s_delay_alu instid0(VALU_DEP_2) | instskip(NEXT) | instid1(VALU_DEP_2)
	v_mad_u64_u32 v[6:7], null, 0xd2511f53, v4, 0
	v_xor3_b32 v1, v37, v1, v5
	s_delay_alu instid0(VALU_DEP_2) | instskip(SKIP_1) | instid1(VALU_DEP_3)
	v_xor3_b32 v5, v7, v38, v2
	v_fma_f32 v7, -v9, v8, v16
	v_mad_u64_u32 v[3:4], null, 0xd2511f53, v1, 0
	s_delay_alu instid0(VALU_DEP_3) | instskip(NEXT) | instid1(VALU_DEP_3)
	v_mad_u64_u32 v[1:2], null, 0xcd9e8d57, v5, 0
	v_div_fmas_f32 v5, v7, v14, v8
	s_delay_alu instid0(VALU_DEP_1) | instskip(NEXT) | instid1(VALU_DEP_3)
	v_div_fixup_f32 v40, v5, s5, 1.0
	v_xor3_b32 v0, v0, v2, v29
	v_xor3_b32 v2, v4, v6, v30
	s_branch .LBB82_5
.LBB82_4:                               ;   in Loop: Header=BB82_5 Depth=1
	s_or_b32 exec_lo, exec_lo, s1
	v_mov_b32_e32 v7, v16
	v_dual_mov_b32 v0, v4 :: v_dual_add_nc_u32 v13, s19, v13
	v_dual_mov_b32 v1, v5 :: v_dual_mov_b32 v2, v6
	s_delay_alu instid0(VALU_DEP_3) | instskip(NEXT) | instid1(VALU_DEP_3)
	v_mov_b32_e32 v3, v7
	v_cmp_le_u32_e32 vcc_lo, s20, v13
	s_waitcnt vmcnt(0)
	s_waitcnt_vscnt null, 0x0
	s_barrier
	buffer_gl0_inv
	s_or_b32 s9, vcc_lo, s9
	s_delay_alu instid0(SALU_CYCLE_1)
	s_and_not1_b32 exec_lo, exec_lo, s9
	s_cbranch_execz .LBB82_43
.LBB82_5:                               ; =>This Loop Header: Depth=1
                                        ;     Child Loop BB82_18 Depth 2
                                        ;     Child Loop BB82_23 Depth 2
	;; [unrolled: 1-line block ×4, first 2 shown]
	v_add_co_u32 v18, vcc_lo, v18, 1
	s_delay_alu instid0(VALU_DEP_1) | instskip(SKIP_2) | instid1(VALU_DEP_1)
	v_cndmask_b32_e64 v4, 0, 1, vcc_lo
	v_add_co_ci_u32_e32 v19, vcc_lo, 0, v19, vcc_lo
	s_mov_b32 s0, exec_lo
	v_cmp_eq_u32_e32 vcc_lo, 0, v19
	s_delay_alu instid0(VALU_DEP_3) | instskip(NEXT) | instid1(VALU_DEP_1)
	v_cndmask_b32_e32 v4, 0, v4, vcc_lo
	v_add_nc_u32_e32 v39, v4, v39
	s_delay_alu instid0(VALU_DEP_1) | instskip(SKIP_2) | instid1(VALU_DEP_2)
	v_cmp_eq_u32_e32 vcc_lo, 0, v39
	v_cndmask_b32_e32 v4, 0, v4, vcc_lo
	v_mad_u64_u32 v[6:7], null, 0xcd9e8d57, v39, 0
	v_add_nc_u32_e32 v41, v4, v41
	v_mad_u64_u32 v[4:5], null, 0xd2511f53, v18, 0
	s_delay_alu instid0(VALU_DEP_3) | instskip(NEXT) | instid1(VALU_DEP_2)
	v_xor3_b32 v9, v7, v11, v19
	v_xor_b32_e32 v5, v5, v12
	s_delay_alu instid0(VALU_DEP_2) | instskip(NEXT) | instid1(VALU_DEP_2)
	v_mad_u64_u32 v[7:8], null, 0xd2511f53, v9, 0
	v_xor_b32_e32 v5, v41, v5
	s_delay_alu instid0(VALU_DEP_2) | instskip(NEXT) | instid1(VALU_DEP_2)
	v_xor3_b32 v8, v20, v8, v4
	v_mad_u64_u32 v[9:10], null, 0xcd9e8d57, v5, 0
	s_delay_alu instid0(VALU_DEP_2) | instskip(NEXT) | instid1(VALU_DEP_2)
	v_mad_u64_u32 v[4:5], null, 0xcd9e8d57, v8, 0
	v_xor3_b32 v6, v21, v10, v6
	s_delay_alu instid0(VALU_DEP_2) | instskip(NEXT) | instid1(VALU_DEP_2)
	v_xor3_b32 v8, v22, v5, v9
	v_mad_u64_u32 v[16:17], null, 0xd2511f53, v6, 0
	s_delay_alu instid0(VALU_DEP_2) | instskip(NEXT) | instid1(VALU_DEP_2)
	v_mad_u64_u32 v[5:6], null, 0xd2511f53, v8, 0
	v_xor3_b32 v9, v23, v17, v7
	s_delay_alu instid0(VALU_DEP_2) | instskip(NEXT) | instid1(VALU_DEP_2)
	v_xor3_b32 v6, v24, v6, v16
	v_mad_u64_u32 v[7:8], null, 0xcd9e8d57, v9, 0
	s_delay_alu instid0(VALU_DEP_1) | instskip(NEXT) | instid1(VALU_DEP_3)
	v_xor3_b32 v4, v25, v8, v4
	v_mad_u64_u32 v[8:9], null, 0xcd9e8d57, v6, 0
	s_delay_alu instid0(VALU_DEP_2) | instskip(NEXT) | instid1(VALU_DEP_2)
	v_mad_u64_u32 v[16:17], null, 0xd2511f53, v4, 0
	v_xor3_b32 v6, v26, v9, v7
	s_delay_alu instid0(VALU_DEP_2) | instskip(NEXT) | instid1(VALU_DEP_2)
	v_xor3_b32 v9, v27, v17, v5
	v_mad_u64_u32 v[4:5], null, 0xd2511f53, v6, 0
	s_delay_alu instid0(VALU_DEP_2) | instskip(NEXT) | instid1(VALU_DEP_2)
	v_mad_u64_u32 v[6:7], null, 0xcd9e8d57, v9, 0
	v_xor3_b32 v5, v31, v5, v16
	s_delay_alu instid0(VALU_DEP_2) | instskip(NEXT) | instid1(VALU_DEP_2)
	;; [unrolled: 6-line block ×6, first 2 shown]
	v_xor3_b32 v4, v6, v7, v29
	v_mov_b32_e32 v6, v10
	v_cmpx_lt_i32_e32 1, v28
	s_xor_b32 s0, exec_lo, s0
	s_cbranch_execnz .LBB82_8
; %bb.6:                                ;   in Loop: Header=BB82_5 Depth=1
	s_and_not1_saveexec_b32 s0, s0
	s_cbranch_execnz .LBB82_13
.LBB82_7:                               ;   in Loop: Header=BB82_5 Depth=1
	s_or_b32 exec_lo, exec_lo, s0
	v_cmp_gt_u32_e64 s0, s4, v13
	s_delay_alu instid0(VALU_DEP_1)
	s_and_saveexec_b32 s1, s0
	s_cbranch_execnz .LBB82_16
	s_branch .LBB82_20
.LBB82_8:                               ;   in Loop: Header=BB82_5 Depth=1
	s_mov_b32 s1, exec_lo
	v_cmpx_lt_i32_e32 2, v28
	s_xor_b32 s1, exec_lo, s1
; %bb.9:                                ;   in Loop: Header=BB82_5 Depth=1
	v_dual_mov_b32 v7, v3 :: v_dual_mov_b32 v8, v4
	v_mov_b32_e32 v9, v5
	s_delay_alu instid0(VALU_DEP_2) | instskip(NEXT) | instid1(VALU_DEP_2)
	v_dual_mov_b32 v0, v7 :: v_dual_mov_b32 v1, v8
	v_dual_mov_b32 v2, v9 :: v_dual_mov_b32 v3, v10
; %bb.10:                               ;   in Loop: Header=BB82_5 Depth=1
	s_and_not1_saveexec_b32 s1, s1
; %bb.11:                               ;   in Loop: Header=BB82_5 Depth=1
	s_delay_alu instid0(VALU_DEP_1)
	v_dual_mov_b32 v0, v2 :: v_dual_mov_b32 v1, v3
	v_dual_mov_b32 v2, v4 :: v_dual_mov_b32 v3, v5
; %bb.12:                               ;   in Loop: Header=BB82_5 Depth=1
	s_or_b32 exec_lo, exec_lo, s1
	s_and_not1_saveexec_b32 s0, s0
	s_cbranch_execz .LBB82_7
.LBB82_13:                              ;   in Loop: Header=BB82_5 Depth=1
	s_mov_b32 s1, exec_lo
	v_cmpx_eq_u32_e32 1, v28
; %bb.14:                               ;   in Loop: Header=BB82_5 Depth=1
	v_dual_mov_b32 v0, v1 :: v_dual_mov_b32 v1, v2
	v_dual_mov_b32 v2, v3 :: v_dual_mov_b32 v3, v4
; %bb.15:                               ;   in Loop: Header=BB82_5 Depth=1
	s_or_b32 exec_lo, exec_lo, s1
	s_delay_alu instid0(SALU_CYCLE_1) | instskip(SKIP_1) | instid1(VALU_DEP_1)
	s_or_b32 exec_lo, exec_lo, s0
	v_cmp_gt_u32_e64 s0, s4, v13
	s_and_saveexec_b32 s1, s0
	s_cbranch_execz .LBB82_20
.LBB82_16:                              ;   in Loop: Header=BB82_5 Depth=1
	v_dual_mov_b32 v7, 0 :: v_dual_mov_b32 v8, v13
	s_and_not1_b32 vcc_lo, exec_lo, s23
	s_cbranch_vccnz .LBB82_19
; %bb.17:                               ;   in Loop: Header=BB82_5 Depth=1
	v_dual_mov_b32 v7, 0 :: v_dual_mov_b32 v8, v13
	s_mov_b64 s[2:3], s[14:15]
	s_mov_b32 s16, s8
	s_set_inst_prefetch_distance 0x1
	.p2align	6
.LBB82_18:                              ;   Parent Loop BB82_5 Depth=1
                                        ; =>  This Inner Loop Header: Depth=2
	s_clause 0x1
	s_load_b32 s17, s[2:3], 0x0
	s_load_b32 s24, s[2:3], 0x64
	s_add_i32 s16, s16, -1
	v_mov_b32_e32 v14, v8
	s_waitcnt lgkmcnt(0)
	v_cvt_f32_u32_e32 v9, s17
	s_sub_i32 s25, 0, s17
	s_add_u32 s2, s2, -4
	s_addc_u32 s3, s3, -1
	s_cmp_gt_u32 s16, 2
	v_rcp_iflag_f32_e32 v9, v9
	s_waitcnt_depctr 0xfff
	v_mul_f32_e32 v9, 0x4f7ffffe, v9
	s_delay_alu instid0(VALU_DEP_1) | instskip(NEXT) | instid1(VALU_DEP_1)
	v_cvt_u32_f32_e32 v9, v9
	v_mul_lo_u32 v10, s25, v9
	s_delay_alu instid0(VALU_DEP_1) | instskip(NEXT) | instid1(VALU_DEP_1)
	v_mul_hi_u32 v10, v9, v10
	v_add_nc_u32_e32 v8, v9, v10
	s_delay_alu instid0(VALU_DEP_1) | instskip(NEXT) | instid1(VALU_DEP_1)
	v_mul_hi_u32 v8, v14, v8
	v_mul_lo_u32 v9, v8, s17
	s_delay_alu instid0(VALU_DEP_1) | instskip(NEXT) | instid1(VALU_DEP_1)
	v_sub_nc_u32_e32 v9, v14, v9
	v_subrev_nc_u32_e32 v17, s17, v9
	v_cmp_le_u32_e32 vcc_lo, s17, v9
	s_delay_alu instid0(VALU_DEP_2) | instskip(NEXT) | instid1(VALU_DEP_1)
	v_dual_cndmask_b32 v9, v9, v17 :: v_dual_add_nc_u32 v10, 1, v8
	v_cndmask_b32_e32 v8, v8, v10, vcc_lo
	s_delay_alu instid0(VALU_DEP_2) | instskip(NEXT) | instid1(VALU_DEP_2)
	v_cmp_le_u32_e32 vcc_lo, s17, v9
	v_add_nc_u32_e32 v10, 1, v8
	s_delay_alu instid0(VALU_DEP_1) | instskip(NEXT) | instid1(VALU_DEP_1)
	v_cndmask_b32_e32 v8, v8, v10, vcc_lo
	v_mul_lo_u32 v9, v8, s17
	s_delay_alu instid0(VALU_DEP_1) | instskip(NEXT) | instid1(VALU_DEP_1)
	v_sub_nc_u32_e32 v14, v14, v9
	v_mad_u64_u32 v[9:10], null, s24, v14, v[7:8]
	s_delay_alu instid0(VALU_DEP_1)
	v_mov_b32_e32 v7, v9
	s_cbranch_scc1 .LBB82_18
.LBB82_19:                              ;   in Loop: Header=BB82_5 Depth=1
	s_set_inst_prefetch_distance 0x2
	s_delay_alu instid0(VALU_DEP_1) | instskip(SKIP_1) | instid1(VALU_DEP_1)
	v_mad_u64_u32 v[9:10], null, s22, v8, v[7:8]
	v_mov_b32_e32 v10, v15
	v_lshlrev_b64 v[7:8], 1, v[9:10]
	s_delay_alu instid0(VALU_DEP_1) | instskip(NEXT) | instid1(VALU_DEP_2)
	v_add_co_u32 v7, vcc_lo, s12, v7
	v_add_co_ci_u32_e32 v8, vcc_lo, s13, v8, vcc_lo
	global_load_u16 v45, v[7:8], off
.LBB82_20:                              ;   in Loop: Header=BB82_5 Depth=1
	s_or_b32 exec_lo, exec_lo, s1
	v_add_nc_u32_e32 v8, s18, v13
	s_delay_alu instid0(VALU_DEP_1) | instskip(NEXT) | instid1(VALU_DEP_1)
	v_cmp_gt_u32_e64 s1, s4, v8
	s_and_saveexec_b32 s16, s1
	s_cbranch_execz .LBB82_25
; %bb.21:                               ;   in Loop: Header=BB82_5 Depth=1
	v_mov_b32_e32 v7, 0
	v_mov_b32_e32 v9, v8
	s_and_not1_b32 vcc_lo, exec_lo, s23
	s_cbranch_vccnz .LBB82_24
; %bb.22:                               ;   in Loop: Header=BB82_5 Depth=1
	v_mov_b32_e32 v7, 0
	v_mov_b32_e32 v9, v8
	s_mov_b64 s[2:3], s[14:15]
	s_mov_b32 s17, s8
	s_set_inst_prefetch_distance 0x1
	.p2align	6
.LBB82_23:                              ;   Parent Loop BB82_5 Depth=1
                                        ; =>  This Inner Loop Header: Depth=2
	s_clause 0x1
	s_load_b32 s24, s[2:3], 0x0
	s_load_b32 s25, s[2:3], 0x64
	s_add_i32 s17, s17, -1
	v_mov_b32_e32 v17, v9
	s_waitcnt lgkmcnt(0)
	v_cvt_f32_u32_e32 v10, s24
	s_sub_i32 s26, 0, s24
	s_add_u32 s2, s2, -4
	s_addc_u32 s3, s3, -1
	s_cmp_gt_u32 s17, 2
	v_rcp_iflag_f32_e32 v10, v10
	s_waitcnt_depctr 0xfff
	v_mul_f32_e32 v10, 0x4f7ffffe, v10
	s_delay_alu instid0(VALU_DEP_1) | instskip(NEXT) | instid1(VALU_DEP_1)
	v_cvt_u32_f32_e32 v10, v10
	v_mul_lo_u32 v14, s26, v10
	s_delay_alu instid0(VALU_DEP_1) | instskip(NEXT) | instid1(VALU_DEP_1)
	v_mul_hi_u32 v14, v10, v14
	v_add_nc_u32_e32 v9, v10, v14
	s_delay_alu instid0(VALU_DEP_1) | instskip(NEXT) | instid1(VALU_DEP_1)
	v_mul_hi_u32 v9, v17, v9
	v_mul_lo_u32 v10, v9, s24
	v_add_nc_u32_e32 v14, 1, v9
	s_delay_alu instid0(VALU_DEP_2) | instskip(NEXT) | instid1(VALU_DEP_1)
	v_sub_nc_u32_e32 v10, v17, v10
	v_subrev_nc_u32_e32 v44, s24, v10
	v_cmp_le_u32_e32 vcc_lo, s24, v10
	s_delay_alu instid0(VALU_DEP_2) | instskip(NEXT) | instid1(VALU_DEP_1)
	v_dual_cndmask_b32 v9, v9, v14 :: v_dual_cndmask_b32 v10, v10, v44
	v_add_nc_u32_e32 v14, 1, v9
	s_delay_alu instid0(VALU_DEP_2) | instskip(NEXT) | instid1(VALU_DEP_2)
	v_cmp_le_u32_e32 vcc_lo, s24, v10
	v_cndmask_b32_e32 v9, v9, v14, vcc_lo
	s_delay_alu instid0(VALU_DEP_1) | instskip(NEXT) | instid1(VALU_DEP_1)
	v_mul_lo_u32 v10, v9, s24
	v_sub_nc_u32_e32 v10, v17, v10
	s_delay_alu instid0(VALU_DEP_1) | instskip(NEXT) | instid1(VALU_DEP_1)
	v_mad_u64_u32 v[46:47], null, s25, v10, v[7:8]
	v_mov_b32_e32 v7, v46
	s_cbranch_scc1 .LBB82_23
.LBB82_24:                              ;   in Loop: Header=BB82_5 Depth=1
	s_set_inst_prefetch_distance 0x2
	s_delay_alu instid0(VALU_DEP_1) | instskip(SKIP_1) | instid1(VALU_DEP_1)
	v_mad_u64_u32 v[46:47], null, s22, v9, v[7:8]
	v_mov_b32_e32 v47, v15
	v_lshlrev_b64 v[9:10], 1, v[46:47]
	s_delay_alu instid0(VALU_DEP_1) | instskip(NEXT) | instid1(VALU_DEP_2)
	v_add_co_u32 v9, vcc_lo, s12, v9
	v_add_co_ci_u32_e32 v10, vcc_lo, s13, v10, vcc_lo
	global_load_u16 v44, v[9:10], off
.LBB82_25:                              ;   in Loop: Header=BB82_5 Depth=1
	s_or_b32 exec_lo, exec_lo, s16
	v_add_nc_u32_e32 v9, s18, v8
	s_delay_alu instid0(VALU_DEP_1) | instskip(NEXT) | instid1(VALU_DEP_1)
	v_cmp_gt_u32_e64 s2, s4, v9
	s_and_saveexec_b32 s3, s2
	s_cbranch_execz .LBB82_30
; %bb.26:                               ;   in Loop: Header=BB82_5 Depth=1
	v_dual_mov_b32 v7, 0 :: v_dual_mov_b32 v10, v9
	s_and_not1_b32 vcc_lo, exec_lo, s23
	s_cbranch_vccnz .LBB82_29
; %bb.27:                               ;   in Loop: Header=BB82_5 Depth=1
	v_dual_mov_b32 v7, 0 :: v_dual_mov_b32 v10, v9
	s_mov_b64 s[16:17], s[14:15]
	s_mov_b32 s24, s8
	s_set_inst_prefetch_distance 0x1
	.p2align	6
.LBB82_28:                              ;   Parent Loop BB82_5 Depth=1
                                        ; =>  This Inner Loop Header: Depth=2
	s_clause 0x1
	s_load_b32 s25, s[16:17], 0x0
	s_load_b32 s26, s[16:17], 0x64
	s_add_i32 s24, s24, -1
	v_mov_b32_e32 v43, v10
	s_waitcnt lgkmcnt(0)
	v_cvt_f32_u32_e32 v14, s25
	s_sub_i32 s27, 0, s25
	s_add_u32 s16, s16, -4
	s_addc_u32 s17, s17, -1
	s_cmp_gt_u32 s24, 2
	v_rcp_iflag_f32_e32 v14, v14
	s_waitcnt_depctr 0xfff
	v_mul_f32_e32 v14, 0x4f7ffffe, v14
	s_delay_alu instid0(VALU_DEP_1) | instskip(NEXT) | instid1(VALU_DEP_1)
	v_cvt_u32_f32_e32 v14, v14
	v_mul_lo_u32 v17, s27, v14
	s_delay_alu instid0(VALU_DEP_1) | instskip(NEXT) | instid1(VALU_DEP_1)
	v_mul_hi_u32 v17, v14, v17
	v_add_nc_u32_e32 v10, v14, v17
	s_delay_alu instid0(VALU_DEP_1) | instskip(NEXT) | instid1(VALU_DEP_1)
	v_mul_hi_u32 v10, v43, v10
	v_mul_lo_u32 v14, v10, s25
	v_add_nc_u32_e32 v17, 1, v10
	s_delay_alu instid0(VALU_DEP_2) | instskip(NEXT) | instid1(VALU_DEP_1)
	v_sub_nc_u32_e32 v14, v43, v14
	v_subrev_nc_u32_e32 v46, s25, v14
	v_cmp_le_u32_e32 vcc_lo, s25, v14
	s_delay_alu instid0(VALU_DEP_4) | instskip(NEXT) | instid1(VALU_DEP_3)
	v_cndmask_b32_e32 v10, v10, v17, vcc_lo
	v_cndmask_b32_e32 v14, v14, v46, vcc_lo
	s_delay_alu instid0(VALU_DEP_2) | instskip(NEXT) | instid1(VALU_DEP_2)
	v_add_nc_u32_e32 v17, 1, v10
	v_cmp_le_u32_e32 vcc_lo, s25, v14
	s_delay_alu instid0(VALU_DEP_2) | instskip(NEXT) | instid1(VALU_DEP_1)
	v_cndmask_b32_e32 v10, v10, v17, vcc_lo
	v_mul_lo_u32 v14, v10, s25
	s_delay_alu instid0(VALU_DEP_1) | instskip(NEXT) | instid1(VALU_DEP_1)
	v_sub_nc_u32_e32 v14, v43, v14
	v_mad_u64_u32 v[46:47], null, s26, v14, v[7:8]
	s_delay_alu instid0(VALU_DEP_1)
	v_mov_b32_e32 v7, v46
	s_cbranch_scc1 .LBB82_28
.LBB82_29:                              ;   in Loop: Header=BB82_5 Depth=1
	s_set_inst_prefetch_distance 0x2
	s_delay_alu instid0(VALU_DEP_1) | instskip(SKIP_1) | instid1(VALU_DEP_1)
	v_mad_u64_u32 v[46:47], null, s22, v10, v[7:8]
	v_mov_b32_e32 v47, v15
	v_lshlrev_b64 v[46:47], 1, v[46:47]
	s_delay_alu instid0(VALU_DEP_1) | instskip(NEXT) | instid1(VALU_DEP_2)
	v_add_co_u32 v46, vcc_lo, s12, v46
	v_add_co_ci_u32_e32 v47, vcc_lo, s13, v47, vcc_lo
	global_load_u16 v43, v[46:47], off
.LBB82_30:                              ;   in Loop: Header=BB82_5 Depth=1
	s_or_b32 exec_lo, exec_lo, s3
	v_add_nc_u32_e32 v10, s18, v9
	s_delay_alu instid0(VALU_DEP_1) | instskip(NEXT) | instid1(VALU_DEP_1)
	v_cmp_gt_u32_e64 s3, s4, v10
	s_and_saveexec_b32 s24, s3
	s_cbranch_execnz .LBB82_35
; %bb.31:                               ;   in Loop: Header=BB82_5 Depth=1
	s_or_b32 exec_lo, exec_lo, s24
	s_and_saveexec_b32 s16, s0
	s_cbranch_execnz .LBB82_39
.LBB82_32:                              ;   in Loop: Header=BB82_5 Depth=1
	s_or_b32 exec_lo, exec_lo, s16
	s_and_saveexec_b32 s16, s1
	s_cbranch_execnz .LBB82_40
.LBB82_33:                              ;   in Loop: Header=BB82_5 Depth=1
	s_or_b32 exec_lo, exec_lo, s16
	s_and_saveexec_b32 s1, s2
	s_cbranch_execnz .LBB82_41
.LBB82_34:                              ;   in Loop: Header=BB82_5 Depth=1
	s_or_b32 exec_lo, exec_lo, s1
	s_and_saveexec_b32 s1, s3
	s_cbranch_execz .LBB82_4
	s_branch .LBB82_42
.LBB82_35:                              ;   in Loop: Header=BB82_5 Depth=1
	v_dual_mov_b32 v7, 0 :: v_dual_mov_b32 v14, v10
	s_and_not1_b32 vcc_lo, exec_lo, s23
	s_cbranch_vccnz .LBB82_38
; %bb.36:                               ;   in Loop: Header=BB82_5 Depth=1
	v_dual_mov_b32 v7, 0 :: v_dual_mov_b32 v14, v10
	s_mov_b64 s[16:17], s[14:15]
	s_mov_b32 s25, s8
	s_set_inst_prefetch_distance 0x1
	.p2align	6
.LBB82_37:                              ;   Parent Loop BB82_5 Depth=1
                                        ; =>  This Inner Loop Header: Depth=2
	s_clause 0x1
	s_load_b32 s26, s[16:17], 0x0
	s_load_b32 s27, s[16:17], 0x64
	s_add_i32 s25, s25, -1
	v_mov_b32_e32 v46, v14
	s_waitcnt lgkmcnt(0)
	v_cvt_f32_u32_e32 v17, s26
	s_sub_i32 s28, 0, s26
	s_add_u32 s16, s16, -4
	s_addc_u32 s17, s17, -1
	s_cmp_gt_u32 s25, 2
	v_rcp_iflag_f32_e32 v17, v17
	s_waitcnt_depctr 0xfff
	v_mul_f32_e32 v17, 0x4f7ffffe, v17
	s_delay_alu instid0(VALU_DEP_1) | instskip(NEXT) | instid1(VALU_DEP_1)
	v_cvt_u32_f32_e32 v17, v17
	v_mul_lo_u32 v42, s28, v17
	s_delay_alu instid0(VALU_DEP_1) | instskip(NEXT) | instid1(VALU_DEP_1)
	v_mul_hi_u32 v42, v17, v42
	v_add_nc_u32_e32 v14, v17, v42
	s_delay_alu instid0(VALU_DEP_1) | instskip(NEXT) | instid1(VALU_DEP_1)
	v_mul_hi_u32 v14, v46, v14
	v_mul_lo_u32 v17, v14, s26
	s_delay_alu instid0(VALU_DEP_1) | instskip(NEXT) | instid1(VALU_DEP_1)
	v_sub_nc_u32_e32 v17, v46, v17
	v_subrev_nc_u32_e32 v47, s26, v17
	v_cmp_le_u32_e32 vcc_lo, s26, v17
	s_delay_alu instid0(VALU_DEP_2) | instskip(NEXT) | instid1(VALU_DEP_1)
	v_dual_cndmask_b32 v17, v17, v47 :: v_dual_add_nc_u32 v42, 1, v14
	v_cndmask_b32_e32 v14, v14, v42, vcc_lo
	s_delay_alu instid0(VALU_DEP_2) | instskip(NEXT) | instid1(VALU_DEP_2)
	v_cmp_le_u32_e32 vcc_lo, s26, v17
	v_add_nc_u32_e32 v42, 1, v14
	s_delay_alu instid0(VALU_DEP_1) | instskip(NEXT) | instid1(VALU_DEP_1)
	v_cndmask_b32_e32 v14, v14, v42, vcc_lo
	v_mul_lo_u32 v17, v14, s26
	s_delay_alu instid0(VALU_DEP_1) | instskip(NEXT) | instid1(VALU_DEP_1)
	v_sub_nc_u32_e32 v17, v46, v17
	v_mad_u64_u32 v[46:47], null, s27, v17, v[7:8]
	s_delay_alu instid0(VALU_DEP_1)
	v_mov_b32_e32 v7, v46
	s_cbranch_scc1 .LBB82_37
.LBB82_38:                              ;   in Loop: Header=BB82_5 Depth=1
	s_set_inst_prefetch_distance 0x2
	s_delay_alu instid0(VALU_DEP_1) | instskip(SKIP_1) | instid1(VALU_DEP_1)
	v_mad_u64_u32 v[46:47], null, s22, v14, v[7:8]
	v_mov_b32_e32 v47, v15
	v_lshlrev_b64 v[46:47], 1, v[46:47]
	s_delay_alu instid0(VALU_DEP_1) | instskip(NEXT) | instid1(VALU_DEP_2)
	v_add_co_u32 v46, vcc_lo, s12, v46
	v_add_co_ci_u32_e32 v47, vcc_lo, s13, v47, vcc_lo
	global_load_u16 v42, v[46:47], off
	s_or_b32 exec_lo, exec_lo, s24
	s_and_saveexec_b32 s16, s0
	s_cbranch_execz .LBB82_32
.LBB82_39:                              ;   in Loop: Header=BB82_5 Depth=1
	v_cvt_f32_u32_e32 v0, v0
	v_mul_lo_u32 v14, v13, s21
	s_waitcnt vmcnt(0)
	s_delay_alu instid0(VALU_DEP_2) | instskip(NEXT) | instid1(VALU_DEP_2)
	v_dual_fmaak_f32 v0, 0x2f800000, v0, 0x2f800000 :: v_dual_lshlrev_b32 v7, 16, v45
	v_lshlrev_b64 v[46:47], 1, v[14:15]
	s_delay_alu instid0(VALU_DEP_2) | instskip(NEXT) | instid1(VALU_DEP_2)
	v_cmp_gt_f32_e32 vcc_lo, s5, v0
	v_add_co_u32 v46, s0, s10, v46
	v_cndmask_b32_e64 v0, 0, 1.0, vcc_lo
	s_delay_alu instid0(VALU_DEP_4) | instskip(NEXT) | instid1(VALU_DEP_2)
	v_add_co_ci_u32_e64 v47, s0, s11, v47, s0
	v_mul_f32_e32 v0, v0, v7
	s_delay_alu instid0(VALU_DEP_1) | instskip(NEXT) | instid1(VALU_DEP_1)
	v_mul_f32_e32 v0, v40, v0
	v_bfe_u32 v7, v0, 16, 1
	v_cmp_o_f32_e64 s0, v0, v0
	s_delay_alu instid0(VALU_DEP_2) | instskip(NEXT) | instid1(VALU_DEP_1)
	v_add3_u32 v7, v0, v7, 0x7fff
	v_lshrrev_b32_e32 v7, 16, v7
	s_delay_alu instid0(VALU_DEP_1)
	v_cndmask_b32_e64 v0, 0x7fc0, v7, s0
	v_cndmask_b32_e64 v7, 0, 1, vcc_lo
	global_store_b16 v[46:47], v0, off
	global_store_b8 v14, v7, s[6:7]
	s_or_b32 exec_lo, exec_lo, s16
	s_and_saveexec_b32 s16, s1
	s_cbranch_execz .LBB82_33
.LBB82_40:                              ;   in Loop: Header=BB82_5 Depth=1
	v_cvt_f32_u32_e32 v0, v1
	s_waitcnt vmcnt(0)
	v_lshlrev_b32_e32 v1, 16, v44
	v_mul_lo_u32 v14, v8, s21
	s_delay_alu instid0(VALU_DEP_3) | instskip(NEXT) | instid1(VALU_DEP_1)
	v_fmaak_f32 v0, 0x2f800000, v0, 0x2f800000
	v_cmp_gt_f32_e32 vcc_lo, s5, v0
	v_cndmask_b32_e64 v0, 0, 1.0, vcc_lo
	s_delay_alu instid0(VALU_DEP_1) | instskip(NEXT) | instid1(VALU_DEP_1)
	v_mul_f32_e32 v0, v0, v1
	v_mul_f32_e32 v7, v40, v0
	s_delay_alu instid0(VALU_DEP_1) | instskip(NEXT) | instid1(VALU_DEP_1)
	v_bfe_u32 v0, v7, 16, 1
	v_add3_u32 v8, v7, v0, 0x7fff
	v_lshlrev_b64 v[0:1], 1, v[14:15]
	s_delay_alu instid0(VALU_DEP_2) | instskip(NEXT) | instid1(VALU_DEP_2)
	v_lshrrev_b32_e32 v8, 16, v8
	v_add_co_u32 v0, s0, s10, v0
	s_delay_alu instid0(VALU_DEP_1) | instskip(SKIP_1) | instid1(VALU_DEP_1)
	v_add_co_ci_u32_e64 v1, s0, s11, v1, s0
	v_cmp_o_f32_e64 s0, v7, v7
	v_cndmask_b32_e64 v7, 0x7fc0, v8, s0
	v_cndmask_b32_e64 v8, 0, 1, vcc_lo
	global_store_b16 v[0:1], v7, off
	global_store_b8 v14, v8, s[6:7]
	s_or_b32 exec_lo, exec_lo, s16
	s_and_saveexec_b32 s1, s2
	s_cbranch_execz .LBB82_34
.LBB82_41:                              ;   in Loop: Header=BB82_5 Depth=1
	v_cvt_f32_u32_e32 v0, v2
	v_mul_lo_u32 v14, v9, s21
	s_waitcnt vmcnt(0)
	s_delay_alu instid0(VALU_DEP_2) | instskip(NEXT) | instid1(VALU_DEP_1)
	v_dual_fmaak_f32 v0, 0x2f800000, v0, 0x2f800000 :: v_dual_lshlrev_b32 v1, 16, v43
	v_cmp_gt_f32_e32 vcc_lo, s5, v0
	v_cndmask_b32_e64 v0, 0, 1.0, vcc_lo
	s_delay_alu instid0(VALU_DEP_1) | instskip(NEXT) | instid1(VALU_DEP_1)
	v_mul_f32_e32 v0, v0, v1
	v_mul_f32_e32 v2, v40, v0
	s_delay_alu instid0(VALU_DEP_1) | instskip(NEXT) | instid1(VALU_DEP_1)
	v_bfe_u32 v0, v2, 16, 1
	v_add3_u32 v7, v2, v0, 0x7fff
	v_lshlrev_b64 v[0:1], 1, v[14:15]
	s_delay_alu instid0(VALU_DEP_2) | instskip(NEXT) | instid1(VALU_DEP_2)
	v_lshrrev_b32_e32 v7, 16, v7
	v_add_co_u32 v0, s0, s10, v0
	s_delay_alu instid0(VALU_DEP_1) | instskip(SKIP_1) | instid1(VALU_DEP_1)
	v_add_co_ci_u32_e64 v1, s0, s11, v1, s0
	v_cmp_o_f32_e64 s0, v2, v2
	v_cndmask_b32_e64 v2, 0x7fc0, v7, s0
	v_cndmask_b32_e64 v7, 0, 1, vcc_lo
	global_store_b16 v[0:1], v2, off
	global_store_b8 v14, v7, s[6:7]
	s_or_b32 exec_lo, exec_lo, s1
	s_and_saveexec_b32 s1, s3
	s_cbranch_execz .LBB82_4
.LBB82_42:                              ;   in Loop: Header=BB82_5 Depth=1
	v_cvt_f32_u32_e32 v0, v3
	v_mul_lo_u32 v14, v10, s21
	s_waitcnt vmcnt(0)
	s_delay_alu instid0(VALU_DEP_2) | instskip(NEXT) | instid1(VALU_DEP_1)
	v_dual_fmaak_f32 v0, 0x2f800000, v0, 0x2f800000 :: v_dual_lshlrev_b32 v1, 16, v42
	v_cmp_gt_f32_e32 vcc_lo, s5, v0
	v_cndmask_b32_e64 v0, 0, 1.0, vcc_lo
	s_delay_alu instid0(VALU_DEP_1) | instskip(NEXT) | instid1(VALU_DEP_1)
	v_mul_f32_e32 v0, v0, v1
	v_mul_f32_e32 v2, v40, v0
	s_delay_alu instid0(VALU_DEP_1) | instskip(NEXT) | instid1(VALU_DEP_1)
	v_bfe_u32 v0, v2, 16, 1
	v_add3_u32 v3, v2, v0, 0x7fff
	v_lshlrev_b64 v[0:1], 1, v[14:15]
	s_delay_alu instid0(VALU_DEP_2) | instskip(NEXT) | instid1(VALU_DEP_2)
	v_lshrrev_b32_e32 v3, 16, v3
	v_add_co_u32 v0, s0, s10, v0
	s_delay_alu instid0(VALU_DEP_1) | instskip(SKIP_1) | instid1(VALU_DEP_1)
	v_add_co_ci_u32_e64 v1, s0, s11, v1, s0
	v_cmp_o_f32_e64 s0, v2, v2
	v_cndmask_b32_e64 v2, 0x7fc0, v3, s0
	v_cndmask_b32_e64 v3, 0, 1, vcc_lo
	global_store_b16 v[0:1], v2, off
	global_store_b8 v14, v3, s[6:7]
	s_branch .LBB82_4
.LBB82_43:
	s_endpgm
	.section	.rodata,"a",@progbits
	.p2align	6, 0x0
	.amdhsa_kernel _ZN2at6native12_GLOBAL__N_120fused_dropout_kernelIN3c108BFloat16EfjLin1ELi1EhEEvNS_4cuda6detail10TensorInfoIKT_T1_EENS7_IS8_SA_EENS7_IT4_SA_EESA_T0_NS_15PhiloxCudaStateE
		.amdhsa_group_segment_fixed_size 0
		.amdhsa_private_segment_fixed_size 0
		.amdhsa_kernarg_size 944
		.amdhsa_user_sgpr_count 15
		.amdhsa_user_sgpr_dispatch_ptr 0
		.amdhsa_user_sgpr_queue_ptr 0
		.amdhsa_user_sgpr_kernarg_segment_ptr 1
		.amdhsa_user_sgpr_dispatch_id 0
		.amdhsa_user_sgpr_private_segment_size 0
		.amdhsa_wavefront_size32 1
		.amdhsa_uses_dynamic_stack 0
		.amdhsa_enable_private_segment 0
		.amdhsa_system_sgpr_workgroup_id_x 1
		.amdhsa_system_sgpr_workgroup_id_y 0
		.amdhsa_system_sgpr_workgroup_id_z 0
		.amdhsa_system_sgpr_workgroup_info 0
		.amdhsa_system_vgpr_workitem_id 0
		.amdhsa_next_free_vgpr 48
		.amdhsa_next_free_sgpr 29
		.amdhsa_reserve_vcc 1
		.amdhsa_float_round_mode_32 0
		.amdhsa_float_round_mode_16_64 0
		.amdhsa_float_denorm_mode_32 3
		.amdhsa_float_denorm_mode_16_64 3
		.amdhsa_dx10_clamp 1
		.amdhsa_ieee_mode 1
		.amdhsa_fp16_overflow 0
		.amdhsa_workgroup_processor_mode 1
		.amdhsa_memory_ordered 1
		.amdhsa_forward_progress 0
		.amdhsa_shared_vgpr_count 0
		.amdhsa_exception_fp_ieee_invalid_op 0
		.amdhsa_exception_fp_denorm_src 0
		.amdhsa_exception_fp_ieee_div_zero 0
		.amdhsa_exception_fp_ieee_overflow 0
		.amdhsa_exception_fp_ieee_underflow 0
		.amdhsa_exception_fp_ieee_inexact 0
		.amdhsa_exception_int_div_zero 0
	.end_amdhsa_kernel
	.section	.text._ZN2at6native12_GLOBAL__N_120fused_dropout_kernelIN3c108BFloat16EfjLin1ELi1EhEEvNS_4cuda6detail10TensorInfoIKT_T1_EENS7_IS8_SA_EENS7_IT4_SA_EESA_T0_NS_15PhiloxCudaStateE,"axG",@progbits,_ZN2at6native12_GLOBAL__N_120fused_dropout_kernelIN3c108BFloat16EfjLin1ELi1EhEEvNS_4cuda6detail10TensorInfoIKT_T1_EENS7_IS8_SA_EENS7_IT4_SA_EESA_T0_NS_15PhiloxCudaStateE,comdat
.Lfunc_end82:
	.size	_ZN2at6native12_GLOBAL__N_120fused_dropout_kernelIN3c108BFloat16EfjLin1ELi1EhEEvNS_4cuda6detail10TensorInfoIKT_T1_EENS7_IS8_SA_EENS7_IT4_SA_EESA_T0_NS_15PhiloxCudaStateE, .Lfunc_end82-_ZN2at6native12_GLOBAL__N_120fused_dropout_kernelIN3c108BFloat16EfjLin1ELi1EhEEvNS_4cuda6detail10TensorInfoIKT_T1_EENS7_IS8_SA_EENS7_IT4_SA_EESA_T0_NS_15PhiloxCudaStateE
                                        ; -- End function
	.section	.AMDGPU.csdata,"",@progbits
; Kernel info:
; codeLenInByte = 3996
; NumSgprs: 31
; NumVgprs: 48
; ScratchSize: 0
; MemoryBound: 0
; FloatMode: 240
; IeeeMode: 1
; LDSByteSize: 0 bytes/workgroup (compile time only)
; SGPRBlocks: 3
; VGPRBlocks: 5
; NumSGPRsForWavesPerEU: 31
; NumVGPRsForWavesPerEU: 48
; Occupancy: 16
; WaveLimiterHint : 1
; COMPUTE_PGM_RSRC2:SCRATCH_EN: 0
; COMPUTE_PGM_RSRC2:USER_SGPR: 15
; COMPUTE_PGM_RSRC2:TRAP_HANDLER: 0
; COMPUTE_PGM_RSRC2:TGID_X_EN: 1
; COMPUTE_PGM_RSRC2:TGID_Y_EN: 0
; COMPUTE_PGM_RSRC2:TGID_Z_EN: 0
; COMPUTE_PGM_RSRC2:TIDIG_COMP_CNT: 0
	.section	.text._ZN2at6native12_GLOBAL__N_120fused_dropout_kernelIN3c108BFloat16EfjLin1ELin1EhEEvNS_4cuda6detail10TensorInfoIKT_T1_EENS7_IS8_SA_EENS7_IT4_SA_EESA_T0_NS_15PhiloxCudaStateE,"axG",@progbits,_ZN2at6native12_GLOBAL__N_120fused_dropout_kernelIN3c108BFloat16EfjLin1ELin1EhEEvNS_4cuda6detail10TensorInfoIKT_T1_EENS7_IS8_SA_EENS7_IT4_SA_EESA_T0_NS_15PhiloxCudaStateE,comdat
	.globl	_ZN2at6native12_GLOBAL__N_120fused_dropout_kernelIN3c108BFloat16EfjLin1ELin1EhEEvNS_4cuda6detail10TensorInfoIKT_T1_EENS7_IS8_SA_EENS7_IT4_SA_EESA_T0_NS_15PhiloxCudaStateE ; -- Begin function _ZN2at6native12_GLOBAL__N_120fused_dropout_kernelIN3c108BFloat16EfjLin1ELin1EhEEvNS_4cuda6detail10TensorInfoIKT_T1_EENS7_IS8_SA_EENS7_IT4_SA_EESA_T0_NS_15PhiloxCudaStateE
	.p2align	8
	.type	_ZN2at6native12_GLOBAL__N_120fused_dropout_kernelIN3c108BFloat16EfjLin1ELin1EhEEvNS_4cuda6detail10TensorInfoIKT_T1_EENS7_IS8_SA_EENS7_IT4_SA_EESA_T0_NS_15PhiloxCudaStateE,@function
_ZN2at6native12_GLOBAL__N_120fused_dropout_kernelIN3c108BFloat16EfjLin1ELin1EhEEvNS_4cuda6detail10TensorInfoIKT_T1_EENS7_IS8_SA_EENS7_IT4_SA_EESA_T0_NS_15PhiloxCudaStateE: ; @_ZN2at6native12_GLOBAL__N_120fused_dropout_kernelIN3c108BFloat16EfjLin1ELin1EhEEvNS_4cuda6detail10TensorInfoIKT_T1_EENS7_IS8_SA_EENS7_IT4_SA_EESA_T0_NS_15PhiloxCudaStateE
; %bb.0:
	s_clause 0x1
	s_load_b128 s[4:7], s[0:1], 0x290
	s_load_b32 s2, s[0:1], 0x2a8
	s_waitcnt lgkmcnt(0)
	v_dual_mov_b32 v1, s6 :: v_dual_mov_b32 v2, s7
	v_dual_mov_b32 v12, s5 :: v_dual_mov_b32 v11, s4
	s_bitcmp0_b32 s2, 0
	s_cbranch_scc1 .LBB83_2
; %bb.1:
	v_dual_mov_b32 v1, s6 :: v_dual_mov_b32 v2, s7
	v_dual_mov_b32 v3, s4 :: v_dual_mov_b32 v4, s5
	s_load_b64 s[2:3], s[0:1], 0x2a0
	flat_load_b64 v[1:2], v[1:2]
	flat_load_b64 v[11:12], v[3:4]
	s_waitcnt vmcnt(1) lgkmcnt(0)
	v_add_co_u32 v1, vcc_lo, v1, s2
	v_add_co_ci_u32_e32 v2, vcc_lo, s3, v2, vcc_lo
.LBB83_2:
	s_clause 0x2
	s_load_b32 s2, s[0:1], 0x2bc
	s_load_b32 s20, s[0:1], 0x2b0
	s_load_b64 s[4:5], s[0:1], 0x288
	s_waitcnt lgkmcnt(0)
	s_and_b32 s2, s2, 0xffff
	s_add_i32 s7, s4, -1
	s_mul_i32 s20, s20, s2
	v_mad_u64_u32 v[13:14], null, s15, s2, v[0:1]
	s_lshl_b32 s21, s20, 2
	s_delay_alu instid0(SALU_CYCLE_1) | instskip(SKIP_1) | instid1(VALU_DEP_1)
	v_cvt_f32_u32_e32 v3, s21
	s_sub_i32 s6, 0, s21
	v_rcp_iflag_f32_e32 v3, v3
	s_waitcnt_depctr 0xfff
	v_mul_f32_e32 v3, 0x4f7ffffe, v3
	s_delay_alu instid0(VALU_DEP_1) | instskip(NEXT) | instid1(VALU_DEP_1)
	v_cvt_u32_f32_e32 v3, v3
	v_readfirstlane_b32 s3, v3
	s_delay_alu instid0(VALU_DEP_1) | instskip(NEXT) | instid1(SALU_CYCLE_1)
	s_mul_i32 s6, s6, s3
	s_mul_hi_u32 s6, s3, s6
	s_delay_alu instid0(SALU_CYCLE_1) | instskip(NEXT) | instid1(SALU_CYCLE_1)
	s_add_i32 s3, s3, s6
	s_mul_hi_u32 s3, s7, s3
	s_delay_alu instid0(SALU_CYCLE_1) | instskip(NEXT) | instid1(SALU_CYCLE_1)
	s_mul_i32 s6, s3, s21
	s_sub_i32 s6, s7, s6
	s_add_i32 s7, s3, 1
	s_sub_i32 s8, s6, s21
	s_cmp_ge_u32 s6, s21
	s_cselect_b32 s2, s7, s3
	s_cselect_b32 s3, s8, s6
	s_add_i32 s6, s2, 1
	s_cmp_ge_u32 s3, s21
	s_cselect_b32 s2, s6, s2
	s_delay_alu instid0(SALU_CYCLE_1) | instskip(NEXT) | instid1(SALU_CYCLE_1)
	s_add_i32 s2, s2, 1
	s_mul_i32 s22, s21, s2
	s_mov_b32 s2, exec_lo
	v_cmpx_gt_u32_e64 s22, v13
	s_cbranch_execz .LBB83_55
; %bb.3:
	v_mad_u64_u32 v[3:4], null, 0xcd9e8d57, v13, 0
	v_alignbit_b32 v16, v2, v1, 2
	v_lshrrev_b32_e32 v17, 2, v2
	s_waitcnt vmcnt(0)
	v_dual_mov_b32 v14, v12 :: v_dual_mov_b32 v23, 0
	v_add_co_u32 v19, null, 0x9e3779b9, v11
	v_mad_u64_u32 v[5:6], null, 0xd2511f53, v16, 0
	v_xor3_b32 v0, v11, v4, v17
	s_delay_alu instid0(VALU_DEP_4) | instskip(SKIP_1) | instid1(VALU_DEP_3)
	v_add_co_u32 v18, null, 0xbb67ae85, v14
	v_add_co_u32 v20, null, 0x3c6ef372, v11
	v_mad_u64_u32 v[7:8], null, 0xd2511f53, v0, 0
	v_xor_b32_e32 v0, v6, v12
	v_add_co_u32 v21, null, 0x76cf5d0a, v14
	v_add_co_u32 v22, null, 0x32370b8f, v14
	s_delay_alu instid0(VALU_DEP_3) | instskip(SKIP_3) | instid1(VALU_DEP_3)
	v_mad_u64_u32 v[9:10], null, 0xcd9e8d57, v0, 0
	v_xor3_b32 v0, v18, v8, v5
	v_add_co_u32 v25, null, 0xdaa66d2b, v11
	v_add_co_u32 v28, null, 0x78dde6e4, v11
	v_mad_u64_u32 v[4:5], null, 0xcd9e8d57, v0, 0
	v_xor3_b32 v0, v10, v19, v3
	v_add_co_u32 v29, null, 0xed9eba14, v14
	v_add_co_u32 v31, null, 0xa9066899, v14
	s_delay_alu instid0(VALU_DEP_3)
	v_mad_u64_u32 v[2:3], null, 0xd2511f53, v0, 0
	v_xor3_b32 v0, v20, v5, v9
	v_div_scale_f32 v9, vcc_lo, 1.0, s5, 1.0
	v_and_b32_e32 v24, 3, v1
	v_add_co_u32 v32, null, 0x1715609d, v11
	v_xor3_b32 v3, v3, v21, v7
	v_mad_u64_u32 v[5:6], null, 0xd2511f53, v0, 0
	v_div_scale_f32 v8, null, s5, s5, 1.0
	s_delay_alu instid0(VALU_DEP_3) | instskip(SKIP_1) | instid1(VALU_DEP_4)
	v_mad_u64_u32 v[0:1], null, 0xcd9e8d57, v3, 0
	v_add_co_u32 v30, null, 0xb54cda56, v11
	v_xor3_b32 v6, v22, v6, v2
	s_delay_alu instid0(VALU_DEP_4) | instskip(SKIP_1) | instid1(VALU_DEP_4)
	v_rcp_f32_e32 v10, v8
	v_add_co_u32 v35, null, 0x646e171e, v14
	v_xor3_b32 v1, v1, v25, v4
	s_delay_alu instid0(VALU_DEP_3)
	v_mad_u64_u32 v[2:3], null, 0xcd9e8d57, v6, 0
	s_clause 0x2
	s_load_b32 s14, s[0:1], 0xd0
	s_load_b32 s24, s[0:1], 0x6c
	s_load_b64 s[12:13], s[0:1], 0x0
	v_mad_u64_u32 v[6:7], null, 0xd2511f53, v1, 0
	s_clause 0x1
	s_load_b64 s[8:9], s[0:1], 0x1b0
	s_load_b32 s17, s[0:1], 0x1a8
	v_xor3_b32 v3, v28, v3, v0
	v_add_co_u32 v33, null, 0x5384540f, v11
	v_add_co_u32 v36, null, 0x1fd5c5a3, v14
	s_delay_alu instid0(VALU_DEP_4) | instskip(NEXT) | instid1(VALU_DEP_4)
	v_xor3_b32 v5, v7, v29, v5
	v_mad_u64_u32 v[0:1], null, 0xd2511f53, v3, 0
	v_fma_f32 v7, -v8, v10, 1.0
	v_add_nc_u32_e32 v27, 0x96a522ad, v12
	s_delay_alu instid0(VALU_DEP_4) | instskip(SKIP_1) | instid1(VALU_DEP_4)
	v_mad_u64_u32 v[3:4], null, 0xcd9e8d57, v5, 0
	v_add_co_u32 v34, null, 0xf1bbcdc8, v11
	v_fmac_f32_e32 v10, v7, v10
	v_xor3_b32 v1, v31, v1, v6
	v_add_co_u32 v37, null, 0xdb3d7428, v14
	v_xor3_b32 v4, v4, v32, v2
	s_delay_alu instid0(VALU_DEP_4) | instskip(NEXT) | instid1(VALU_DEP_4)
	v_mul_f32_e32 v15, v9, v10
	v_mad_u64_u32 v[5:6], null, 0xcd9e8d57, v1, 0
	s_add_u32 s16, s0, 0xd8
	s_delay_alu instid0(VALU_DEP_3) | instskip(NEXT) | instid1(VALU_DEP_3)
	v_mad_u64_u32 v[1:2], null, 0xd2511f53, v4, 0
	v_fma_f32 v38, -v8, v15, v9
	s_addc_u32 s18, s1, 0
	v_add_nc_u32_e32 v26, 0x8ff34781, v11
	s_delay_alu instid0(VALU_DEP_4)
	v_xor3_b32 v6, v30, v6, v3
	s_clause 0x1
	s_load_b32 s23, s[0:1], 0x144
	s_load_b64 s[10:11], s[0:1], 0xd8
	v_fmac_f32_e32 v15, v38, v10
	v_xor3_b32 v0, v2, v35, v0
	s_waitcnt lgkmcnt(0)
	s_cmp_gt_i32 s14, 1
	v_mad_u64_u32 v[3:4], null, 0xd2511f53, v6, 0
	s_cselect_b32 s25, -1, 0
	v_mad_u64_u32 v[6:7], null, 0xcd9e8d57, v0, 0
	s_cmp_gt_i32 s17, 1
	s_mov_b32 s7, 0
	s_cselect_b32 s26, -1, 0
	s_delay_alu instid0(VALU_DEP_2) | instskip(SKIP_2) | instid1(VALU_DEP_2)
	v_xor3_b32 v2, v36, v4, v1
	s_add_i32 s6, s14, -1
	s_add_i32 s27, s14, 1
	v_xor3_b32 v7, v7, v33, v5
	s_lshl_b64 s[2:3], s[6:7], 2
	v_mad_u64_u32 v[0:1], null, 0xcd9e8d57, v2, 0
	s_add_u32 s0, s2, s0
	s_delay_alu instid0(VALU_DEP_2) | instskip(SKIP_3) | instid1(VALU_DEP_3)
	v_mad_u64_u32 v[4:5], null, 0xd2511f53, v7, 0
	v_fma_f32 v7, -v8, v15, v9
	s_addc_u32 s1, s3, s1
	s_add_u32 s14, s0, 8
	v_xor3_b32 v1, v34, v1, v6
	s_addc_u32 s15, s1, 0
	s_add_i32 s6, s17, -1
	s_delay_alu instid0(VALU_DEP_3) | instskip(SKIP_3) | instid1(VALU_DEP_2)
	v_xor3_b32 v3, v5, v37, v3
	s_lshl_b64 s[0:1], s[6:7], 2
	v_mad_u64_u32 v[5:6], null, 0xd2511f53, v1, 0
	s_add_i32 s6, s17, 1
	v_mad_u64_u32 v[1:2], null, 0xcd9e8d57, v3, 0
	v_div_fmas_f32 v3, v7, v10, v15
	s_add_u32 s0, s0, s16
	v_dual_mov_b32 v39, v13 :: v_dual_mov_b32 v40, 0
	s_addc_u32 s1, s1, s18
	s_delay_alu instid0(VALU_DEP_2) | instskip(NEXT) | instid1(VALU_DEP_4)
	v_div_fixup_f32 v38, v3, s5, 1.0
	v_xor3_b32 v0, v0, v2, v26
	v_xor3_b32 v2, v6, v4, v27
	v_mov_b32_e32 v3, v5
	s_add_u32 s16, s0, 8
	s_addc_u32 s17, s1, 0
                                        ; implicit-def: $vgpr41
                                        ; implicit-def: $vgpr42
                                        ; implicit-def: $vgpr43
                                        ; implicit-def: $vgpr44
	s_branch .LBB83_6
.LBB83_4:                               ;   in Loop: Header=BB83_6 Depth=1
	s_set_inst_prefetch_distance 0x2
	v_cvt_f32_u32_e32 v1, v3
	s_waitcnt vmcnt(0)
	v_lshlrev_b32_e32 v2, 16, v41
	s_delay_alu instid0(VALU_DEP_2) | instskip(NEXT) | instid1(VALU_DEP_1)
	v_fmaak_f32 v1, 0x2f800000, v1, 0x2f800000
	v_cmp_gt_f32_e32 vcc_lo, s5, v1
	v_cndmask_b32_e64 v1, 0, 1.0, vcc_lo
	s_delay_alu instid0(VALU_DEP_1) | instskip(NEXT) | instid1(VALU_DEP_1)
	v_mul_f32_e32 v1, v1, v2
	v_mul_f32_e32 v7, v38, v1
	v_mad_u64_u32 v[1:2], null, s23, v8, v[0:1]
	v_mov_b32_e32 v2, v23
	s_delay_alu instid0(VALU_DEP_3) | instskip(NEXT) | instid1(VALU_DEP_2)
	v_bfe_u32 v0, v7, 16, 1
	v_lshlrev_b64 v[2:3], 1, v[1:2]
	s_delay_alu instid0(VALU_DEP_2) | instskip(NEXT) | instid1(VALU_DEP_2)
	v_add3_u32 v0, v7, v0, 0x7fff
	v_add_co_u32 v2, s0, s10, v2
	s_delay_alu instid0(VALU_DEP_1) | instskip(NEXT) | instid1(VALU_DEP_3)
	v_add_co_ci_u32_e64 v3, s0, s11, v3, s0
	v_lshrrev_b32_e32 v0, 16, v0
	v_cmp_o_f32_e64 s0, v7, v7
	v_cndmask_b32_e64 v7, 0, 1, vcc_lo
	s_delay_alu instid0(VALU_DEP_2)
	v_cndmask_b32_e64 v0, 0x7fc0, v0, s0
	global_store_b16 v[2:3], v0, off
	global_store_b8 v1, v7, s[8:9]
.LBB83_5:                               ;   in Loop: Header=BB83_6 Depth=1
	s_or_b32 exec_lo, exec_lo, s2
	v_mov_b32_e32 v7, v14
	v_dual_mov_b32 v0, v4 :: v_dual_add_nc_u32 v13, s21, v13
	v_dual_mov_b32 v1, v5 :: v_dual_mov_b32 v2, v6
	s_delay_alu instid0(VALU_DEP_3) | instskip(NEXT) | instid1(VALU_DEP_3)
	v_mov_b32_e32 v3, v7
	v_cmp_le_u32_e32 vcc_lo, s22, v13
	s_waitcnt vmcnt(0)
	s_waitcnt_vscnt null, 0x0
	s_barrier
	buffer_gl0_inv
	s_or_b32 s7, vcc_lo, s7
	s_delay_alu instid0(SALU_CYCLE_1)
	s_and_not1_b32 exec_lo, exec_lo, s7
	s_cbranch_execz .LBB83_55
.LBB83_6:                               ; =>This Loop Header: Depth=1
                                        ;     Child Loop BB83_19 Depth 2
                                        ;     Child Loop BB83_24 Depth 2
	;; [unrolled: 1-line block ×8, first 2 shown]
	v_add_co_u32 v16, vcc_lo, v16, 1
	s_delay_alu instid0(VALU_DEP_1) | instskip(SKIP_2) | instid1(VALU_DEP_1)
	v_cndmask_b32_e64 v4, 0, 1, vcc_lo
	v_add_co_ci_u32_e32 v17, vcc_lo, 0, v17, vcc_lo
	s_mov_b32 s0, exec_lo
	v_cmp_eq_u32_e32 vcc_lo, 0, v17
	s_delay_alu instid0(VALU_DEP_3) | instskip(NEXT) | instid1(VALU_DEP_1)
	v_cndmask_b32_e32 v4, 0, v4, vcc_lo
	v_add_nc_u32_e32 v39, v4, v39
	s_delay_alu instid0(VALU_DEP_1) | instskip(SKIP_2) | instid1(VALU_DEP_2)
	v_cmp_eq_u32_e32 vcc_lo, 0, v39
	v_cndmask_b32_e32 v4, 0, v4, vcc_lo
	v_mad_u64_u32 v[6:7], null, 0xcd9e8d57, v39, 0
	v_add_nc_u32_e32 v40, v4, v40
	v_mad_u64_u32 v[4:5], null, 0xd2511f53, v16, 0
	s_delay_alu instid0(VALU_DEP_3) | instskip(NEXT) | instid1(VALU_DEP_2)
	v_xor3_b32 v9, v7, v11, v17
	v_xor_b32_e32 v5, v5, v12
	s_delay_alu instid0(VALU_DEP_2) | instskip(NEXT) | instid1(VALU_DEP_2)
	v_mad_u64_u32 v[7:8], null, 0xd2511f53, v9, 0
	v_xor_b32_e32 v5, v40, v5
	s_delay_alu instid0(VALU_DEP_2) | instskip(NEXT) | instid1(VALU_DEP_2)
	v_xor3_b32 v8, v18, v8, v4
	v_mad_u64_u32 v[9:10], null, 0xcd9e8d57, v5, 0
	s_delay_alu instid0(VALU_DEP_2) | instskip(NEXT) | instid1(VALU_DEP_2)
	v_mad_u64_u32 v[4:5], null, 0xcd9e8d57, v8, 0
	v_xor3_b32 v6, v19, v10, v6
	s_delay_alu instid0(VALU_DEP_2) | instskip(NEXT) | instid1(VALU_DEP_2)
	v_xor3_b32 v8, v20, v5, v9
	v_mad_u64_u32 v[14:15], null, 0xd2511f53, v6, 0
	s_delay_alu instid0(VALU_DEP_2) | instskip(NEXT) | instid1(VALU_DEP_2)
	v_mad_u64_u32 v[5:6], null, 0xd2511f53, v8, 0
	v_xor3_b32 v9, v21, v15, v7
	s_delay_alu instid0(VALU_DEP_2) | instskip(NEXT) | instid1(VALU_DEP_2)
	v_xor3_b32 v6, v22, v6, v14
	v_mad_u64_u32 v[7:8], null, 0xcd9e8d57, v9, 0
	s_delay_alu instid0(VALU_DEP_1) | instskip(NEXT) | instid1(VALU_DEP_3)
	v_xor3_b32 v4, v25, v8, v4
	v_mad_u64_u32 v[8:9], null, 0xcd9e8d57, v6, 0
	s_delay_alu instid0(VALU_DEP_2) | instskip(NEXT) | instid1(VALU_DEP_2)
	v_mad_u64_u32 v[14:15], null, 0xd2511f53, v4, 0
	v_xor3_b32 v6, v28, v9, v7
	s_delay_alu instid0(VALU_DEP_2) | instskip(NEXT) | instid1(VALU_DEP_2)
	v_xor3_b32 v9, v29, v15, v5
	v_mad_u64_u32 v[4:5], null, 0xd2511f53, v6, 0
	s_delay_alu instid0(VALU_DEP_2) | instskip(NEXT) | instid1(VALU_DEP_2)
	v_mad_u64_u32 v[6:7], null, 0xcd9e8d57, v9, 0
	v_xor3_b32 v5, v31, v5, v14
	s_delay_alu instid0(VALU_DEP_2) | instskip(NEXT) | instid1(VALU_DEP_2)
	;; [unrolled: 6-line block ×6, first 2 shown]
	v_xor3_b32 v4, v6, v7, v26
	v_mov_b32_e32 v6, v10
	v_cmpx_lt_i32_e32 1, v24
	s_xor_b32 s0, exec_lo, s0
	s_cbranch_execnz .LBB83_9
; %bb.7:                                ;   in Loop: Header=BB83_6 Depth=1
	s_and_not1_saveexec_b32 s0, s0
	s_cbranch_execnz .LBB83_14
.LBB83_8:                               ;   in Loop: Header=BB83_6 Depth=1
	s_or_b32 exec_lo, exec_lo, s0
	v_cmp_gt_u32_e64 s3, s4, v13
	s_delay_alu instid0(VALU_DEP_1)
	s_and_saveexec_b32 s2, s3
	s_cbranch_execnz .LBB83_17
	s_branch .LBB83_21
.LBB83_9:                               ;   in Loop: Header=BB83_6 Depth=1
	s_mov_b32 s1, exec_lo
	v_cmpx_lt_i32_e32 2, v24
	s_xor_b32 s1, exec_lo, s1
; %bb.10:                               ;   in Loop: Header=BB83_6 Depth=1
	v_dual_mov_b32 v7, v3 :: v_dual_mov_b32 v8, v4
	v_mov_b32_e32 v9, v5
	s_delay_alu instid0(VALU_DEP_2) | instskip(NEXT) | instid1(VALU_DEP_2)
	v_dual_mov_b32 v0, v7 :: v_dual_mov_b32 v1, v8
	v_dual_mov_b32 v2, v9 :: v_dual_mov_b32 v3, v10
; %bb.11:                               ;   in Loop: Header=BB83_6 Depth=1
	s_and_not1_saveexec_b32 s1, s1
; %bb.12:                               ;   in Loop: Header=BB83_6 Depth=1
	s_delay_alu instid0(VALU_DEP_1)
	v_dual_mov_b32 v0, v2 :: v_dual_mov_b32 v1, v3
	v_dual_mov_b32 v2, v4 :: v_dual_mov_b32 v3, v5
; %bb.13:                               ;   in Loop: Header=BB83_6 Depth=1
	s_or_b32 exec_lo, exec_lo, s1
	s_and_not1_saveexec_b32 s0, s0
	s_cbranch_execz .LBB83_8
.LBB83_14:                              ;   in Loop: Header=BB83_6 Depth=1
	s_mov_b32 s1, exec_lo
	v_cmpx_eq_u32_e32 1, v24
; %bb.15:                               ;   in Loop: Header=BB83_6 Depth=1
	v_dual_mov_b32 v0, v1 :: v_dual_mov_b32 v1, v2
	v_dual_mov_b32 v2, v3 :: v_dual_mov_b32 v3, v4
; %bb.16:                               ;   in Loop: Header=BB83_6 Depth=1
	s_or_b32 exec_lo, exec_lo, s1
	s_delay_alu instid0(SALU_CYCLE_1) | instskip(SKIP_1) | instid1(VALU_DEP_1)
	s_or_b32 exec_lo, exec_lo, s0
	v_cmp_gt_u32_e64 s3, s4, v13
	s_and_saveexec_b32 s2, s3
	s_cbranch_execz .LBB83_21
.LBB83_17:                              ;   in Loop: Header=BB83_6 Depth=1
	v_dual_mov_b32 v7, 0 :: v_dual_mov_b32 v8, v13
	s_and_not1_b32 vcc_lo, exec_lo, s25
	s_cbranch_vccnz .LBB83_20
; %bb.18:                               ;   in Loop: Header=BB83_6 Depth=1
	v_dual_mov_b32 v7, 0 :: v_dual_mov_b32 v8, v13
	s_mov_b64 s[0:1], s[14:15]
	s_mov_b32 s18, s27
	s_set_inst_prefetch_distance 0x1
	.p2align	6
.LBB83_19:                              ;   Parent Loop BB83_6 Depth=1
                                        ; =>  This Inner Loop Header: Depth=2
	s_clause 0x1
	s_load_b32 s19, s[0:1], 0x0
	s_load_b32 s28, s[0:1], 0x64
	s_add_i32 s18, s18, -1
	s_waitcnt lgkmcnt(0)
	v_cvt_f32_u32_e32 v9, s19
	s_sub_i32 s29, 0, s19
	s_add_u32 s0, s0, -4
	s_addc_u32 s1, s1, -1
	s_cmp_gt_u32 s18, 2
	v_rcp_iflag_f32_e32 v9, v9
	s_waitcnt_depctr 0xfff
	v_mul_f32_e32 v9, 0x4f7ffffe, v9
	s_delay_alu instid0(VALU_DEP_1) | instskip(NEXT) | instid1(VALU_DEP_1)
	v_cvt_u32_f32_e32 v9, v9
	v_mul_lo_u32 v10, s29, v9
	s_delay_alu instid0(VALU_DEP_1) | instskip(NEXT) | instid1(VALU_DEP_1)
	v_mul_hi_u32 v10, v9, v10
	v_dual_mov_b32 v15, v8 :: v_dual_add_nc_u32 v8, v9, v10
	s_delay_alu instid0(VALU_DEP_1) | instskip(NEXT) | instid1(VALU_DEP_1)
	v_mul_hi_u32 v8, v15, v8
	v_mul_lo_u32 v9, v8, s19
	v_add_nc_u32_e32 v10, 1, v8
	s_delay_alu instid0(VALU_DEP_2) | instskip(NEXT) | instid1(VALU_DEP_1)
	v_sub_nc_u32_e32 v9, v15, v9
	v_subrev_nc_u32_e32 v44, s19, v9
	v_cmp_le_u32_e32 vcc_lo, s19, v9
	s_delay_alu instid0(VALU_DEP_2) | instskip(NEXT) | instid1(VALU_DEP_1)
	v_dual_cndmask_b32 v8, v8, v10 :: v_dual_cndmask_b32 v9, v9, v44
	v_add_nc_u32_e32 v10, 1, v8
	s_delay_alu instid0(VALU_DEP_2) | instskip(NEXT) | instid1(VALU_DEP_2)
	v_cmp_le_u32_e32 vcc_lo, s19, v9
	v_cndmask_b32_e32 v8, v8, v10, vcc_lo
	s_delay_alu instid0(VALU_DEP_1) | instskip(NEXT) | instid1(VALU_DEP_1)
	v_mul_lo_u32 v9, v8, s19
	v_sub_nc_u32_e32 v15, v15, v9
	s_delay_alu instid0(VALU_DEP_1) | instskip(NEXT) | instid1(VALU_DEP_1)
	v_mad_u64_u32 v[9:10], null, s28, v15, v[7:8]
	v_mov_b32_e32 v7, v9
	s_cbranch_scc1 .LBB83_19
.LBB83_20:                              ;   in Loop: Header=BB83_6 Depth=1
	s_set_inst_prefetch_distance 0x2
	s_delay_alu instid0(VALU_DEP_1) | instskip(SKIP_1) | instid1(VALU_DEP_1)
	v_mad_u64_u32 v[9:10], null, s24, v8, v[7:8]
	v_mov_b32_e32 v10, v23
	v_lshlrev_b64 v[7:8], 1, v[9:10]
	s_delay_alu instid0(VALU_DEP_1) | instskip(NEXT) | instid1(VALU_DEP_2)
	v_add_co_u32 v7, vcc_lo, s12, v7
	v_add_co_ci_u32_e32 v8, vcc_lo, s13, v8, vcc_lo
	global_load_u16 v44, v[7:8], off
.LBB83_21:                              ;   in Loop: Header=BB83_6 Depth=1
	s_or_b32 exec_lo, exec_lo, s2
	v_add_nc_u32_e32 v10, s20, v13
	s_delay_alu instid0(VALU_DEP_1) | instskip(NEXT) | instid1(VALU_DEP_1)
	v_cmp_gt_u32_e64 s2, s4, v10
	s_and_saveexec_b32 s18, s2
	s_cbranch_execz .LBB83_26
; %bb.22:                               ;   in Loop: Header=BB83_6 Depth=1
	v_dual_mov_b32 v7, 0 :: v_dual_mov_b32 v8, v10
	s_and_not1_b32 vcc_lo, exec_lo, s25
	s_cbranch_vccnz .LBB83_25
; %bb.23:                               ;   in Loop: Header=BB83_6 Depth=1
	v_dual_mov_b32 v7, 0 :: v_dual_mov_b32 v8, v10
	s_mov_b64 s[0:1], s[14:15]
	s_mov_b32 s19, s27
	s_set_inst_prefetch_distance 0x1
	.p2align	6
.LBB83_24:                              ;   Parent Loop BB83_6 Depth=1
                                        ; =>  This Inner Loop Header: Depth=2
	s_clause 0x1
	s_load_b32 s28, s[0:1], 0x0
	s_load_b32 s29, s[0:1], 0x64
	s_add_i32 s19, s19, -1
	s_waitcnt lgkmcnt(0)
	v_cvt_f32_u32_e32 v9, s28
	s_sub_i32 s30, 0, s28
	s_add_u32 s0, s0, -4
	s_addc_u32 s1, s1, -1
	s_cmp_gt_u32 s19, 2
	v_rcp_iflag_f32_e32 v9, v9
	s_waitcnt_depctr 0xfff
	v_mul_f32_e32 v9, 0x4f7ffffe, v9
	s_delay_alu instid0(VALU_DEP_1) | instskip(NEXT) | instid1(VALU_DEP_1)
	v_cvt_u32_f32_e32 v9, v9
	v_mul_lo_u32 v15, s30, v9
	s_delay_alu instid0(VALU_DEP_1) | instskip(NEXT) | instid1(VALU_DEP_1)
	v_mul_hi_u32 v15, v9, v15
	v_dual_mov_b32 v43, v8 :: v_dual_add_nc_u32 v8, v9, v15
	s_delay_alu instid0(VALU_DEP_1) | instskip(NEXT) | instid1(VALU_DEP_1)
	v_mul_hi_u32 v8, v43, v8
	v_mul_lo_u32 v9, v8, s28
	v_add_nc_u32_e32 v15, 1, v8
	s_delay_alu instid0(VALU_DEP_2) | instskip(NEXT) | instid1(VALU_DEP_1)
	v_sub_nc_u32_e32 v9, v43, v9
	v_cmp_le_u32_e32 vcc_lo, s28, v9
	v_subrev_nc_u32_e32 v45, s28, v9
	s_delay_alu instid0(VALU_DEP_4) | instskip(NEXT) | instid1(VALU_DEP_1)
	v_cndmask_b32_e32 v8, v8, v15, vcc_lo
	v_add_nc_u32_e32 v15, 1, v8
	s_delay_alu instid0(VALU_DEP_3) | instskip(NEXT) | instid1(VALU_DEP_1)
	v_cndmask_b32_e32 v9, v9, v45, vcc_lo
	v_cmp_le_u32_e32 vcc_lo, s28, v9
	s_delay_alu instid0(VALU_DEP_3) | instskip(NEXT) | instid1(VALU_DEP_1)
	v_cndmask_b32_e32 v8, v8, v15, vcc_lo
	v_mul_lo_u32 v9, v8, s28
	s_delay_alu instid0(VALU_DEP_1) | instskip(NEXT) | instid1(VALU_DEP_1)
	v_sub_nc_u32_e32 v9, v43, v9
	v_mad_u64_u32 v[45:46], null, s29, v9, v[7:8]
	s_delay_alu instid0(VALU_DEP_1)
	v_mov_b32_e32 v7, v45
	s_cbranch_scc1 .LBB83_24
.LBB83_25:                              ;   in Loop: Header=BB83_6 Depth=1
	s_set_inst_prefetch_distance 0x2
	s_delay_alu instid0(VALU_DEP_1) | instskip(SKIP_1) | instid1(VALU_DEP_1)
	v_mad_u64_u32 v[45:46], null, s24, v8, v[7:8]
	v_mov_b32_e32 v46, v23
	v_lshlrev_b64 v[7:8], 1, v[45:46]
	s_delay_alu instid0(VALU_DEP_1) | instskip(NEXT) | instid1(VALU_DEP_2)
	v_add_co_u32 v7, vcc_lo, s12, v7
	v_add_co_ci_u32_e32 v8, vcc_lo, s13, v8, vcc_lo
	global_load_u16 v43, v[7:8], off
.LBB83_26:                              ;   in Loop: Header=BB83_6 Depth=1
	s_or_b32 exec_lo, exec_lo, s18
	v_add_nc_u32_e32 v9, s20, v10
	s_delay_alu instid0(VALU_DEP_1) | instskip(NEXT) | instid1(VALU_DEP_1)
	v_cmp_gt_u32_e64 s1, s4, v9
	s_and_saveexec_b32 s0, s1
	s_cbranch_execz .LBB83_31
; %bb.27:                               ;   in Loop: Header=BB83_6 Depth=1
	v_dual_mov_b32 v7, 0 :: v_dual_mov_b32 v8, v9
	s_and_not1_b32 vcc_lo, exec_lo, s25
	s_cbranch_vccnz .LBB83_30
; %bb.28:                               ;   in Loop: Header=BB83_6 Depth=1
	v_dual_mov_b32 v7, 0 :: v_dual_mov_b32 v8, v9
	s_mov_b64 s[18:19], s[14:15]
	s_mov_b32 s28, s27
	s_set_inst_prefetch_distance 0x1
	.p2align	6
.LBB83_29:                              ;   Parent Loop BB83_6 Depth=1
                                        ; =>  This Inner Loop Header: Depth=2
	s_clause 0x1
	s_load_b32 s29, s[18:19], 0x0
	s_load_b32 s30, s[18:19], 0x64
	s_add_i32 s28, s28, -1
	s_waitcnt lgkmcnt(0)
	v_cvt_f32_u32_e32 v15, s29
	s_sub_i32 s31, 0, s29
	s_add_u32 s18, s18, -4
	s_addc_u32 s19, s19, -1
	s_cmp_gt_u32 s28, 2
	v_rcp_iflag_f32_e32 v15, v15
	s_waitcnt_depctr 0xfff
	v_mul_f32_e32 v15, 0x4f7ffffe, v15
	s_delay_alu instid0(VALU_DEP_1) | instskip(NEXT) | instid1(VALU_DEP_1)
	v_cvt_u32_f32_e32 v15, v15
	v_mul_lo_u32 v42, s31, v15
	s_delay_alu instid0(VALU_DEP_1) | instskip(NEXT) | instid1(VALU_DEP_1)
	v_mul_hi_u32 v42, v15, v42
	v_dual_mov_b32 v45, v8 :: v_dual_add_nc_u32 v8, v15, v42
	s_delay_alu instid0(VALU_DEP_1) | instskip(NEXT) | instid1(VALU_DEP_1)
	v_mul_hi_u32 v8, v45, v8
	v_mul_lo_u32 v15, v8, s29
	v_add_nc_u32_e32 v42, 1, v8
	s_delay_alu instid0(VALU_DEP_2) | instskip(NEXT) | instid1(VALU_DEP_1)
	v_sub_nc_u32_e32 v15, v45, v15
	v_subrev_nc_u32_e32 v46, s29, v15
	v_cmp_le_u32_e32 vcc_lo, s29, v15
	s_delay_alu instid0(VALU_DEP_4) | instskip(NEXT) | instid1(VALU_DEP_1)
	v_cndmask_b32_e32 v8, v8, v42, vcc_lo
	v_dual_cndmask_b32 v15, v15, v46 :: v_dual_add_nc_u32 v42, 1, v8
	s_delay_alu instid0(VALU_DEP_1) | instskip(NEXT) | instid1(VALU_DEP_2)
	v_cmp_le_u32_e32 vcc_lo, s29, v15
	v_cndmask_b32_e32 v8, v8, v42, vcc_lo
	s_delay_alu instid0(VALU_DEP_1) | instskip(NEXT) | instid1(VALU_DEP_1)
	v_mul_lo_u32 v15, v8, s29
	v_sub_nc_u32_e32 v15, v45, v15
	s_delay_alu instid0(VALU_DEP_1) | instskip(NEXT) | instid1(VALU_DEP_1)
	v_mad_u64_u32 v[45:46], null, s30, v15, v[7:8]
	v_mov_b32_e32 v7, v45
	s_cbranch_scc1 .LBB83_29
.LBB83_30:                              ;   in Loop: Header=BB83_6 Depth=1
	s_set_inst_prefetch_distance 0x2
	s_delay_alu instid0(VALU_DEP_1) | instskip(SKIP_1) | instid1(VALU_DEP_1)
	v_mad_u64_u32 v[45:46], null, s24, v8, v[7:8]
	v_mov_b32_e32 v46, v23
	v_lshlrev_b64 v[7:8], 1, v[45:46]
	s_delay_alu instid0(VALU_DEP_1) | instskip(NEXT) | instid1(VALU_DEP_2)
	v_add_co_u32 v7, vcc_lo, s12, v7
	v_add_co_ci_u32_e32 v8, vcc_lo, s13, v8, vcc_lo
	global_load_u16 v42, v[7:8], off
.LBB83_31:                              ;   in Loop: Header=BB83_6 Depth=1
	s_or_b32 exec_lo, exec_lo, s0
	v_add_nc_u32_e32 v8, s20, v9
	s_delay_alu instid0(VALU_DEP_1) | instskip(NEXT) | instid1(VALU_DEP_1)
	v_cmp_gt_u32_e64 s0, s4, v8
	s_and_saveexec_b32 s28, s0
	s_cbranch_execnz .LBB83_36
; %bb.32:                               ;   in Loop: Header=BB83_6 Depth=1
	s_or_b32 exec_lo, exec_lo, s28
	s_and_saveexec_b32 s28, s3
	s_cbranch_execnz .LBB83_40
.LBB83_33:                              ;   in Loop: Header=BB83_6 Depth=1
	s_or_b32 exec_lo, exec_lo, s28
	s_and_saveexec_b32 s18, s2
	s_cbranch_execnz .LBB83_44
.LBB83_34:                              ;   in Loop: Header=BB83_6 Depth=1
	s_or_b32 exec_lo, exec_lo, s18
	s_and_saveexec_b32 s18, s1
	s_cbranch_execnz .LBB83_48
.LBB83_35:                              ;   in Loop: Header=BB83_6 Depth=1
	s_or_b32 exec_lo, exec_lo, s18
	s_and_saveexec_b32 s2, s0
	s_cbranch_execz .LBB83_5
	s_branch .LBB83_52
.LBB83_36:                              ;   in Loop: Header=BB83_6 Depth=1
	v_mov_b32_e32 v7, 0
	v_mov_b32_e32 v15, v8
	s_and_not1_b32 vcc_lo, exec_lo, s25
	s_cbranch_vccnz .LBB83_39
; %bb.37:                               ;   in Loop: Header=BB83_6 Depth=1
	v_mov_b32_e32 v7, 0
	v_mov_b32_e32 v15, v8
	s_mov_b64 s[18:19], s[14:15]
	s_mov_b32 s29, s27
	s_set_inst_prefetch_distance 0x1
	.p2align	6
.LBB83_38:                              ;   Parent Loop BB83_6 Depth=1
                                        ; =>  This Inner Loop Header: Depth=2
	s_clause 0x1
	s_load_b32 s30, s[18:19], 0x0
	s_load_b32 s31, s[18:19], 0x64
	s_add_i32 s29, s29, -1
	v_mov_b32_e32 v46, v15
	s_waitcnt lgkmcnt(0)
	v_cvt_f32_u32_e32 v41, s30
	s_sub_i32 s33, 0, s30
	s_add_u32 s18, s18, -4
	s_addc_u32 s19, s19, -1
	s_cmp_gt_u32 s29, 2
	v_rcp_iflag_f32_e32 v41, v41
	s_waitcnt_depctr 0xfff
	v_mul_f32_e32 v41, 0x4f7ffffe, v41
	s_delay_alu instid0(VALU_DEP_1) | instskip(NEXT) | instid1(VALU_DEP_1)
	v_cvt_u32_f32_e32 v41, v41
	v_mul_lo_u32 v45, s33, v41
	s_delay_alu instid0(VALU_DEP_1) | instskip(NEXT) | instid1(VALU_DEP_1)
	v_mul_hi_u32 v45, v41, v45
	v_add_nc_u32_e32 v15, v41, v45
	s_delay_alu instid0(VALU_DEP_1) | instskip(NEXT) | instid1(VALU_DEP_1)
	v_mul_hi_u32 v15, v46, v15
	v_mul_lo_u32 v41, v15, s30
	v_add_nc_u32_e32 v45, 1, v15
	s_delay_alu instid0(VALU_DEP_2) | instskip(NEXT) | instid1(VALU_DEP_1)
	v_sub_nc_u32_e32 v41, v46, v41
	v_subrev_nc_u32_e32 v47, s30, v41
	v_cmp_le_u32_e32 vcc_lo, s30, v41
	s_delay_alu instid0(VALU_DEP_4) | instskip(NEXT) | instid1(VALU_DEP_3)
	v_cndmask_b32_e32 v15, v15, v45, vcc_lo
	v_cndmask_b32_e32 v41, v41, v47, vcc_lo
	s_delay_alu instid0(VALU_DEP_2) | instskip(NEXT) | instid1(VALU_DEP_2)
	v_add_nc_u32_e32 v45, 1, v15
	v_cmp_le_u32_e32 vcc_lo, s30, v41
	s_delay_alu instid0(VALU_DEP_2) | instskip(NEXT) | instid1(VALU_DEP_1)
	v_cndmask_b32_e32 v15, v15, v45, vcc_lo
	v_mul_lo_u32 v41, v15, s30
	s_delay_alu instid0(VALU_DEP_1) | instskip(NEXT) | instid1(VALU_DEP_1)
	v_sub_nc_u32_e32 v41, v46, v41
	v_mad_u64_u32 v[45:46], null, s31, v41, v[7:8]
	s_delay_alu instid0(VALU_DEP_1)
	v_mov_b32_e32 v7, v45
	s_cbranch_scc1 .LBB83_38
.LBB83_39:                              ;   in Loop: Header=BB83_6 Depth=1
	s_set_inst_prefetch_distance 0x2
	s_delay_alu instid0(VALU_DEP_1) | instskip(SKIP_1) | instid1(VALU_DEP_1)
	v_mad_u64_u32 v[45:46], null, s24, v15, v[7:8]
	v_mov_b32_e32 v46, v23
	v_lshlrev_b64 v[45:46], 1, v[45:46]
	s_delay_alu instid0(VALU_DEP_1) | instskip(NEXT) | instid1(VALU_DEP_2)
	v_add_co_u32 v45, vcc_lo, s12, v45
	v_add_co_ci_u32_e32 v46, vcc_lo, s13, v46, vcc_lo
	global_load_u16 v41, v[45:46], off
	s_or_b32 exec_lo, exec_lo, s28
	s_and_saveexec_b32 s28, s3
	s_cbranch_execz .LBB83_33
.LBB83_40:                              ;   in Loop: Header=BB83_6 Depth=1
	v_mov_b32_e32 v7, 0
	v_mov_b32_e32 v15, v13
	s_and_not1_b32 vcc_lo, exec_lo, s26
	s_cbranch_vccnz .LBB83_43
; %bb.41:                               ;   in Loop: Header=BB83_6 Depth=1
	v_mov_b32_e32 v7, 0
	v_mov_b32_e32 v15, v13
	s_mov_b64 s[18:19], s[16:17]
	s_mov_b32 s3, s6
	s_set_inst_prefetch_distance 0x1
	.p2align	6
.LBB83_42:                              ;   Parent Loop BB83_6 Depth=1
                                        ; =>  This Inner Loop Header: Depth=2
	s_clause 0x1
	s_load_b32 s29, s[18:19], 0x0
	s_load_b32 s30, s[18:19], 0x64
	v_mov_b32_e32 v47, v15
	s_add_i32 s3, s3, -1
	s_waitcnt lgkmcnt(0)
	v_cvt_f32_u32_e32 v45, s29
	s_sub_i32 s31, 0, s29
	s_add_u32 s18, s18, -4
	s_addc_u32 s19, s19, -1
	s_cmp_gt_u32 s3, 2
	v_rcp_iflag_f32_e32 v45, v45
	s_waitcnt_depctr 0xfff
	v_mul_f32_e32 v45, 0x4f7ffffe, v45
	s_delay_alu instid0(VALU_DEP_1) | instskip(NEXT) | instid1(VALU_DEP_1)
	v_cvt_u32_f32_e32 v45, v45
	v_mul_lo_u32 v46, s31, v45
	s_delay_alu instid0(VALU_DEP_1) | instskip(NEXT) | instid1(VALU_DEP_1)
	v_mul_hi_u32 v46, v45, v46
	v_add_nc_u32_e32 v15, v45, v46
	s_delay_alu instid0(VALU_DEP_1) | instskip(NEXT) | instid1(VALU_DEP_1)
	v_mul_hi_u32 v15, v47, v15
	v_add_nc_u32_e32 v46, 1, v15
	v_mul_lo_u32 v45, v15, s29
	s_delay_alu instid0(VALU_DEP_1) | instskip(NEXT) | instid1(VALU_DEP_1)
	v_sub_nc_u32_e32 v45, v47, v45
	v_subrev_nc_u32_e32 v48, s29, v45
	v_cmp_le_u32_e32 vcc_lo, s29, v45
	v_cndmask_b32_e32 v15, v15, v46, vcc_lo
	s_delay_alu instid0(VALU_DEP_1) | instskip(NEXT) | instid1(VALU_DEP_1)
	v_dual_cndmask_b32 v45, v45, v48 :: v_dual_add_nc_u32 v46, 1, v15
	v_cmp_le_u32_e32 vcc_lo, s29, v45
	s_delay_alu instid0(VALU_DEP_2) | instskip(NEXT) | instid1(VALU_DEP_1)
	v_cndmask_b32_e32 v15, v15, v46, vcc_lo
	v_mul_lo_u32 v45, v15, s29
	s_delay_alu instid0(VALU_DEP_1) | instskip(NEXT) | instid1(VALU_DEP_1)
	v_sub_nc_u32_e32 v47, v47, v45
	v_mad_u64_u32 v[45:46], null, s30, v47, v[7:8]
	s_delay_alu instid0(VALU_DEP_1)
	v_mov_b32_e32 v7, v45
	s_cbranch_scc1 .LBB83_42
.LBB83_43:                              ;   in Loop: Header=BB83_6 Depth=1
	s_set_inst_prefetch_distance 0x2
	v_cvt_f32_u32_e32 v0, v0
	s_waitcnt vmcnt(0)
	v_lshlrev_b32_e32 v45, 16, v44
	s_delay_alu instid0(VALU_DEP_2) | instskip(NEXT) | instid1(VALU_DEP_1)
	v_fmaak_f32 v0, 0x2f800000, v0, 0x2f800000
	v_cmp_gt_f32_e32 vcc_lo, s5, v0
	v_cndmask_b32_e64 v0, 0, 1.0, vcc_lo
	s_delay_alu instid0(VALU_DEP_1) | instskip(SKIP_2) | instid1(VALU_DEP_3)
	v_mul_f32_e32 v0, v0, v45
	v_mad_u64_u32 v[45:46], null, s23, v15, v[7:8]
	v_mov_b32_e32 v46, v23
	v_mul_f32_e32 v0, v38, v0
	s_delay_alu instid0(VALU_DEP_2) | instskip(NEXT) | instid1(VALU_DEP_2)
	v_lshlrev_b64 v[46:47], 1, v[45:46]
	v_bfe_u32 v7, v0, 16, 1
	s_delay_alu instid0(VALU_DEP_2) | instskip(NEXT) | instid1(VALU_DEP_2)
	v_add_co_u32 v46, s3, s10, v46
	v_add3_u32 v7, v0, v7, 0x7fff
	s_delay_alu instid0(VALU_DEP_4) | instskip(SKIP_1) | instid1(VALU_DEP_3)
	v_add_co_ci_u32_e64 v47, s3, s11, v47, s3
	v_cmp_o_f32_e64 s3, v0, v0
	v_lshrrev_b32_e32 v7, 16, v7
	s_delay_alu instid0(VALU_DEP_1)
	v_cndmask_b32_e64 v0, 0x7fc0, v7, s3
	v_cndmask_b32_e64 v7, 0, 1, vcc_lo
	global_store_b16 v[46:47], v0, off
	global_store_b8 v45, v7, s[8:9]
	s_or_b32 exec_lo, exec_lo, s28
	s_and_saveexec_b32 s18, s2
	s_cbranch_execz .LBB83_34
.LBB83_44:                              ;   in Loop: Header=BB83_6 Depth=1
	v_mov_b32_e32 v0, 0
	s_and_not1_b32 vcc_lo, exec_lo, s26
	s_cbranch_vccnz .LBB83_47
; %bb.45:                               ;   in Loop: Header=BB83_6 Depth=1
	v_mov_b32_e32 v0, 0
	s_mov_b64 s[2:3], s[16:17]
	s_mov_b32 s19, s6
	s_set_inst_prefetch_distance 0x1
	.p2align	6
.LBB83_46:                              ;   Parent Loop BB83_6 Depth=1
                                        ; =>  This Inner Loop Header: Depth=2
	s_clause 0x1
	s_load_b32 s28, s[2:3], 0x0
	s_load_b32 s29, s[2:3], 0x64
	v_mov_b32_e32 v45, v10
	s_add_i32 s19, s19, -1
	s_waitcnt lgkmcnt(0)
	v_cvt_f32_u32_e32 v7, s28
	s_sub_i32 s30, 0, s28
	s_add_u32 s2, s2, -4
	s_addc_u32 s3, s3, -1
	s_cmp_gt_u32 s19, 2
	v_rcp_iflag_f32_e32 v7, v7
	s_waitcnt_depctr 0xfff
	v_mul_f32_e32 v7, 0x4f7ffffe, v7
	s_delay_alu instid0(VALU_DEP_1) | instskip(NEXT) | instid1(VALU_DEP_1)
	v_cvt_u32_f32_e32 v7, v7
	v_mul_lo_u32 v15, s30, v7
	s_delay_alu instid0(VALU_DEP_1) | instskip(NEXT) | instid1(VALU_DEP_1)
	v_mul_hi_u32 v15, v7, v15
	v_add_nc_u32_e32 v7, v7, v15
	s_delay_alu instid0(VALU_DEP_1) | instskip(NEXT) | instid1(VALU_DEP_1)
	v_mul_hi_u32 v7, v45, v7
	v_mul_lo_u32 v10, v7, s28
	v_add_nc_u32_e32 v15, 1, v7
	s_delay_alu instid0(VALU_DEP_2) | instskip(NEXT) | instid1(VALU_DEP_1)
	v_sub_nc_u32_e32 v10, v45, v10
	v_subrev_nc_u32_e32 v46, s28, v10
	v_cmp_le_u32_e32 vcc_lo, s28, v10
	s_delay_alu instid0(VALU_DEP_2) | instskip(NEXT) | instid1(VALU_DEP_1)
	v_dual_cndmask_b32 v7, v7, v15 :: v_dual_cndmask_b32 v10, v10, v46
	v_add_nc_u32_e32 v15, 1, v7
	s_delay_alu instid0(VALU_DEP_2) | instskip(NEXT) | instid1(VALU_DEP_2)
	v_cmp_le_u32_e32 vcc_lo, s28, v10
	v_cndmask_b32_e32 v10, v7, v15, vcc_lo
	s_delay_alu instid0(VALU_DEP_1) | instskip(NEXT) | instid1(VALU_DEP_1)
	v_mul_lo_u32 v7, v10, s28
	v_sub_nc_u32_e32 v7, v45, v7
	s_delay_alu instid0(VALU_DEP_1) | instskip(NEXT) | instid1(VALU_DEP_1)
	v_mad_u64_u32 v[45:46], null, s29, v7, v[0:1]
	v_mov_b32_e32 v0, v45
	s_cbranch_scc1 .LBB83_46
.LBB83_47:                              ;   in Loop: Header=BB83_6 Depth=1
	s_set_inst_prefetch_distance 0x2
	v_cvt_f32_u32_e32 v1, v1
	s_waitcnt vmcnt(0)
	v_lshlrev_b32_e32 v7, 16, v43
	s_delay_alu instid0(VALU_DEP_2) | instskip(NEXT) | instid1(VALU_DEP_1)
	v_fmaak_f32 v1, 0x2f800000, v1, 0x2f800000
	v_cmp_gt_f32_e32 vcc_lo, s5, v1
	v_cndmask_b32_e64 v1, 0, 1.0, vcc_lo
	s_delay_alu instid0(VALU_DEP_1) | instskip(NEXT) | instid1(VALU_DEP_1)
	v_mul_f32_e32 v1, v1, v7
	v_mul_f32_e32 v7, v38, v1
	v_mad_u64_u32 v[45:46], null, s23, v10, v[0:1]
	v_mov_b32_e32 v46, v23
	s_delay_alu instid0(VALU_DEP_3) | instskip(NEXT) | instid1(VALU_DEP_1)
	v_bfe_u32 v0, v7, 16, 1
	v_add3_u32 v10, v7, v0, 0x7fff
	s_delay_alu instid0(VALU_DEP_3) | instskip(NEXT) | instid1(VALU_DEP_2)
	v_lshlrev_b64 v[0:1], 1, v[45:46]
	v_lshrrev_b32_e32 v10, 16, v10
	s_delay_alu instid0(VALU_DEP_2) | instskip(NEXT) | instid1(VALU_DEP_1)
	v_add_co_u32 v0, s2, s10, v0
	v_add_co_ci_u32_e64 v1, s2, s11, v1, s2
	v_cmp_o_f32_e64 s2, v7, v7
	s_delay_alu instid0(VALU_DEP_1)
	v_cndmask_b32_e64 v7, 0x7fc0, v10, s2
	v_cndmask_b32_e64 v10, 0, 1, vcc_lo
	global_store_b16 v[0:1], v7, off
	global_store_b8 v45, v10, s[8:9]
	s_or_b32 exec_lo, exec_lo, s18
	s_and_saveexec_b32 s18, s1
	s_cbranch_execz .LBB83_35
.LBB83_48:                              ;   in Loop: Header=BB83_6 Depth=1
	v_mov_b32_e32 v0, 0
	s_and_not1_b32 vcc_lo, exec_lo, s26
	s_cbranch_vccnz .LBB83_51
; %bb.49:                               ;   in Loop: Header=BB83_6 Depth=1
	v_mov_b32_e32 v0, 0
	s_mov_b64 s[2:3], s[16:17]
	s_mov_b32 s1, s6
	s_set_inst_prefetch_distance 0x1
	.p2align	6
.LBB83_50:                              ;   Parent Loop BB83_6 Depth=1
                                        ; =>  This Inner Loop Header: Depth=2
	s_clause 0x1
	s_load_b32 s19, s[2:3], 0x0
	s_load_b32 s28, s[2:3], 0x64
	s_add_i32 s1, s1, -1
	v_mov_b32_e32 v10, v9
	s_waitcnt lgkmcnt(0)
	v_cvt_f32_u32_e32 v1, s19
	s_sub_i32 s29, 0, s19
	s_add_u32 s2, s2, -4
	s_addc_u32 s3, s3, -1
	s_cmp_gt_u32 s1, 2
	v_rcp_iflag_f32_e32 v1, v1
	s_waitcnt_depctr 0xfff
	v_mul_f32_e32 v1, 0x4f7ffffe, v1
	s_delay_alu instid0(VALU_DEP_1) | instskip(NEXT) | instid1(VALU_DEP_1)
	v_cvt_u32_f32_e32 v1, v1
	v_mul_lo_u32 v7, s29, v1
	s_delay_alu instid0(VALU_DEP_1) | instskip(NEXT) | instid1(VALU_DEP_1)
	v_mul_hi_u32 v7, v1, v7
	v_add_nc_u32_e32 v1, v1, v7
	s_delay_alu instid0(VALU_DEP_1) | instskip(NEXT) | instid1(VALU_DEP_1)
	v_mul_hi_u32 v1, v10, v1
	v_mul_lo_u32 v7, v1, s19
	v_add_nc_u32_e32 v9, 1, v1
	s_delay_alu instid0(VALU_DEP_2) | instskip(NEXT) | instid1(VALU_DEP_1)
	v_sub_nc_u32_e32 v7, v10, v7
	v_subrev_nc_u32_e32 v15, s19, v7
	v_cmp_le_u32_e32 vcc_lo, s19, v7
	s_delay_alu instid0(VALU_DEP_4) | instskip(NEXT) | instid1(VALU_DEP_3)
	v_cndmask_b32_e32 v1, v1, v9, vcc_lo
	v_cndmask_b32_e32 v7, v7, v15, vcc_lo
	s_delay_alu instid0(VALU_DEP_2) | instskip(NEXT) | instid1(VALU_DEP_2)
	v_add_nc_u32_e32 v9, 1, v1
	v_cmp_le_u32_e32 vcc_lo, s19, v7
	s_delay_alu instid0(VALU_DEP_2) | instskip(NEXT) | instid1(VALU_DEP_1)
	v_cndmask_b32_e32 v9, v1, v9, vcc_lo
	v_mul_lo_u32 v1, v9, s19
	s_delay_alu instid0(VALU_DEP_1) | instskip(NEXT) | instid1(VALU_DEP_1)
	v_sub_nc_u32_e32 v1, v10, v1
	v_mad_u64_u32 v[45:46], null, s28, v1, v[0:1]
	s_delay_alu instid0(VALU_DEP_1)
	v_mov_b32_e32 v0, v45
	s_cbranch_scc1 .LBB83_50
.LBB83_51:                              ;   in Loop: Header=BB83_6 Depth=1
	s_set_inst_prefetch_distance 0x2
	v_cvt_f32_u32_e32 v1, v2
	s_waitcnt vmcnt(0)
	s_delay_alu instid0(VALU_DEP_1) | instskip(NEXT) | instid1(VALU_DEP_1)
	v_dual_fmaak_f32 v1, 0x2f800000, v1, 0x2f800000 :: v_dual_lshlrev_b32 v2, 16, v42
	v_cmp_gt_f32_e32 vcc_lo, s5, v1
	v_cndmask_b32_e64 v1, 0, 1.0, vcc_lo
	s_delay_alu instid0(VALU_DEP_1) | instskip(NEXT) | instid1(VALU_DEP_1)
	v_mul_f32_e32 v1, v1, v2
	v_mul_f32_e32 v7, v38, v1
	v_mad_u64_u32 v[1:2], null, s23, v9, v[0:1]
	v_mov_b32_e32 v2, v23
	s_delay_alu instid0(VALU_DEP_3) | instskip(NEXT) | instid1(VALU_DEP_2)
	v_bfe_u32 v0, v7, 16, 1
	v_lshlrev_b64 v[9:10], 1, v[1:2]
	s_delay_alu instid0(VALU_DEP_2) | instskip(SKIP_1) | instid1(VALU_DEP_3)
	v_add3_u32 v0, v7, v0, 0x7fff
	v_cndmask_b32_e64 v2, 0, 1, vcc_lo
	v_add_co_u32 v9, s1, s10, v9
	s_delay_alu instid0(VALU_DEP_1) | instskip(NEXT) | instid1(VALU_DEP_4)
	v_add_co_ci_u32_e64 v10, s1, s11, v10, s1
	v_lshrrev_b32_e32 v0, 16, v0
	v_cmp_o_f32_e64 s1, v7, v7
	s_delay_alu instid0(VALU_DEP_1)
	v_cndmask_b32_e64 v0, 0x7fc0, v0, s1
	global_store_b16 v[9:10], v0, off
	global_store_b8 v1, v2, s[8:9]
	s_or_b32 exec_lo, exec_lo, s18
	s_and_saveexec_b32 s2, s0
	s_cbranch_execz .LBB83_5
.LBB83_52:                              ;   in Loop: Header=BB83_6 Depth=1
	v_mov_b32_e32 v0, 0
	s_and_not1_b32 vcc_lo, exec_lo, s26
	s_cbranch_vccnz .LBB83_4
; %bb.53:                               ;   in Loop: Header=BB83_6 Depth=1
	v_mov_b32_e32 v0, 0
	s_mov_b64 s[0:1], s[16:17]
	s_mov_b32 s3, s6
	s_set_inst_prefetch_distance 0x1
	.p2align	6
.LBB83_54:                              ;   Parent Loop BB83_6 Depth=1
                                        ; =>  This Inner Loop Header: Depth=2
	s_clause 0x1
	s_load_b32 s18, s[0:1], 0x0
	s_load_b32 s19, s[0:1], 0x64
	v_mov_b32_e32 v7, v8
	s_add_i32 s3, s3, -1
	s_waitcnt lgkmcnt(0)
	v_cvt_f32_u32_e32 v1, s18
	s_sub_i32 s28, 0, s18
	s_add_u32 s0, s0, -4
	s_addc_u32 s1, s1, -1
	s_cmp_gt_u32 s3, 2
	v_rcp_iflag_f32_e32 v1, v1
	s_waitcnt_depctr 0xfff
	v_mul_f32_e32 v1, 0x4f7ffffe, v1
	s_delay_alu instid0(VALU_DEP_1) | instskip(NEXT) | instid1(VALU_DEP_1)
	v_cvt_u32_f32_e32 v1, v1
	v_mul_lo_u32 v2, s28, v1
	s_delay_alu instid0(VALU_DEP_1) | instskip(NEXT) | instid1(VALU_DEP_1)
	v_mul_hi_u32 v2, v1, v2
	v_add_nc_u32_e32 v1, v1, v2
	s_delay_alu instid0(VALU_DEP_1) | instskip(NEXT) | instid1(VALU_DEP_1)
	v_mul_hi_u32 v1, v7, v1
	v_mul_lo_u32 v2, v1, s18
	v_add_nc_u32_e32 v8, 1, v1
	s_delay_alu instid0(VALU_DEP_2) | instskip(NEXT) | instid1(VALU_DEP_1)
	v_sub_nc_u32_e32 v2, v7, v2
	v_subrev_nc_u32_e32 v9, s18, v2
	v_cmp_le_u32_e32 vcc_lo, s18, v2
	s_delay_alu instid0(VALU_DEP_2) | instskip(NEXT) | instid1(VALU_DEP_1)
	v_dual_cndmask_b32 v2, v2, v9 :: v_dual_cndmask_b32 v1, v1, v8
	v_cmp_le_u32_e32 vcc_lo, s18, v2
	s_delay_alu instid0(VALU_DEP_2) | instskip(NEXT) | instid1(VALU_DEP_1)
	v_add_nc_u32_e32 v8, 1, v1
	v_cndmask_b32_e32 v8, v1, v8, vcc_lo
	s_delay_alu instid0(VALU_DEP_1) | instskip(NEXT) | instid1(VALU_DEP_1)
	v_mul_lo_u32 v1, v8, s18
	v_sub_nc_u32_e32 v7, v7, v1
	s_delay_alu instid0(VALU_DEP_1) | instskip(NEXT) | instid1(VALU_DEP_1)
	v_mad_u64_u32 v[1:2], null, s19, v7, v[0:1]
	v_mov_b32_e32 v0, v1
	s_cbranch_scc1 .LBB83_54
	s_branch .LBB83_4
.LBB83_55:
	s_endpgm
	.section	.rodata,"a",@progbits
	.p2align	6, 0x0
	.amdhsa_kernel _ZN2at6native12_GLOBAL__N_120fused_dropout_kernelIN3c108BFloat16EfjLin1ELin1EhEEvNS_4cuda6detail10TensorInfoIKT_T1_EENS7_IS8_SA_EENS7_IT4_SA_EESA_T0_NS_15PhiloxCudaStateE
		.amdhsa_group_segment_fixed_size 0
		.amdhsa_private_segment_fixed_size 0
		.amdhsa_kernarg_size 944
		.amdhsa_user_sgpr_count 15
		.amdhsa_user_sgpr_dispatch_ptr 0
		.amdhsa_user_sgpr_queue_ptr 0
		.amdhsa_user_sgpr_kernarg_segment_ptr 1
		.amdhsa_user_sgpr_dispatch_id 0
		.amdhsa_user_sgpr_private_segment_size 0
		.amdhsa_wavefront_size32 1
		.amdhsa_uses_dynamic_stack 0
		.amdhsa_enable_private_segment 0
		.amdhsa_system_sgpr_workgroup_id_x 1
		.amdhsa_system_sgpr_workgroup_id_y 0
		.amdhsa_system_sgpr_workgroup_id_z 0
		.amdhsa_system_sgpr_workgroup_info 0
		.amdhsa_system_vgpr_workitem_id 0
		.amdhsa_next_free_vgpr 49
		.amdhsa_next_free_sgpr 34
		.amdhsa_reserve_vcc 1
		.amdhsa_float_round_mode_32 0
		.amdhsa_float_round_mode_16_64 0
		.amdhsa_float_denorm_mode_32 3
		.amdhsa_float_denorm_mode_16_64 3
		.amdhsa_dx10_clamp 1
		.amdhsa_ieee_mode 1
		.amdhsa_fp16_overflow 0
		.amdhsa_workgroup_processor_mode 1
		.amdhsa_memory_ordered 1
		.amdhsa_forward_progress 0
		.amdhsa_shared_vgpr_count 0
		.amdhsa_exception_fp_ieee_invalid_op 0
		.amdhsa_exception_fp_denorm_src 0
		.amdhsa_exception_fp_ieee_div_zero 0
		.amdhsa_exception_fp_ieee_overflow 0
		.amdhsa_exception_fp_ieee_underflow 0
		.amdhsa_exception_fp_ieee_inexact 0
		.amdhsa_exception_int_div_zero 0
	.end_amdhsa_kernel
	.section	.text._ZN2at6native12_GLOBAL__N_120fused_dropout_kernelIN3c108BFloat16EfjLin1ELin1EhEEvNS_4cuda6detail10TensorInfoIKT_T1_EENS7_IS8_SA_EENS7_IT4_SA_EESA_T0_NS_15PhiloxCudaStateE,"axG",@progbits,_ZN2at6native12_GLOBAL__N_120fused_dropout_kernelIN3c108BFloat16EfjLin1ELin1EhEEvNS_4cuda6detail10TensorInfoIKT_T1_EENS7_IS8_SA_EENS7_IT4_SA_EESA_T0_NS_15PhiloxCudaStateE,comdat
.Lfunc_end83:
	.size	_ZN2at6native12_GLOBAL__N_120fused_dropout_kernelIN3c108BFloat16EfjLin1ELin1EhEEvNS_4cuda6detail10TensorInfoIKT_T1_EENS7_IS8_SA_EENS7_IT4_SA_EESA_T0_NS_15PhiloxCudaStateE, .Lfunc_end83-_ZN2at6native12_GLOBAL__N_120fused_dropout_kernelIN3c108BFloat16EfjLin1ELin1EhEEvNS_4cuda6detail10TensorInfoIKT_T1_EENS7_IS8_SA_EENS7_IT4_SA_EESA_T0_NS_15PhiloxCudaStateE
                                        ; -- End function
	.section	.AMDGPU.csdata,"",@progbits
; Kernel info:
; codeLenInByte = 5032
; NumSgprs: 36
; NumVgprs: 49
; ScratchSize: 0
; MemoryBound: 0
; FloatMode: 240
; IeeeMode: 1
; LDSByteSize: 0 bytes/workgroup (compile time only)
; SGPRBlocks: 4
; VGPRBlocks: 6
; NumSGPRsForWavesPerEU: 36
; NumVGPRsForWavesPerEU: 49
; Occupancy: 16
; WaveLimiterHint : 1
; COMPUTE_PGM_RSRC2:SCRATCH_EN: 0
; COMPUTE_PGM_RSRC2:USER_SGPR: 15
; COMPUTE_PGM_RSRC2:TRAP_HANDLER: 0
; COMPUTE_PGM_RSRC2:TGID_X_EN: 1
; COMPUTE_PGM_RSRC2:TGID_Y_EN: 0
; COMPUTE_PGM_RSRC2:TGID_Z_EN: 0
; COMPUTE_PGM_RSRC2:TIDIG_COMP_CNT: 0
	.section	.text._ZN2at6native12_GLOBAL__N_124fused_dropout_kernel_vecIddmLi1ELi16EhEEvNS_4cuda6detail10TensorInfoIKT_T1_EENS5_IS6_S8_EENS5_IT4_S8_EES8_T0_NS_15PhiloxCudaStateE,"axG",@progbits,_ZN2at6native12_GLOBAL__N_124fused_dropout_kernel_vecIddmLi1ELi16EhEEvNS_4cuda6detail10TensorInfoIKT_T1_EENS5_IS6_S8_EENS5_IT4_S8_EES8_T0_NS_15PhiloxCudaStateE,comdat
	.globl	_ZN2at6native12_GLOBAL__N_124fused_dropout_kernel_vecIddmLi1ELi16EhEEvNS_4cuda6detail10TensorInfoIKT_T1_EENS5_IS6_S8_EENS5_IT4_S8_EES8_T0_NS_15PhiloxCudaStateE ; -- Begin function _ZN2at6native12_GLOBAL__N_124fused_dropout_kernel_vecIddmLi1ELi16EhEEvNS_4cuda6detail10TensorInfoIKT_T1_EENS5_IS6_S8_EENS5_IT4_S8_EES8_T0_NS_15PhiloxCudaStateE
	.p2align	8
	.type	_ZN2at6native12_GLOBAL__N_124fused_dropout_kernel_vecIddmLi1ELi16EhEEvNS_4cuda6detail10TensorInfoIKT_T1_EENS5_IS6_S8_EENS5_IT4_S8_EES8_T0_NS_15PhiloxCudaStateE,@function
_ZN2at6native12_GLOBAL__N_124fused_dropout_kernel_vecIddmLi1ELi16EhEEvNS_4cuda6detail10TensorInfoIKT_T1_EENS5_IS6_S8_EENS5_IT4_S8_EES8_T0_NS_15PhiloxCudaStateE: ; @_ZN2at6native12_GLOBAL__N_124fused_dropout_kernel_vecIddmLi1ELi16EhEEvNS_4cuda6detail10TensorInfoIKT_T1_EENS5_IS6_S8_EENS5_IT4_S8_EES8_T0_NS_15PhiloxCudaStateE
; %bb.0:
	s_clause 0x1
	s_load_b256 s[16:23], s[0:1], 0x4e0
	s_load_b32 s2, s[0:1], 0x508
	s_waitcnt lgkmcnt(0)
	v_dual_mov_b32 v3, s22 :: v_dual_mov_b32 v4, s23
	v_dual_mov_b32 v10, s20 :: v_dual_mov_b32 v11, s21
	s_bitcmp0_b32 s2, 0
	s_cbranch_scc1 .LBB84_2
; %bb.1:
	v_dual_mov_b32 v1, s22 :: v_dual_mov_b32 v2, s23
	v_dual_mov_b32 v3, s20 :: v_dual_mov_b32 v4, s21
	s_load_b64 s[2:3], s[0:1], 0x500
	flat_load_b64 v[1:2], v[1:2]
	flat_load_b64 v[10:11], v[3:4]
	s_waitcnt vmcnt(1) lgkmcnt(0)
	v_add_co_u32 v3, vcc_lo, v1, s2
	v_add_co_ci_u32_e32 v4, vcc_lo, s3, v2, vcc_lo
.LBB84_2:
	s_load_b32 s4, s[0:1], 0x51c
	s_add_u32 s2, s0, 0x510
	s_addc_u32 s3, s1, 0
	v_mov_b32_e32 v12, 0
	s_mov_b32 s5, exec_lo
	s_waitcnt lgkmcnt(0)
	s_and_b32 s4, s4, 0xffff
	s_delay_alu instid0(SALU_CYCLE_1) | instskip(SKIP_1) | instid1(VALU_DEP_1)
	v_mad_u64_u32 v[8:9], null, s15, s4, v[0:1]
	v_mov_b32_e32 v9, v12
	v_lshlrev_b64 v[14:15], 4, v[8:9]
	s_delay_alu instid0(VALU_DEP_1)
	v_cmpx_gt_u64_e64 s[16:17], v[14:15]
	s_cbranch_execz .LBB84_45
; %bb.3:
	v_div_scale_f64 v[0:1], null, s[18:19], s[18:19], 1.0
	v_div_scale_f64 v[18:19], vcc_lo, 1.0, s[18:19], 1.0
	v_alignbit_b32 v27, v4, v3, 2
	v_mad_u64_u32 v[20:21], null, 0xcd9e8d57, v8, 0
	v_lshrrev_b32_e32 v26, 2, v4
	s_waitcnt vmcnt(0)
	v_dual_mov_b32 v13, v11 :: v_dual_add_nc_u32 v44, 0x8ff34781, v10
	v_mad_u64_u32 v[22:23], null, 0xd2511f53, v27, 0
	v_add_co_u32 v29, null, 0x9e3779b9, v10
	v_xor3_b32 v2, v10, v21, v26
	s_delay_alu instid0(VALU_DEP_4) | instskip(SKIP_2) | instid1(VALU_DEP_4)
	v_add_co_u32 v28, null, 0xbb67ae85, v13
	v_add_co_u32 v30, null, 0x3c6ef372, v10
	v_xor_b32_e32 v4, v23, v11
	v_mad_u64_u32 v[23:24], null, 0xd2511f53, v2, 0
	v_add_co_u32 v31, null, 0x76cf5d0a, v13
	s_delay_alu instid0(VALU_DEP_3) | instskip(SKIP_1) | instid1(VALU_DEP_4)
	v_mad_u64_u32 v[32:33], null, 0xcd9e8d57, v4, 0
	v_add_co_u32 v34, null, 0x78dde6e4, v10
	v_xor3_b32 v2, v28, v24, v22
	v_add_co_u32 v35, null, 0xed9eba14, v13
	v_add_co_u32 v36, null, 0xa9066899, v13
	v_xor3_b32 v4, v33, v29, v20
	s_delay_alu instid0(VALU_DEP_4) | instskip(SKIP_2) | instid1(VALU_DEP_3)
	v_mad_u64_u32 v[20:21], null, 0xcd9e8d57, v2, 0
	v_add_co_u32 v33, null, 0xdaa66d2b, v10
	v_rcp_f64_e32 v[5:6], v[0:1]
	v_mad_u64_u32 v[24:25], null, 0xd2511f53, v4, 0
	v_add_co_u32 v37, null, 0x1715609d, v10
	s_delay_alu instid0(VALU_DEP_4)
	v_xor3_b32 v2, v30, v21, v32
	v_add_co_u32 v32, null, 0x32370b8f, v13
	v_add_co_u32 v38, null, 0xb54cda56, v10
	v_xor3_b32 v4, v25, v31, v23
	v_add_co_u32 v39, null, 0x646e171e, v13
	v_add_co_u32 v40, null, 0x1fd5c5a3, v13
	s_delay_alu instid0(VALU_DEP_3) | instskip(SKIP_4) | instid1(VALU_DEP_4)
	v_mad_u64_u32 v[21:22], null, 0xcd9e8d57, v4, 0
	v_add_co_u32 v41, null, 0x5384540f, v10
	s_load_b32 s2, s[2:3], 0x0
	v_add_co_u32 v42, null, 0xdb3d7428, v13
	v_add_co_u32 v43, null, 0xf1bbcdc8, v10
	v_xor3_b32 v4, v22, v33, v20
	s_clause 0x2
	s_load_b64 s[20:21], s[0:1], 0x0
	s_load_b64 s[22:23], s[0:1], 0x1a0
	;; [unrolled: 1-line block ×3, first 2 shown]
	v_add_nc_u32_e32 v45, 0x96a522ad, v11
	s_mov_b32 s27, 0
	v_mad_u64_u32 v[22:23], null, 0xd2511f53, v4, 0
	s_waitcnt lgkmcnt(0)
	s_mul_i32 s2, s2, s4
	s_delay_alu instid0(TRANS32_DEP_1) | instskip(SKIP_1) | instid1(SALU_CYCLE_1)
	v_fma_f64 v[16:17], -v[0:1], v[5:6], 1.0
	s_lshl_b32 s26, s2, 4
	s_lshl_b64 s[28:29], s[26:27], 3
	s_delay_alu instid0(VALU_DEP_1) | instskip(NEXT) | instid1(VALU_DEP_1)
	v_fma_f64 v[5:6], v[5:6], v[16:17], v[5:6]
	v_fma_f64 v[16:17], -v[0:1], v[5:6], 1.0
	s_delay_alu instid0(VALU_DEP_1) | instskip(NEXT) | instid1(VALU_DEP_1)
	v_fma_f64 v[5:6], v[5:6], v[16:17], v[5:6]
	v_mul_f64 v[16:17], v[18:19], v[5:6]
	s_delay_alu instid0(VALU_DEP_1) | instskip(SKIP_1) | instid1(VALU_DEP_1)
	v_fma_f64 v[0:1], -v[0:1], v[16:17], v[18:19]
	v_mad_u64_u32 v[18:19], null, 0xd2511f53, v2, 0
	v_xor3_b32 v2, v32, v19, v24
	s_delay_alu instid0(VALU_DEP_2) | instskip(NEXT) | instid1(VALU_DEP_2)
	v_xor3_b32 v18, v23, v35, v18
	v_mad_u64_u32 v[19:20], null, 0xcd9e8d57, v2, 0
	s_delay_alu instid0(VALU_DEP_1) | instskip(SKIP_1) | instid1(VALU_DEP_2)
	v_xor3_b32 v2, v34, v20, v21
	v_div_fmas_f64 v[0:1], v[0:1], v[5:6], v[16:17]
	v_mad_u64_u32 v[4:5], null, 0xd2511f53, v2, 0
	v_mad_u64_u32 v[6:7], null, 0xcd9e8d57, v18, 0
	s_delay_alu instid0(VALU_DEP_2) | instskip(NEXT) | instid1(VALU_DEP_2)
	v_xor3_b32 v2, v36, v5, v22
	v_xor3_b32 v5, v7, v37, v19
	s_delay_alu instid0(VALU_DEP_2) | instskip(NEXT) | instid1(VALU_DEP_2)
	v_mad_u64_u32 v[18:19], null, 0xcd9e8d57, v2, 0
	v_mad_u64_u32 v[16:17], null, 0xd2511f53, v5, 0
	s_delay_alu instid0(VALU_DEP_2) | instskip(NEXT) | instid1(VALU_DEP_2)
	v_xor3_b32 v2, v38, v19, v6
	v_xor3_b32 v17, v17, v39, v4
	s_delay_alu instid0(VALU_DEP_2) | instskip(NEXT) | instid1(VALU_DEP_2)
	v_mad_u64_u32 v[4:5], null, 0xd2511f53, v2, 0
	v_mad_u64_u32 v[6:7], null, 0xcd9e8d57, v17, 0
	s_delay_alu instid0(VALU_DEP_2) | instskip(NEXT) | instid1(VALU_DEP_2)
	v_xor3_b32 v2, v40, v5, v16
	v_xor3_b32 v5, v7, v41, v18
	v_div_fixup_f64 v[16:17], v[0:1], s[18:19], 1.0
	s_delay_alu instid0(VALU_DEP_3) | instskip(NEXT) | instid1(VALU_DEP_3)
	v_mad_u64_u32 v[0:1], null, 0xcd9e8d57, v2, 0
	v_mad_u64_u32 v[18:19], null, 0xd2511f53, v5, 0
	s_delay_alu instid0(VALU_DEP_2) | instskip(NEXT) | instid1(VALU_DEP_2)
	v_xor3_b32 v6, v43, v1, v6
	v_xor3_b32 v4, v19, v42, v4
	s_delay_alu instid0(VALU_DEP_1) | instskip(NEXT) | instid1(VALU_DEP_3)
	v_mad_u64_u32 v[1:2], null, 0xcd9e8d57, v4, 0
	v_mad_u64_u32 v[4:5], null, 0xd2511f53, v6, 0
	v_and_b32_e32 v46, 3, v3
	s_delay_alu instid0(VALU_DEP_3) | instskip(NEXT) | instid1(VALU_DEP_3)
	v_xor3_b32 v0, v0, v2, v44
	v_mov_b32_e32 v3, v4
	s_delay_alu instid0(VALU_DEP_4)
	v_xor3_b32 v2, v5, v18, v45
	v_lshlrev_b64 v[18:19], 7, v[8:9]
	v_mov_b32_e32 v9, 0
	s_branch .LBB84_6
.LBB84_4:                               ;   in Loop: Header=BB84_6 Depth=1
	s_or_b32 exec_lo, exec_lo, s1
	s_delay_alu instid0(VALU_DEP_1)
	v_mov_b32_e32 v22, v54
.LBB84_5:                               ;   in Loop: Header=BB84_6 Depth=1
	s_or_b32 exec_lo, exec_lo, s0
	v_add_co_u32 v81, vcc_lo, s20, v18
	v_add_co_ci_u32_e32 v82, vcc_lo, s21, v19, vcc_lo
	v_cvt_f32_u32_e32 v4, v4
	v_cvt_f32_u32_e32 v25, v5
	;; [unrolled: 1-line block ×3, first 2 shown]
	s_clause 0x7
	global_load_b128 v[53:56], v[81:82], off
	global_load_b128 v[57:60], v[81:82], off offset:16
	global_load_b128 v[61:64], v[81:82], off offset:32
	;; [unrolled: 1-line block ×7, first 2 shown]
	v_cvt_f32_u32_e32 v20, v20
	v_dual_fmaak_f32 v4, 0x2f800000, v4, 0x2f800000 :: v_dual_fmaak_f32 v25, 0x2f800000, v25, 0x2f800000
	v_cvt_f32_u32_e32 v13, v13
	v_cvt_f32_u32_e32 v22, v22
	s_delay_alu instid0(VALU_DEP_4) | instskip(NEXT) | instid1(VALU_DEP_4)
	v_fmaak_f32 v20, 0x2f800000, v20, 0x2f800000
	v_cvt_f64_f32_e32 v[4:5], v4
	v_cvt_f64_f32_e32 v[85:86], v25
	v_cvt_f32_u32_e32 v25, v7
	v_fmaak_f32 v6, 0x2f800000, v6, 0x2f800000
	v_cvt_f64_f32_e32 v[89:90], v20
	s_add_u32 s20, s20, s28
	s_addc_u32 s21, s21, s29
	v_fmaak_f32 v25, 0x2f800000, v25, 0x2f800000
	v_cvt_f64_f32_e32 v[6:7], v6
	s_delay_alu instid0(VALU_DEP_2) | instskip(SKIP_2) | instid1(VALU_DEP_2)
	v_cvt_f64_f32_e32 v[87:88], v25
	v_cvt_f32_u32_e32 v25, v47
	v_cvt_f32_u32_e32 v47, v50
	v_fmaak_f32 v20, 0x2f800000, v25, 0x2f800000
	s_delay_alu instid0(VALU_DEP_1) | instskip(SKIP_2) | instid1(VALU_DEP_2)
	v_cvt_f64_f32_e32 v[91:92], v20
	v_cvt_f32_u32_e32 v20, v3
	v_fmaak_f32 v3, 0x2f800000, v13, 0x2f800000
	v_fmaak_f32 v25, 0x2f800000, v20, 0x2f800000
	v_cmp_gt_f64_e32 vcc_lo, s[18:19], v[4:5]
	v_cmp_gt_f64_e64 s0, s[18:19], v[85:86]
	s_delay_alu instid0(VALU_DEP_4) | instskip(SKIP_4) | instid1(VALU_DEP_4)
	v_cvt_f64_f32_e32 v[3:4], v3
	v_cvt_f32_u32_e32 v5, v21
	v_cmp_gt_f64_e64 s3, s[18:19], v[89:90]
	v_cvt_f32_u32_e32 v85, v48
	v_cmp_gt_f64_e64 s1, s[18:19], v[6:7]
	v_fmaak_f32 v5, 0x2f800000, v5, 0x2f800000
	v_cvt_f32_u32_e32 v7, v49
	v_cmp_gt_f64_e64 s2, s[18:19], v[87:88]
	s_delay_alu instid0(VALU_DEP_3) | instskip(NEXT) | instid1(VALU_DEP_3)
	v_cvt_f64_f32_e32 v[5:6], v5
	v_fmaak_f32 v7, 0x2f800000, v7, 0x2f800000
	v_cmp_gt_f64_e64 s4, s[18:19], v[91:92]
	v_cndmask_b32_e64 v13, 0, 0x3ff00000, vcc_lo
	v_cmp_gt_f64_e64 s5, s[18:19], v[3:4]
	v_cmp_gt_f64_e64 s7, s[18:19], v[5:6]
	s_waitcnt vmcnt(7)
	s_delay_alu instid0(VALU_DEP_3) | instskip(SKIP_3) | instid1(VALU_DEP_3)
	v_mul_f64 v[20:21], v[53:54], v[12:13]
	v_cndmask_b32_e64 v13, 0, 0x3ff00000, s0
	v_cvt_f64_f32_e32 v[53:54], v25
	v_fmaak_f32 v25, 0x2f800000, v47, 0x2f800000
	v_mul_f64 v[55:56], v[55:56], v[12:13]
	v_cndmask_b32_e64 v13, 0, 0x3ff00000, s1
	s_delay_alu instid0(VALU_DEP_3) | instskip(SKIP_2) | instid1(VALU_DEP_3)
	v_cvt_f64_f32_e32 v[47:48], v25
	v_cvt_f32_u32_e32 v25, v52
	s_waitcnt vmcnt(6)
	v_mul_f64 v[49:50], v[57:58], v[12:13]
	v_cndmask_b32_e64 v13, 0, 0x3ff00000, s2
	s_delay_alu instid0(VALU_DEP_1) | instskip(SKIP_3) | instid1(VALU_DEP_2)
	v_mul_f64 v[57:58], v[59:60], v[12:13]
	v_cvt_f64_f32_e32 v[59:60], v7
	v_fmaak_f32 v7, 0x2f800000, v85, 0x2f800000
	v_cndmask_b32_e64 v13, 0, 0x3ff00000, s3
	v_cvt_f64_f32_e32 v[85:86], v7
	s_waitcnt vmcnt(5)
	s_delay_alu instid0(VALU_DEP_2) | instskip(SKIP_3) | instid1(VALU_DEP_3)
	v_mul_f64 v[61:62], v[61:62], v[12:13]
	v_cndmask_b32_e64 v13, 0, 0x3ff00000, s4
	v_fmaak_f32 v7, 0x2f800000, v22, 0x2f800000
	v_cvt_f32_u32_e32 v22, v51
	v_mul_f64 v[63:64], v[63:64], v[12:13]
	v_cndmask_b32_e64 v13, 0, 0x3ff00000, s5
	s_delay_alu instid0(VALU_DEP_4) | instskip(SKIP_2) | instid1(VALU_DEP_3)
	v_cvt_f64_f32_e32 v[3:4], v7
	v_fmaak_f32 v7, 0x2f800000, v25, 0x2f800000
	s_waitcnt vmcnt(4)
	v_mul_f64 v[51:52], v[65:66], v[12:13]
	v_cvt_f32_u32_e32 v65, v24
	v_cmp_gt_f64_e64 s6, s[18:19], v[53:54]
	v_cvt_f64_f32_e32 v[24:25], v7
	v_fmaak_f32 v7, 0x2f800000, v22, 0x2f800000
	v_cmp_gt_f64_e64 s8, s[18:19], v[47:48]
	s_delay_alu instid0(VALU_DEP_2) | instskip(SKIP_1) | instid1(VALU_DEP_1)
	v_cvt_f64_f32_e32 v[5:6], v7
	v_fmaak_f32 v7, 0x2f800000, v65, 0x2f800000
	v_cvt_f64_f32_e32 v[47:48], v7
	v_cndmask_b32_e64 v7, 0, 1, s1
	v_cmp_gt_f64_e64 s9, s[18:19], v[59:60]
	v_cmp_gt_f64_e64 s10, s[18:19], v[85:86]
	;; [unrolled: 1-line block ×3, first 2 shown]
	v_cndmask_b32_e64 v4, 0, 1, s0
	v_mov_b32_e32 v3, v23
	v_mul_f64 v[22:23], v[16:17], v[57:58]
	v_mul_f64 v[51:52], v[16:17], v[51:52]
	v_cndmask_b32_e64 v13, 0, 0x3ff00000, s6
	v_cmp_gt_f64_e64 s12, s[18:19], v[24:25]
	v_lshlrev_b16 v4, 8, v4
	s_delay_alu instid0(VALU_DEP_3)
	v_mul_f64 v[53:54], v[67:68], v[12:13]
	v_cndmask_b32_e64 v13, 0, 0x3ff00000, s7
	v_cmp_gt_f64_e64 s13, s[18:19], v[5:6]
	v_cndmask_b32_e64 v5, 0, 1, vcc_lo
	v_cndmask_b32_e64 v6, 0, 1, s2
	s_waitcnt vmcnt(3)
	v_mul_f64 v[65:66], v[69:70], v[12:13]
	v_cndmask_b32_e64 v13, 0, 0x3ff00000, s8
	v_or_b32_e32 v4, v5, v4
	v_lshlrev_b16 v5, 8, v6
	v_cndmask_b32_e64 v6, 0, 1, s3
	s_delay_alu instid0(VALU_DEP_4) | instskip(SKIP_2) | instid1(VALU_DEP_1)
	v_mul_f64 v[67:68], v[71:72], v[12:13]
	v_cndmask_b32_e64 v13, 0, 0x3ff00000, s9
	s_waitcnt vmcnt(2)
	v_mul_f64 v[59:60], v[73:74], v[12:13]
	v_cndmask_b32_e64 v13, 0, 0x3ff00000, s10
	s_delay_alu instid0(VALU_DEP_1) | instskip(SKIP_1) | instid1(VALU_DEP_1)
	v_mul_f64 v[69:70], v[75:76], v[12:13]
	v_add_co_u32 v75, s14, s22, v18
	v_add_co_ci_u32_e64 v76, s14, s23, v19, s14
	v_cmp_gt_f64_e64 s14, s[18:19], v[47:48]
	v_cndmask_b32_e64 v13, 0, 0x3ff00000, s11
	v_mul_f64 v[47:48], v[16:17], v[61:62]
	s_add_u32 s22, s22, s28
	s_addc_u32 s23, s23, s29
	s_waitcnt vmcnt(1)
	v_mul_f64 v[71:72], v[77:78], v[12:13]
	v_cndmask_b32_e64 v13, 0, 0x3ff00000, s12
	v_add_co_u32 v77, s15, s24, v14
	v_mul_f64 v[53:54], v[16:17], v[53:54]
	v_add_co_ci_u32_e64 v78, s15, s25, v15, s15
	s_delay_alu instid0(VALU_DEP_4) | instskip(SKIP_2) | instid1(VALU_DEP_1)
	v_mul_f64 v[24:25], v[79:80], v[12:13]
	v_cndmask_b32_e64 v13, 0, 0x3ff00000, s13
	v_add_co_u32 v14, s15, v14, s26
	v_add_co_ci_u32_e64 v15, s15, 0, v15, s15
	s_waitcnt vmcnt(0)
	s_delay_alu instid0(VALU_DEP_3)
	v_mul_f64 v[73:74], v[81:82], v[12:13]
	v_and_b32_e32 v81, 0xffff, v4
	v_or_b32_e32 v82, v7, v5
	v_mul_f64 v[4:5], v[16:17], v[20:21]
	v_mul_f64 v[20:21], v[16:17], v[49:50]
	;; [unrolled: 1-line block ×4, first 2 shown]
	v_cmp_le_u64_e32 vcc_lo, s[16:17], v[14:15]
	v_mul_f64 v[59:60], v[16:17], v[59:60]
	s_or_b32 s27, vcc_lo, s27
	v_mul_f64 v[61:62], v[16:17], v[69:70]
	v_cndmask_b32_e64 v13, 0, 0x3ff00000, s14
	s_delay_alu instid0(VALU_DEP_1)
	v_mul_f64 v[79:80], v[83:84], v[12:13]
	v_cndmask_b32_e64 v13, 0, 1, s4
	v_mul_f64 v[63:64], v[16:17], v[71:72]
	v_cndmask_b32_e64 v84, 0, 1, s6
	v_cndmask_b32_e64 v71, 0, 1, s8
	v_cndmask_b32_e64 v83, 0, 1, s5
	v_lshlrev_b16 v13, 8, v13
	s_delay_alu instid0(VALU_DEP_4) | instskip(NEXT) | instid1(VALU_DEP_4)
	v_lshlrev_b16 v72, 8, v84
	v_lshlrev_b16 v71, 8, v71
	v_cndmask_b32_e64 v84, 0, 1, s13
	s_delay_alu instid0(VALU_DEP_4)
	v_or_b32_e32 v13, v6, v13
	v_mul_f64 v[6:7], v[16:17], v[55:56]
	v_mul_f64 v[55:56], v[16:17], v[65:66]
	;; [unrolled: 1-line block ×4, first 2 shown]
	v_cndmask_b32_e64 v74, 0, 1, s10
	v_lshlrev_b32_e32 v24, 16, v82
	v_cndmask_b32_e64 v25, 0, 1, s7
	v_cndmask_b32_e64 v73, 0, 1, s9
	;; [unrolled: 1-line block ×3, first 2 shown]
	v_lshlrev_b16 v74, 8, v74
	v_or_b32_e32 v72, v83, v72
	v_or_b32_e32 v25, v25, v71
	v_and_b32_e32 v13, 0xffff, v13
	s_delay_alu instid0(VALU_DEP_4) | instskip(NEXT) | instid1(VALU_DEP_4)
	v_or_b32_e32 v71, v73, v74
	v_lshlrev_b32_e32 v72, 16, v72
	s_delay_alu instid0(VALU_DEP_4) | instskip(NEXT) | instid1(VALU_DEP_2)
	v_and_b32_e32 v25, 0xffff, v25
	v_or_b32_e32 v72, v13, v72
	v_mul_f64 v[69:70], v[16:17], v[79:80]
	v_cndmask_b32_e64 v79, 0, 1, s12
	v_cndmask_b32_e64 v80, 0, 1, s14
	s_delay_alu instid0(VALU_DEP_2) | instskip(NEXT) | instid1(VALU_DEP_2)
	v_lshlrev_b16 v79, 8, v79
	v_lshlrev_b16 v80, 8, v80
	s_delay_alu instid0(VALU_DEP_2) | instskip(NEXT) | instid1(VALU_DEP_2)
	v_or_b32_e32 v73, v82, v79
	v_or_b32_e32 v74, v84, v80
	v_lshlrev_b32_e32 v79, 16, v71
	v_or_b32_e32 v71, v81, v24
	s_delay_alu instid0(VALU_DEP_4) | instskip(NEXT) | instid1(VALU_DEP_4)
	v_and_b32_e32 v80, 0xffff, v73
	v_lshlrev_b32_e32 v74, 16, v74
	s_delay_alu instid0(VALU_DEP_4) | instskip(NEXT) | instid1(VALU_DEP_2)
	v_or_b32_e32 v73, v25, v79
	v_or_b32_e32 v74, v80, v74
	s_clause 0x7
	global_store_b128 v[75:76], v[4:7], off
	global_store_b128 v[75:76], v[20:23], off offset:16
	global_store_b128 v[75:76], v[47:50], off offset:32
	;; [unrolled: 1-line block ×7, first 2 shown]
	global_store_b128 v[77:78], v[71:74], off
	s_waitcnt_vscnt null, 0x0
	s_barrier
	buffer_gl0_inv
	s_and_not1_b32 exec_lo, exec_lo, s27
	s_cbranch_execz .LBB84_45
.LBB84_6:                               ; =>This Inner Loop Header: Depth=1
	v_add_co_u32 v6, vcc_lo, v27, 1
	s_delay_alu instid0(VALU_DEP_1) | instskip(SKIP_2) | instid1(VALU_DEP_1)
	v_cndmask_b32_e64 v4, 0, 1, vcc_lo
	v_add_co_ci_u32_e32 v13, vcc_lo, 0, v26, vcc_lo
	s_mov_b32 s0, exec_lo
	v_cmp_eq_u32_e32 vcc_lo, 0, v13
	s_delay_alu instid0(VALU_DEP_3) | instskip(SKIP_1) | instid1(VALU_DEP_2)
	v_cndmask_b32_e32 v7, 0, v4, vcc_lo
	v_mad_u64_u32 v[4:5], null, 0xd2511f53, v6, 0
	v_add_nc_u32_e32 v25, v7, v8
	s_delay_alu instid0(VALU_DEP_2) | instskip(NEXT) | instid1(VALU_DEP_2)
	v_xor_b32_e32 v8, v5, v11
	v_cmp_eq_u32_e32 vcc_lo, 0, v25
	v_mad_u64_u32 v[5:6], null, 0xcd9e8d57, v25, 0
	v_cndmask_b32_e32 v7, 0, v7, vcc_lo
	s_delay_alu instid0(VALU_DEP_2) | instskip(NEXT) | instid1(VALU_DEP_2)
	v_xor3_b32 v20, v6, v10, v13
	v_add_nc_u32_e32 v22, v7, v9
	s_delay_alu instid0(VALU_DEP_1) | instskip(NEXT) | instid1(VALU_DEP_1)
	v_xor_b32_e32 v8, v22, v8
	v_mad_u64_u32 v[6:7], null, 0xcd9e8d57, v8, 0
	s_delay_alu instid0(VALU_DEP_4) | instskip(NEXT) | instid1(VALU_DEP_2)
	v_mad_u64_u32 v[8:9], null, 0xd2511f53, v20, 0
	v_xor3_b32 v7, v29, v7, v5
	s_delay_alu instid0(VALU_DEP_2) | instskip(NEXT) | instid1(VALU_DEP_2)
	v_xor3_b32 v9, v28, v9, v4
	v_mad_u64_u32 v[4:5], null, 0xd2511f53, v7, 0
	s_delay_alu instid0(VALU_DEP_2) | instskip(NEXT) | instid1(VALU_DEP_2)
	v_mad_u64_u32 v[20:21], null, 0xcd9e8d57, v9, 0
	v_xor3_b32 v7, v31, v5, v8
	s_delay_alu instid0(VALU_DEP_2) | instskip(NEXT) | instid1(VALU_DEP_2)
	v_xor3_b32 v9, v30, v21, v6
	v_mad_u64_u32 v[5:6], null, 0xcd9e8d57, v7, 0
	s_delay_alu instid0(VALU_DEP_2) | instskip(NEXT) | instid1(VALU_DEP_2)
	;; [unrolled: 6-line block ×8, first 2 shown]
	v_mad_u64_u32 v[20:21], null, 0xd2511f53, v4, 0
	v_xor3_b32 v23, v9, v23, v44
	s_delay_alu instid0(VALU_DEP_2)
	v_xor3_b32 v9, v21, v5, v45
                                        ; implicit-def: $vgpr4_vgpr5_vgpr6_vgpr7
	v_cmpx_lt_i32_e32 1, v46
	s_xor_b32 s0, exec_lo, s0
	s_cbranch_execz .LBB84_12
; %bb.7:                                ;   in Loop: Header=BB84_6 Depth=1
	s_mov_b32 s1, exec_lo
                                        ; implicit-def: $vgpr4_vgpr5_vgpr6_vgpr7
	v_cmpx_lt_i32_e32 2, v46
	s_xor_b32 s1, exec_lo, s1
; %bb.8:                                ;   in Loop: Header=BB84_6 Depth=1
	v_mov_b32_e32 v6, v3
	v_mov_b32_e32 v7, v23
                                        ; implicit-def: $vgpr0_vgpr1_vgpr2_vgpr3
	s_delay_alu instid0(VALU_DEP_2) | instskip(NEXT) | instid1(VALU_DEP_2)
	v_mov_b32_e32 v4, v6
	v_dual_mov_b32 v5, v7 :: v_dual_mov_b32 v6, v8
	v_mov_b32_e32 v7, v9
; %bb.9:                                ;   in Loop: Header=BB84_6 Depth=1
	s_and_not1_saveexec_b32 s1, s1
; %bb.10:                               ;   in Loop: Header=BB84_6 Depth=1
	v_dual_mov_b32 v4, v2 :: v_dual_mov_b32 v5, v3
	v_dual_mov_b32 v6, v23 :: v_dual_mov_b32 v7, v8
; %bb.11:                               ;   in Loop: Header=BB84_6 Depth=1
	s_or_b32 exec_lo, exec_lo, s1
                                        ; implicit-def: $vgpr0_vgpr1_vgpr2_vgpr3
.LBB84_12:                              ;   in Loop: Header=BB84_6 Depth=1
	s_and_not1_saveexec_b32 s0, s0
	s_cbranch_execz .LBB84_16
; %bb.13:                               ;   in Loop: Header=BB84_6 Depth=1
	s_mov_b32 s1, exec_lo
	v_cmpx_eq_u32_e32 1, v46
; %bb.14:                               ;   in Loop: Header=BB84_6 Depth=1
	v_dual_mov_b32 v0, v1 :: v_dual_mov_b32 v1, v2
	v_mov_b32_e32 v2, v3
	v_mov_b32_e32 v3, v23
; %bb.15:                               ;   in Loop: Header=BB84_6 Depth=1
	s_or_b32 exec_lo, exec_lo, s1
	s_delay_alu instid0(VALU_DEP_1)
	v_dual_mov_b32 v7, v3 :: v_dual_mov_b32 v6, v2
	v_dual_mov_b32 v5, v1 :: v_dual_mov_b32 v4, v0
.LBB84_16:                              ;   in Loop: Header=BB84_6 Depth=1
	s_or_b32 exec_lo, exec_lo, s0
	v_add_nc_u32_e32 v2, 2, v27
	s_mov_b32 s0, exec_lo
	s_delay_alu instid0(VALU_DEP_1) | instskip(SKIP_2) | instid1(VALU_DEP_1)
	v_cmp_eq_u32_e32 vcc_lo, 0, v2
	v_cndmask_b32_e64 v0, 0, 1, vcc_lo
	v_add_co_ci_u32_e32 v24, vcc_lo, 0, v13, vcc_lo
	v_cmp_eq_u32_e32 vcc_lo, 0, v24
	s_delay_alu instid0(VALU_DEP_3) | instskip(SKIP_1) | instid1(VALU_DEP_2)
	v_cndmask_b32_e32 v3, 0, v0, vcc_lo
	v_mad_u64_u32 v[0:1], null, 0xd2511f53, v2, 0
	v_add_nc_u32_e32 v25, v3, v25
	s_delay_alu instid0(VALU_DEP_2) | instskip(NEXT) | instid1(VALU_DEP_2)
	v_xor_b32_e32 v1, v1, v11
	v_cmp_eq_u32_e32 vcc_lo, 0, v25
	v_cndmask_b32_e32 v13, 0, v3, vcc_lo
	v_mad_u64_u32 v[2:3], null, 0xcd9e8d57, v25, 0
	s_delay_alu instid0(VALU_DEP_2) | instskip(NEXT) | instid1(VALU_DEP_2)
	v_add_nc_u32_e32 v26, v13, v22
	v_xor3_b32 v3, v3, v10, v24
	s_delay_alu instid0(VALU_DEP_2) | instskip(NEXT) | instid1(VALU_DEP_2)
	v_xor_b32_e32 v1, v26, v1
	v_mad_u64_u32 v[21:22], null, 0xd2511f53, v3, 0
	s_delay_alu instid0(VALU_DEP_2) | instskip(NEXT) | instid1(VALU_DEP_2)
	v_mad_u64_u32 v[47:48], null, 0xcd9e8d57, v1, 0
	v_xor3_b32 v3, v28, v22, v0
	s_delay_alu instid0(VALU_DEP_2) | instskip(NEXT) | instid1(VALU_DEP_2)
	v_xor3_b32 v13, v29, v48, v2
	v_mad_u64_u32 v[0:1], null, 0xcd9e8d57, v3, 0
	s_delay_alu instid0(VALU_DEP_2) | instskip(NEXT) | instid1(VALU_DEP_2)
	v_mad_u64_u32 v[2:3], null, 0xd2511f53, v13, 0
	v_xor3_b32 v1, v30, v1, v47
	s_delay_alu instid0(VALU_DEP_2) | instskip(NEXT) | instid1(VALU_DEP_2)
	v_xor3_b32 v3, v31, v3, v21
	;; [unrolled: 6-line block ×5, first 2 shown]
	v_mad_u64_u32 v[0:1], null, 0xcd9e8d57, v2, 0
	s_delay_alu instid0(VALU_DEP_2) | instskip(NEXT) | instid1(VALU_DEP_2)
	v_mad_u64_u32 v[2:3], null, 0xd2511f53, v13, 0
                                        ; implicit-def: $vgpr13
	v_xor3_b32 v1, v38, v1, v47
	s_delay_alu instid0(VALU_DEP_2) | instskip(NEXT) | instid1(VALU_DEP_2)
	v_xor3_b32 v3, v39, v3, v21
	v_mad_u64_u32 v[21:22], null, 0xd2511f53, v1, 0
	s_delay_alu instid0(VALU_DEP_2) | instskip(NEXT) | instid1(VALU_DEP_2)
	v_mad_u64_u32 v[47:48], null, 0xcd9e8d57, v3, 0
	v_xor3_b32 v1, v40, v22, v2
	s_delay_alu instid0(VALU_DEP_2) | instskip(NEXT) | instid1(VALU_DEP_2)
	v_xor3_b32 v0, v41, v48, v0
	v_mad_u64_u32 v[48:49], null, 0xcd9e8d57, v1, 0
	s_delay_alu instid0(VALU_DEP_2) | instskip(NEXT) | instid1(VALU_DEP_2)
	v_mad_u64_u32 v[2:3], null, 0xd2511f53, v0, 0
	v_xor3_b32 v0, v43, v49, v47
                                        ; implicit-def: $vgpr47
	s_delay_alu instid0(VALU_DEP_2) | instskip(NEXT) | instid1(VALU_DEP_2)
	v_xor3_b32 v3, v42, v3, v21
	v_mad_u64_u32 v[21:22], null, 0xd2511f53, v0, 0
	s_delay_alu instid0(VALU_DEP_2) | instskip(NEXT) | instid1(VALU_DEP_2)
	v_mad_u64_u32 v[0:1], null, 0xcd9e8d57, v3, 0
                                        ; implicit-def: $vgpr3
	v_xor3_b32 v2, v22, v2, v45
	s_delay_alu instid0(VALU_DEP_2)
	v_xor3_b32 v1, v1, v48, v44
	v_cmpx_lt_i32_e32 1, v46
	s_xor_b32 s0, exec_lo, s0
	s_cbranch_execz .LBB84_22
; %bb.17:                               ;   in Loop: Header=BB84_6 Depth=1
	s_mov_b32 s1, exec_lo
	v_cmpx_lt_i32_e32 2, v46
	s_xor_b32 s1, exec_lo, s1
; %bb.18:                               ;   in Loop: Header=BB84_6 Depth=1
                                        ; implicit-def: $vgpr9
; %bb.19:                               ;   in Loop: Header=BB84_6 Depth=1
	s_delay_alu instid0(SALU_CYCLE_1)
	s_or_saveexec_b32 s1, s1
	v_mov_b32_e32 v3, v2
	v_mov_b32_e32 v13, v0
	;; [unrolled: 1-line block ×3, first 2 shown]
	s_xor_b32 exec_lo, exec_lo, s1
; %bb.20:                               ;   in Loop: Header=BB84_6 Depth=1
	v_mov_b32_e32 v3, v0
	v_mov_b32_e32 v13, v1
	v_dual_mov_b32 v47, v20 :: v_dual_mov_b32 v20, v9
; %bb.21:                               ;   in Loop: Header=BB84_6 Depth=1
	s_or_b32 exec_lo, exec_lo, s1
                                        ; implicit-def: $vgpr9
                                        ; implicit-def: $vgpr23
.LBB84_22:                              ;   in Loop: Header=BB84_6 Depth=1
	s_and_not1_saveexec_b32 s0, s0
	s_cbranch_execz .LBB84_26
; %bb.23:                               ;   in Loop: Header=BB84_6 Depth=1
	s_delay_alu instid0(VALU_DEP_1)
	v_mov_b32_e32 v3, v20
	v_mov_b32_e32 v13, v9
	;; [unrolled: 1-line block ×3, first 2 shown]
	s_mov_b32 s1, exec_lo
	v_cmpx_eq_u32_e32 1, v46
; %bb.24:                               ;   in Loop: Header=BB84_6 Depth=1
	v_mov_b32_e32 v3, v1
	v_mov_b32_e32 v13, v20
	;; [unrolled: 1-line block ×4, first 2 shown]
; %bb.25:                               ;   in Loop: Header=BB84_6 Depth=1
	s_or_b32 exec_lo, exec_lo, s1
	s_delay_alu instid0(VALU_DEP_1)
	v_mov_b32_e32 v20, v23
.LBB84_26:                              ;   in Loop: Header=BB84_6 Depth=1
	s_or_b32 exec_lo, exec_lo, s0
	v_add_nc_u32_e32 v48, 3, v27
	s_mov_b32 s0, exec_lo
	s_delay_alu instid0(VALU_DEP_1) | instskip(SKIP_3) | instid1(VALU_DEP_3)
	v_cmp_eq_u32_e32 vcc_lo, 0, v48
	v_mad_u64_u32 v[22:23], null, 0xd2511f53, v48, 0
	v_cndmask_b32_e64 v9, 0, 1, vcc_lo
	v_add_co_ci_u32_e32 v8, vcc_lo, 0, v24, vcc_lo
	v_xor_b32_e32 v23, v23, v11
	s_delay_alu instid0(VALU_DEP_2) | instskip(NEXT) | instid1(VALU_DEP_4)
	v_cmp_eq_u32_e32 vcc_lo, 0, v8
	v_cndmask_b32_e32 v24, 0, v9, vcc_lo
	s_delay_alu instid0(VALU_DEP_1) | instskip(NEXT) | instid1(VALU_DEP_1)
	v_add_nc_u32_e32 v9, v24, v25
	v_cmp_eq_u32_e32 vcc_lo, 0, v9
	v_cndmask_b32_e32 v24, 0, v24, vcc_lo
	v_mad_u64_u32 v[48:49], null, 0xcd9e8d57, v9, 0
	s_delay_alu instid0(VALU_DEP_2) | instskip(NEXT) | instid1(VALU_DEP_2)
	v_add_nc_u32_e32 v24, v24, v26
	v_xor3_b32 v49, v49, v10, v8
	s_delay_alu instid0(VALU_DEP_2) | instskip(NEXT) | instid1(VALU_DEP_2)
	v_xor_b32_e32 v23, v24, v23
	v_mad_u64_u32 v[25:26], null, 0xd2511f53, v49, 0
	s_delay_alu instid0(VALU_DEP_2) | instskip(NEXT) | instid1(VALU_DEP_2)
	v_mad_u64_u32 v[49:50], null, 0xcd9e8d57, v23, 0
	v_xor3_b32 v26, v28, v26, v22
	s_delay_alu instid0(VALU_DEP_2) | instskip(NEXT) | instid1(VALU_DEP_2)
	v_xor3_b32 v48, v29, v50, v48
	v_mad_u64_u32 v[22:23], null, 0xcd9e8d57, v26, 0
	s_delay_alu instid0(VALU_DEP_2) | instskip(NEXT) | instid1(VALU_DEP_2)
	v_mad_u64_u32 v[50:51], null, 0xd2511f53, v48, 0
	v_xor3_b32 v23, v30, v23, v49
	s_delay_alu instid0(VALU_DEP_2) | instskip(NEXT) | instid1(VALU_DEP_2)
	v_xor3_b32 v51, v31, v51, v25
	;; [unrolled: 6-line block ×7, first 2 shown]
	v_mad_u64_u32 v[50:51], null, 0xcd9e8d57, v23, 0
	s_delay_alu instid0(VALU_DEP_2) | instskip(NEXT) | instid1(VALU_DEP_2)
	v_mad_u64_u32 v[52:53], null, 0xd2511f53, v22, 0
	v_xor3_b32 v26, v43, v51, v49
                                        ; implicit-def: $vgpr49
	s_delay_alu instid0(VALU_DEP_2) | instskip(NEXT) | instid1(VALU_DEP_2)
	v_xor3_b32 v48, v42, v53, v25
	v_mad_u64_u32 v[22:23], null, 0xd2511f53, v26, 0
	s_delay_alu instid0(VALU_DEP_2) | instskip(NEXT) | instid1(VALU_DEP_2)
	v_mad_u64_u32 v[25:26], null, 0xcd9e8d57, v48, 0
                                        ; implicit-def: $vgpr48
	v_xor3_b32 v53, v23, v52, v45
	s_delay_alu instid0(VALU_DEP_2)
	v_xor3_b32 v54, v26, v50, v44
                                        ; implicit-def: $vgpr50
	v_cmpx_lt_i32_e32 1, v46
	s_xor_b32 s0, exec_lo, s0
	s_cbranch_execz .LBB84_32
; %bb.27:                               ;   in Loop: Header=BB84_6 Depth=1
	s_mov_b32 s1, exec_lo
	v_cmpx_lt_i32_e32 2, v46
	s_xor_b32 s1, exec_lo, s1
; %bb.28:                               ;   in Loop: Header=BB84_6 Depth=1
                                        ; implicit-def: $vgpr2
; %bb.29:                               ;   in Loop: Header=BB84_6 Depth=1
	s_delay_alu instid0(SALU_CYCLE_1)
	s_or_saveexec_b32 s1, s1
	v_mov_b32_e32 v48, v53
	v_dual_mov_b32 v49, v25 :: v_dual_mov_b32 v50, v54
	s_xor_b32 exec_lo, exec_lo, s1
; %bb.30:                               ;   in Loop: Header=BB84_6 Depth=1
	v_dual_mov_b32 v48, v25 :: v_dual_mov_b32 v49, v54
	v_dual_mov_b32 v50, v21 :: v_dual_mov_b32 v21, v2
; %bb.31:                               ;   in Loop: Header=BB84_6 Depth=1
	s_or_b32 exec_lo, exec_lo, s1
                                        ; implicit-def: $vgpr2
                                        ; implicit-def: $vgpr0
                                        ; implicit-def: $vgpr1
.LBB84_32:                              ;   in Loop: Header=BB84_6 Depth=1
	s_and_not1_saveexec_b32 s0, s0
	s_cbranch_execz .LBB84_36
; %bb.33:                               ;   in Loop: Header=BB84_6 Depth=1
	s_delay_alu instid0(VALU_DEP_1)
	v_dual_mov_b32 v48, v21 :: v_dual_mov_b32 v49, v2
	v_mov_b32_e32 v50, v0
	s_mov_b32 s1, exec_lo
	v_cmpx_eq_u32_e32 1, v46
; %bb.34:                               ;   in Loop: Header=BB84_6 Depth=1
	v_dual_mov_b32 v48, v54 :: v_dual_mov_b32 v49, v21
	v_dual_mov_b32 v50, v2 :: v_dual_mov_b32 v1, v0
; %bb.35:                               ;   in Loop: Header=BB84_6 Depth=1
	s_or_b32 exec_lo, exec_lo, s1
	s_delay_alu instid0(VALU_DEP_1)
	v_mov_b32_e32 v21, v1
.LBB84_36:                              ;   in Loop: Header=BB84_6 Depth=1
	s_or_b32 exec_lo, exec_lo, s0
	v_add_nc_u32_e32 v27, 4, v27
	s_mov_b32 s0, exec_lo
	s_delay_alu instid0(VALU_DEP_1) | instskip(SKIP_2) | instid1(VALU_DEP_1)
	v_cmp_eq_u32_e32 vcc_lo, 0, v27
	v_cndmask_b32_e64 v0, 0, 1, vcc_lo
	v_add_co_ci_u32_e32 v26, vcc_lo, 0, v8, vcc_lo
	v_cmp_eq_u32_e32 vcc_lo, 0, v26
	s_delay_alu instid0(VALU_DEP_3) | instskip(NEXT) | instid1(VALU_DEP_1)
	v_cndmask_b32_e32 v0, 0, v0, vcc_lo
	v_add_nc_u32_e32 v8, v0, v9
	s_delay_alu instid0(VALU_DEP_1) | instskip(SKIP_1) | instid1(VALU_DEP_1)
	v_cmp_eq_u32_e32 vcc_lo, 0, v8
	v_cndmask_b32_e32 v0, 0, v0, vcc_lo
	v_add_nc_u32_e32 v9, v0, v24
	v_mad_u64_u32 v[0:1], null, 0xd2511f53, v27, 0
	v_mad_u64_u32 v[23:24], null, 0xcd9e8d57, v8, 0
	s_delay_alu instid0(VALU_DEP_2) | instskip(NEXT) | instid1(VALU_DEP_2)
	v_xor_b32_e32 v1, v1, v11
	v_xor3_b32 v24, v24, v10, v26
	s_delay_alu instid0(VALU_DEP_2) | instskip(NEXT) | instid1(VALU_DEP_1)
	v_xor_b32_e32 v51, v9, v1
	v_mad_u64_u32 v[1:2], null, 0xcd9e8d57, v51, 0
	s_delay_alu instid0(VALU_DEP_3) | instskip(NEXT) | instid1(VALU_DEP_2)
	v_mad_u64_u32 v[51:52], null, 0xd2511f53, v24, 0
	v_xor3_b32 v2, v29, v2, v23
	s_delay_alu instid0(VALU_DEP_2) | instskip(NEXT) | instid1(VALU_DEP_2)
	v_xor3_b32 v0, v28, v52, v0
	v_mad_u64_u32 v[23:24], null, 0xd2511f53, v2, 0
	s_delay_alu instid0(VALU_DEP_2) | instskip(NEXT) | instid1(VALU_DEP_2)
	v_mad_u64_u32 v[55:56], null, 0xcd9e8d57, v0, 0
	v_xor3_b32 v2, v31, v24, v51
	s_delay_alu instid0(VALU_DEP_2) | instskip(NEXT) | instid1(VALU_DEP_2)
	v_xor3_b32 v24, v30, v56, v1
	v_mad_u64_u32 v[0:1], null, 0xcd9e8d57, v2, 0
	s_delay_alu instid0(VALU_DEP_2) | instskip(NEXT) | instid1(VALU_DEP_2)
	;; [unrolled: 6-line block ×6, first 2 shown]
	v_mad_u64_u32 v[51:52], null, 0xd2511f53, v24, 0
	v_xor3_b32 v2, v41, v2, v23
	s_delay_alu instid0(VALU_DEP_2) | instskip(NEXT) | instid1(VALU_DEP_2)
	v_xor3_b32 v0, v40, v52, v0
                                        ; implicit-def: $vgpr52
	v_mad_u64_u32 v[55:56], null, 0xd2511f53, v2, 0
	s_delay_alu instid0(VALU_DEP_2) | instskip(NEXT) | instid1(VALU_DEP_2)
	v_mad_u64_u32 v[57:58], null, 0xcd9e8d57, v0, 0
	v_xor3_b32 v0, v42, v56, v51
	s_delay_alu instid0(VALU_DEP_2) | instskip(NEXT) | instid1(VALU_DEP_2)
	v_xor3_b32 v51, v43, v58, v1
	v_mad_u64_u32 v[1:2], null, 0xcd9e8d57, v0, 0
	s_delay_alu instid0(VALU_DEP_2) | instskip(NEXT) | instid1(VALU_DEP_2)
	v_mad_u64_u32 v[23:24], null, 0xd2511f53, v51, 0
                                        ; implicit-def: $vgpr51
	v_xor3_b32 v0, v2, v57, v44
	s_delay_alu instid0(VALU_DEP_2)
	v_xor3_b32 v2, v24, v55, v45
                                        ; implicit-def: $vgpr24
	v_cmpx_lt_i32_e32 1, v46
	s_xor_b32 s0, exec_lo, s0
	s_cbranch_execz .LBB84_42
; %bb.37:                               ;   in Loop: Header=BB84_6 Depth=1
	s_mov_b32 s1, exec_lo
	v_cmpx_lt_i32_e32 2, v46
	s_xor_b32 s1, exec_lo, s1
; %bb.38:                               ;   in Loop: Header=BB84_6 Depth=1
                                        ; implicit-def: $vgpr53
; %bb.39:                               ;   in Loop: Header=BB84_6 Depth=1
	s_delay_alu instid0(SALU_CYCLE_1)
	s_or_saveexec_b32 s1, s1
	v_dual_mov_b32 v24, v2 :: v_dual_mov_b32 v51, v1
	v_mov_b32_e32 v52, v0
	s_xor_b32 exec_lo, exec_lo, s1
; %bb.40:                               ;   in Loop: Header=BB84_6 Depth=1
	v_dual_mov_b32 v24, v1 :: v_dual_mov_b32 v51, v0
	v_mov_b32_e32 v52, v22
	v_mov_b32_e32 v22, v53
; %bb.41:                               ;   in Loop: Header=BB84_6 Depth=1
	s_or_b32 exec_lo, exec_lo, s1
                                        ; implicit-def: $vgpr53
                                        ; implicit-def: $vgpr25
                                        ; implicit-def: $vgpr54
.LBB84_42:                              ;   in Loop: Header=BB84_6 Depth=1
	s_and_not1_saveexec_b32 s0, s0
	s_cbranch_execz .LBB84_5
; %bb.43:                               ;   in Loop: Header=BB84_6 Depth=1
	s_delay_alu instid0(VALU_DEP_1)
	v_dual_mov_b32 v24, v22 :: v_dual_mov_b32 v51, v53
	v_mov_b32_e32 v52, v25
	s_mov_b32 s1, exec_lo
	v_cmpx_eq_u32_e32 1, v46
	s_cbranch_execz .LBB84_4
; %bb.44:                               ;   in Loop: Header=BB84_6 Depth=1
	v_dual_mov_b32 v24, v0 :: v_dual_mov_b32 v51, v22
	v_mov_b32_e32 v52, v53
	v_mov_b32_e32 v54, v25
	s_branch .LBB84_4
.LBB84_45:
	s_endpgm
	.section	.rodata,"a",@progbits
	.p2align	6, 0x0
	.amdhsa_kernel _ZN2at6native12_GLOBAL__N_124fused_dropout_kernel_vecIddmLi1ELi16EhEEvNS_4cuda6detail10TensorInfoIKT_T1_EENS5_IS6_S8_EENS5_IT4_S8_EES8_T0_NS_15PhiloxCudaStateE
		.amdhsa_group_segment_fixed_size 0
		.amdhsa_private_segment_fixed_size 0
		.amdhsa_kernarg_size 1552
		.amdhsa_user_sgpr_count 15
		.amdhsa_user_sgpr_dispatch_ptr 0
		.amdhsa_user_sgpr_queue_ptr 0
		.amdhsa_user_sgpr_kernarg_segment_ptr 1
		.amdhsa_user_sgpr_dispatch_id 0
		.amdhsa_user_sgpr_private_segment_size 0
		.amdhsa_wavefront_size32 1
		.amdhsa_uses_dynamic_stack 0
		.amdhsa_enable_private_segment 0
		.amdhsa_system_sgpr_workgroup_id_x 1
		.amdhsa_system_sgpr_workgroup_id_y 0
		.amdhsa_system_sgpr_workgroup_id_z 0
		.amdhsa_system_sgpr_workgroup_info 0
		.amdhsa_system_vgpr_workitem_id 0
		.amdhsa_next_free_vgpr 93
		.amdhsa_next_free_sgpr 30
		.amdhsa_reserve_vcc 1
		.amdhsa_float_round_mode_32 0
		.amdhsa_float_round_mode_16_64 0
		.amdhsa_float_denorm_mode_32 3
		.amdhsa_float_denorm_mode_16_64 3
		.amdhsa_dx10_clamp 1
		.amdhsa_ieee_mode 1
		.amdhsa_fp16_overflow 0
		.amdhsa_workgroup_processor_mode 1
		.amdhsa_memory_ordered 1
		.amdhsa_forward_progress 0
		.amdhsa_shared_vgpr_count 0
		.amdhsa_exception_fp_ieee_invalid_op 0
		.amdhsa_exception_fp_denorm_src 0
		.amdhsa_exception_fp_ieee_div_zero 0
		.amdhsa_exception_fp_ieee_overflow 0
		.amdhsa_exception_fp_ieee_underflow 0
		.amdhsa_exception_fp_ieee_inexact 0
		.amdhsa_exception_int_div_zero 0
	.end_amdhsa_kernel
	.section	.text._ZN2at6native12_GLOBAL__N_124fused_dropout_kernel_vecIddmLi1ELi16EhEEvNS_4cuda6detail10TensorInfoIKT_T1_EENS5_IS6_S8_EENS5_IT4_S8_EES8_T0_NS_15PhiloxCudaStateE,"axG",@progbits,_ZN2at6native12_GLOBAL__N_124fused_dropout_kernel_vecIddmLi1ELi16EhEEvNS_4cuda6detail10TensorInfoIKT_T1_EENS5_IS6_S8_EENS5_IT4_S8_EES8_T0_NS_15PhiloxCudaStateE,comdat
.Lfunc_end84:
	.size	_ZN2at6native12_GLOBAL__N_124fused_dropout_kernel_vecIddmLi1ELi16EhEEvNS_4cuda6detail10TensorInfoIKT_T1_EENS5_IS6_S8_EENS5_IT4_S8_EES8_T0_NS_15PhiloxCudaStateE, .Lfunc_end84-_ZN2at6native12_GLOBAL__N_124fused_dropout_kernel_vecIddmLi1ELi16EhEEvNS_4cuda6detail10TensorInfoIKT_T1_EENS5_IS6_S8_EENS5_IT4_S8_EES8_T0_NS_15PhiloxCudaStateE
                                        ; -- End function
	.section	.AMDGPU.csdata,"",@progbits
; Kernel info:
; codeLenInByte = 5260
; NumSgprs: 32
; NumVgprs: 93
; ScratchSize: 0
; MemoryBound: 0
; FloatMode: 240
; IeeeMode: 1
; LDSByteSize: 0 bytes/workgroup (compile time only)
; SGPRBlocks: 3
; VGPRBlocks: 11
; NumSGPRsForWavesPerEU: 32
; NumVGPRsForWavesPerEU: 93
; Occupancy: 16
; WaveLimiterHint : 1
; COMPUTE_PGM_RSRC2:SCRATCH_EN: 0
; COMPUTE_PGM_RSRC2:USER_SGPR: 15
; COMPUTE_PGM_RSRC2:TRAP_HANDLER: 0
; COMPUTE_PGM_RSRC2:TGID_X_EN: 1
; COMPUTE_PGM_RSRC2:TGID_Y_EN: 0
; COMPUTE_PGM_RSRC2:TGID_Z_EN: 0
; COMPUTE_PGM_RSRC2:TIDIG_COMP_CNT: 0
	.section	.text._ZN2at6native12_GLOBAL__N_124fused_dropout_kernel_vecIddmLi1ELi8EhEEvNS_4cuda6detail10TensorInfoIKT_T1_EENS5_IS6_S8_EENS5_IT4_S8_EES8_T0_NS_15PhiloxCudaStateE,"axG",@progbits,_ZN2at6native12_GLOBAL__N_124fused_dropout_kernel_vecIddmLi1ELi8EhEEvNS_4cuda6detail10TensorInfoIKT_T1_EENS5_IS6_S8_EENS5_IT4_S8_EES8_T0_NS_15PhiloxCudaStateE,comdat
	.globl	_ZN2at6native12_GLOBAL__N_124fused_dropout_kernel_vecIddmLi1ELi8EhEEvNS_4cuda6detail10TensorInfoIKT_T1_EENS5_IS6_S8_EENS5_IT4_S8_EES8_T0_NS_15PhiloxCudaStateE ; -- Begin function _ZN2at6native12_GLOBAL__N_124fused_dropout_kernel_vecIddmLi1ELi8EhEEvNS_4cuda6detail10TensorInfoIKT_T1_EENS5_IS6_S8_EENS5_IT4_S8_EES8_T0_NS_15PhiloxCudaStateE
	.p2align	8
	.type	_ZN2at6native12_GLOBAL__N_124fused_dropout_kernel_vecIddmLi1ELi8EhEEvNS_4cuda6detail10TensorInfoIKT_T1_EENS5_IS6_S8_EENS5_IT4_S8_EES8_T0_NS_15PhiloxCudaStateE,@function
_ZN2at6native12_GLOBAL__N_124fused_dropout_kernel_vecIddmLi1ELi8EhEEvNS_4cuda6detail10TensorInfoIKT_T1_EENS5_IS6_S8_EENS5_IT4_S8_EES8_T0_NS_15PhiloxCudaStateE: ; @_ZN2at6native12_GLOBAL__N_124fused_dropout_kernel_vecIddmLi1ELi8EhEEvNS_4cuda6detail10TensorInfoIKT_T1_EENS5_IS6_S8_EENS5_IT4_S8_EES8_T0_NS_15PhiloxCudaStateE
; %bb.0:
	s_clause 0x1
	s_load_b256 s[16:23], s[0:1], 0x4e0
	s_load_b32 s2, s[0:1], 0x508
	s_waitcnt lgkmcnt(0)
	v_dual_mov_b32 v3, s22 :: v_dual_mov_b32 v4, s23
	v_dual_mov_b32 v10, s20 :: v_dual_mov_b32 v11, s21
	s_bitcmp0_b32 s2, 0
	s_cbranch_scc1 .LBB85_2
; %bb.1:
	v_dual_mov_b32 v1, s22 :: v_dual_mov_b32 v2, s23
	v_dual_mov_b32 v3, s20 :: v_dual_mov_b32 v4, s21
	s_load_b64 s[2:3], s[0:1], 0x500
	flat_load_b64 v[1:2], v[1:2]
	flat_load_b64 v[10:11], v[3:4]
	s_waitcnt vmcnt(1) lgkmcnt(0)
	v_add_co_u32 v3, vcc_lo, v1, s2
	v_add_co_ci_u32_e32 v4, vcc_lo, s3, v2, vcc_lo
.LBB85_2:
	s_load_b32 s4, s[0:1], 0x51c
	s_add_u32 s2, s0, 0x510
	s_addc_u32 s3, s1, 0
	v_mov_b32_e32 v12, 0
	s_mov_b32 s5, exec_lo
	s_waitcnt lgkmcnt(0)
	s_and_b32 s4, s4, 0xffff
	s_delay_alu instid0(SALU_CYCLE_1) | instskip(SKIP_1) | instid1(VALU_DEP_1)
	v_mad_u64_u32 v[20:21], null, s15, s4, v[0:1]
	v_mov_b32_e32 v21, v12
	v_lshlrev_b64 v[14:15], 3, v[20:21]
	s_delay_alu instid0(VALU_DEP_1)
	v_cmpx_gt_u64_e64 s[16:17], v[14:15]
	s_cbranch_execz .LBB85_25
; %bb.3:
	v_div_scale_f64 v[0:1], null, s[18:19], s[18:19], 1.0
	v_div_scale_f64 v[16:17], vcc_lo, 1.0, s[18:19], 1.0
	v_alignbit_b32 v24, v4, v3, 2
	v_mad_u64_u32 v[18:19], null, 0xcd9e8d57, v20, 0
	v_lshrrev_b32_e32 v44, 2, v4
	s_waitcnt vmcnt(0)
	v_dual_mov_b32 v13, v11 :: v_dual_add_nc_u32 v42, 0x96a522ad, v11
	v_mad_u64_u32 v[22:23], null, 0xd2511f53, v24, 0
	v_add_co_u32 v26, null, 0x9e3779b9, v10
	v_xor3_b32 v2, v10, v19, v44
	s_delay_alu instid0(VALU_DEP_4) | instskip(SKIP_2) | instid1(VALU_DEP_4)
	v_add_co_u32 v25, null, 0xbb67ae85, v13
	v_add_co_u32 v27, null, 0x3c6ef372, v10
	v_xor_b32_e32 v4, v23, v11
	v_mad_u64_u32 v[29:30], null, 0xd2511f53, v2, 0
	v_add_co_u32 v28, null, 0x76cf5d0a, v13
	s_delay_alu instid0(VALU_DEP_3) | instskip(SKIP_1) | instid1(VALU_DEP_4)
	v_mad_u64_u32 v[31:32], null, 0xcd9e8d57, v4, 0
	v_add_co_u32 v35, null, 0xb54cda56, v10
	v_xor3_b32 v2, v25, v30, v22
	v_add_co_u32 v30, null, 0xdaa66d2b, v10
	v_add_co_u32 v36, null, 0x646e171e, v13
	v_xor3_b32 v4, v32, v26, v18
	s_delay_alu instid0(VALU_DEP_4) | instskip(SKIP_2) | instid1(VALU_DEP_3)
	v_mad_u64_u32 v[18:19], null, 0xcd9e8d57, v2, 0
	v_add_co_u32 v32, null, 0xed9eba14, v13
	v_rcp_f64_e32 v[5:6], v[0:1]
	v_mad_u64_u32 v[22:23], null, 0xd2511f53, v4, 0
	v_add_co_u32 v37, null, 0x1fd5c5a3, v13
	s_delay_alu instid0(VALU_DEP_4)
	v_xor3_b32 v2, v27, v19, v31
	v_add_co_u32 v31, null, 0x78dde6e4, v10
	v_add_co_u32 v38, null, 0x5384540f, v10
	v_xor3_b32 v4, v23, v28, v29
	v_add_co_u32 v29, null, 0x32370b8f, v13
	s_load_b32 s2, s[2:3], 0x0
	v_add_co_u32 v39, null, 0xdb3d7428, v13
	s_delay_alu instid0(VALU_DEP_3)
	v_mad_u64_u32 v[33:34], null, 0xcd9e8d57, v4, 0
	v_add_co_u32 v40, null, 0xf1bbcdc8, v10
	s_clause 0x2
	s_load_b64 s[8:9], s[0:1], 0x0
	s_load_b64 s[10:11], s[0:1], 0x1a0
	;; [unrolled: 1-line block ×3, first 2 shown]
	v_add_nc_u32_e32 v41, 0x8ff34781, v10
	v_and_b32_e32 v43, 3, v3
	v_mov_b32_e32 v45, 0
	v_xor3_b32 v4, v34, v30, v18
	v_add_co_u32 v34, null, 0x1715609d, v10
	s_mov_b32 s15, 0
	s_waitcnt lgkmcnt(0)
	s_mul_i32 s2, s2, s4
	s_delay_alu instid0(SALU_CYCLE_1) | instskip(NEXT) | instid1(SALU_CYCLE_1)
	s_lshl_b32 s14, s2, 3
	s_lshl_b64 s[20:21], s[14:15], 3
	s_delay_alu instid0(TRANS32_DEP_1) | instskip(NEXT) | instid1(VALU_DEP_1)
	v_fma_f64 v[7:8], -v[0:1], v[5:6], 1.0
	v_fma_f64 v[5:6], v[5:6], v[7:8], v[5:6]
	s_delay_alu instid0(VALU_DEP_1) | instskip(NEXT) | instid1(VALU_DEP_1)
	v_fma_f64 v[7:8], -v[0:1], v[5:6], 1.0
	v_fma_f64 v[5:6], v[5:6], v[7:8], v[5:6]
	s_delay_alu instid0(VALU_DEP_1) | instskip(NEXT) | instid1(VALU_DEP_1)
	v_mul_f64 v[7:8], v[16:17], v[5:6]
	v_fma_f64 v[0:1], -v[0:1], v[7:8], v[16:17]
	v_mad_u64_u32 v[16:17], null, 0xd2511f53, v2, 0
	s_delay_alu instid0(VALU_DEP_1) | instskip(SKIP_1) | instid1(VALU_DEP_2)
	v_xor3_b32 v2, v29, v17, v22
	v_mad_u64_u32 v[22:23], null, 0xd2511f53, v4, 0
	v_mad_u64_u32 v[17:18], null, 0xcd9e8d57, v2, 0
	s_delay_alu instid0(VALU_DEP_2) | instskip(NEXT) | instid1(VALU_DEP_2)
	v_xor3_b32 v9, v23, v32, v16
	v_xor3_b32 v2, v31, v18, v33
	v_add_co_u32 v33, null, 0xa9066899, v13
	v_lshlrev_b64 v[18:19], 6, v[20:21]
	v_div_fmas_f64 v[0:1], v[0:1], v[5:6], v[7:8]
	s_delay_alu instid0(VALU_DEP_4) | instskip(SKIP_1) | instid1(VALU_DEP_2)
	v_mad_u64_u32 v[4:5], null, 0xd2511f53, v2, 0
	v_mad_u64_u32 v[6:7], null, 0xcd9e8d57, v9, 0
	v_xor3_b32 v2, v33, v5, v22
	s_delay_alu instid0(VALU_DEP_2) | instskip(NEXT) | instid1(VALU_DEP_2)
	v_xor3_b32 v5, v7, v34, v17
	v_mad_u64_u32 v[7:8], null, 0xcd9e8d57, v2, 0
	s_delay_alu instid0(VALU_DEP_2) | instskip(NEXT) | instid1(VALU_DEP_2)
	v_mad_u64_u32 v[16:17], null, 0xd2511f53, v5, 0
	v_xor3_b32 v2, v35, v8, v6
	s_delay_alu instid0(VALU_DEP_2) | instskip(NEXT) | instid1(VALU_DEP_2)
	v_xor3_b32 v6, v17, v36, v4
	v_mad_u64_u32 v[4:5], null, 0xd2511f53, v2, 0
	s_delay_alu instid0(VALU_DEP_2) | instskip(NEXT) | instid1(VALU_DEP_2)
	v_mad_u64_u32 v[8:9], null, 0xcd9e8d57, v6, 0
	v_xor3_b32 v2, v37, v5, v16
	s_delay_alu instid0(VALU_DEP_2) | instskip(SKIP_1) | instid1(VALU_DEP_3)
	v_xor3_b32 v7, v9, v38, v7
	v_div_fixup_f64 v[16:17], v[0:1], s[18:19], 1.0
	v_mad_u64_u32 v[0:1], null, 0xcd9e8d57, v2, 0
	s_delay_alu instid0(VALU_DEP_3) | instskip(NEXT) | instid1(VALU_DEP_2)
	v_mad_u64_u32 v[5:6], null, 0xd2511f53, v7, 0
	v_xor3_b32 v8, v40, v1, v8
	s_delay_alu instid0(VALU_DEP_2) | instskip(NEXT) | instid1(VALU_DEP_2)
	v_xor3_b32 v4, v6, v39, v4
	v_mad_u64_u32 v[6:7], null, 0xd2511f53, v8, 0
	s_delay_alu instid0(VALU_DEP_2) | instskip(NEXT) | instid1(VALU_DEP_2)
	v_mad_u64_u32 v[1:2], null, 0xcd9e8d57, v4, 0
	v_mov_b32_e32 v3, v6
	s_delay_alu instid0(VALU_DEP_2) | instskip(NEXT) | instid1(VALU_DEP_4)
	v_xor3_b32 v0, v0, v2, v41
	v_xor3_b32 v2, v7, v5, v42
	s_branch .LBB85_6
.LBB85_4:                               ;   in Loop: Header=BB85_6 Depth=1
	s_or_b32 exec_lo, exec_lo, s1
	s_delay_alu instid0(VALU_DEP_1)
	v_mov_b32_e32 v21, v13
.LBB85_5:                               ;   in Loop: Header=BB85_6 Depth=1
	s_or_b32 exec_lo, exec_lo, s0
	v_add_co_u32 v8, vcc_lo, s8, v18
	v_add_co_ci_u32_e32 v9, vcc_lo, s9, v19, vcc_lo
	v_cvt_f32_u32_e32 v4, v4
	v_cvt_f32_u32_e32 v13, v7
	;; [unrolled: 1-line block ×3, first 2 shown]
	s_clause 0x3
	global_load_b128 v[47:50], v[8:9], off
	global_load_b128 v[51:54], v[8:9], off offset:16
	global_load_b128 v[55:58], v[8:9], off offset:32
	;; [unrolled: 1-line block ×3, first 2 shown]
	v_cvt_f32_u32_e32 v8, v5
	v_dual_fmaak_f32 v4, 0x2f800000, v4, 0x2f800000 :: v_dual_fmaak_f32 v13, 0x2f800000, v13, 0x2f800000
	v_cvt_f32_u32_e32 v6, v6
	s_delay_alu instid0(VALU_DEP_3) | instskip(NEXT) | instid1(VALU_DEP_3)
	v_fmaak_f32 v8, 0x2f800000, v8, 0x2f800000
	v_cvt_f64_f32_e32 v[4:5], v4
	s_delay_alu instid0(VALU_DEP_4) | instskip(SKIP_4) | instid1(VALU_DEP_4)
	v_cvt_f64_f32_e32 v[63:64], v13
	v_fmaak_f32 v13, 0x2f800000, v21, 0x2f800000
	v_cvt_f32_u32_e32 v21, v46
	v_cvt_f64_f32_e32 v[8:9], v8
	v_fmaak_f32 v6, 0x2f800000, v6, 0x2f800000
	v_cvt_f64_f32_e32 v[65:66], v13
	s_delay_alu instid0(VALU_DEP_4) | instskip(SKIP_1) | instid1(VALU_DEP_4)
	v_fmaak_f32 v13, 0x2f800000, v21, 0x2f800000
	v_cvt_f32_u32_e32 v21, v23
	v_cvt_f64_f32_e32 v[6:7], v6
	v_cvt_f32_u32_e32 v23, v3
	s_delay_alu instid0(VALU_DEP_4) | instskip(NEXT) | instid1(VALU_DEP_4)
	v_cvt_f64_f32_e32 v[67:68], v13
	v_fmaak_f32 v3, 0x2f800000, v21, 0x2f800000
	v_add_co_u32 v21, s7, s10, v18
	s_add_u32 s10, s10, s20
	v_cmp_gt_f64_e32 vcc_lo, s[18:19], v[4:5]
	s_delay_alu instid0(VALU_DEP_3) | instskip(SKIP_3) | instid1(VALU_DEP_3)
	v_cvt_f64_f32_e32 v[3:4], v3
	v_fmaak_f32 v5, 0x2f800000, v23, 0x2f800000
	v_cmp_gt_f64_e64 s2, s[18:19], v[63:64]
	v_cmp_gt_f64_e64 s0, s[18:19], v[8:9]
	v_cvt_f64_f32_e32 v[8:9], v5
	v_cmp_gt_f64_e64 s3, s[18:19], v[65:66]
	v_cmp_gt_f64_e64 s1, s[18:19], v[6:7]
	;; [unrolled: 1-line block ×3, first 2 shown]
	v_cndmask_b32_e64 v13, 0, 0x3ff00000, vcc_lo
	v_cmp_gt_f64_e64 s5, s[18:19], v[3:4]
	v_cndmask_b32_e64 v23, 0, 1, vcc_lo
	v_cmp_gt_f64_e64 s6, s[18:19], v[8:9]
	s_delay_alu instid0(VALU_DEP_3) | instskip(SKIP_3) | instid1(VALU_DEP_1)
	v_cndmask_b32_e64 v63, 0, 1, s5
	s_waitcnt vmcnt(3)
	v_mul_f64 v[46:47], v[47:48], v[12:13]
	v_cndmask_b32_e64 v13, 0, 0x3ff00000, s0
	v_mul_f64 v[48:49], v[49:50], v[12:13]
	v_cndmask_b32_e64 v13, 0, 0x3ff00000, s1
	s_waitcnt vmcnt(2)
	s_delay_alu instid0(VALU_DEP_1) | instskip(SKIP_1) | instid1(VALU_DEP_1)
	v_mul_f64 v[50:51], v[51:52], v[12:13]
	v_cndmask_b32_e64 v13, 0, 0x3ff00000, s2
	v_mul_f64 v[52:53], v[53:54], v[12:13]
	v_cndmask_b32_e64 v13, 0, 0x3ff00000, s3
	s_waitcnt vmcnt(1)
	s_delay_alu instid0(VALU_DEP_1) | instskip(SKIP_1) | instid1(VALU_DEP_1)
	v_mul_f64 v[54:55], v[55:56], v[12:13]
	v_cndmask_b32_e64 v13, 0, 0x3ff00000, s4
	v_mul_f64 v[56:57], v[57:58], v[12:13]
	v_cndmask_b32_e64 v13, 0, 0x3ff00000, s5
	s_waitcnt vmcnt(0)
	s_delay_alu instid0(VALU_DEP_1) | instskip(SKIP_3) | instid1(VALU_DEP_3)
	v_mul_f64 v[58:59], v[59:60], v[12:13]
	v_cndmask_b32_e64 v13, 0, 0x3ff00000, s6
	v_mul_f64 v[4:5], v[16:17], v[46:47]
	v_cndmask_b32_e64 v60, 0, 1, s4
	;; [unrolled: 2-line block ×4, first 2 shown]
	v_lshlrev_b16 v60, 8, v60
	v_cndmask_b32_e64 v61, 0, 1, s6
	v_lshlrev_b16 v13, 8, v13
	v_mul_f64 v[46:47], v[16:17], v[50:51]
	s_delay_alu instid0(VALU_DEP_3) | instskip(NEXT) | instid1(VALU_DEP_3)
	v_lshlrev_b16 v61, 8, v61
	v_or_b32_e32 v13, v23, v13
	v_mul_f64 v[48:49], v[16:17], v[52:53]
	s_delay_alu instid0(VALU_DEP_2)
	v_and_b32_e32 v13, 0xffff, v13
	v_mul_f64 v[50:51], v[16:17], v[54:55]
	v_mul_f64 v[52:53], v[16:17], v[56:57]
	;; [unrolled: 1-line block ×3, first 2 shown]
	v_cndmask_b32_e64 v59, 0, 1, s2
	v_cndmask_b32_e64 v58, 0, 1, s1
	v_mul_f64 v[56:57], v[16:17], v[8:9]
	s_delay_alu instid0(VALU_DEP_3) | instskip(NEXT) | instid1(VALU_DEP_1)
	v_lshlrev_b16 v59, 8, v59
	v_or_b32_e32 v23, v58, v59
	v_or_b32_e32 v58, v62, v60
	v_mov_b32_e32 v3, v22
	v_add_co_ci_u32_e64 v22, s7, s11, v19, s7
	v_add_co_u32 v8, s7, s12, v14
	s_delay_alu instid0(VALU_DEP_4) | instskip(SKIP_2) | instid1(VALU_DEP_1)
	v_and_b32_e32 v60, 0xffff, v58
	v_add_co_ci_u32_e64 v9, s7, s13, v15, s7
	v_add_co_u32 v14, s7, v14, s14
	v_add_co_ci_u32_e64 v15, s7, 0, v15, s7
	v_or_b32_e32 v59, v63, v61
	v_lshlrev_b32_e32 v23, 16, v23
	s_addc_u32 s11, s11, s21
	s_delay_alu instid0(VALU_DEP_3)
	v_cmp_le_u64_e32 vcc_lo, s[16:17], v[14:15]
	s_add_u32 s8, s8, s20
	v_lshlrev_b32_e32 v59, 16, v59
	s_addc_u32 s9, s9, s21
	v_or_b32_e32 v58, v13, v23
	s_or_b32 s15, vcc_lo, s15
	s_delay_alu instid0(VALU_DEP_2)
	v_or_b32_e32 v59, v60, v59
	s_clause 0x3
	global_store_b128 v[21:22], v[4:7], off
	global_store_b128 v[21:22], v[46:49], off offset:16
	global_store_b128 v[21:22], v[50:53], off offset:32
	;; [unrolled: 1-line block ×3, first 2 shown]
	global_store_b64 v[8:9], v[58:59], off
	s_waitcnt_vscnt null, 0x0
	s_barrier
	buffer_gl0_inv
	s_and_not1_b32 exec_lo, exec_lo, s15
	s_cbranch_execz .LBB85_25
.LBB85_6:                               ; =>This Inner Loop Header: Depth=1
	v_add_co_u32 v6, vcc_lo, v24, 1
	s_delay_alu instid0(VALU_DEP_1) | instskip(SKIP_2) | instid1(VALU_DEP_1)
	v_cndmask_b32_e64 v4, 0, 1, vcc_lo
	v_add_co_ci_u32_e32 v23, vcc_lo, 0, v44, vcc_lo
	s_mov_b32 s0, exec_lo
	v_cmp_eq_u32_e32 vcc_lo, 0, v23
	s_delay_alu instid0(VALU_DEP_3) | instskip(SKIP_1) | instid1(VALU_DEP_2)
	v_cndmask_b32_e32 v7, 0, v4, vcc_lo
	v_mad_u64_u32 v[4:5], null, 0xd2511f53, v6, 0
	v_add_nc_u32_e32 v20, v7, v20
	s_delay_alu instid0(VALU_DEP_2) | instskip(NEXT) | instid1(VALU_DEP_2)
	v_xor_b32_e32 v8, v5, v11
	v_cmp_eq_u32_e32 vcc_lo, 0, v20
	v_cndmask_b32_e32 v7, 0, v7, vcc_lo
	v_mad_u64_u32 v[5:6], null, 0xcd9e8d57, v20, 0
	s_delay_alu instid0(VALU_DEP_2) | instskip(NEXT) | instid1(VALU_DEP_2)
	v_add_nc_u32_e32 v45, v7, v45
	v_xor3_b32 v13, v6, v10, v23
	s_delay_alu instid0(VALU_DEP_2) | instskip(NEXT) | instid1(VALU_DEP_1)
	v_xor_b32_e32 v8, v45, v8
	v_mad_u64_u32 v[6:7], null, 0xcd9e8d57, v8, 0
	s_delay_alu instid0(VALU_DEP_3) | instskip(NEXT) | instid1(VALU_DEP_2)
	v_mad_u64_u32 v[8:9], null, 0xd2511f53, v13, 0
	v_xor3_b32 v7, v26, v7, v5
	s_delay_alu instid0(VALU_DEP_2) | instskip(NEXT) | instid1(VALU_DEP_2)
	v_xor3_b32 v9, v25, v9, v4
	v_mad_u64_u32 v[4:5], null, 0xd2511f53, v7, 0
	s_delay_alu instid0(VALU_DEP_2) | instskip(NEXT) | instid1(VALU_DEP_2)
	v_mad_u64_u32 v[21:22], null, 0xcd9e8d57, v9, 0
	v_xor3_b32 v7, v28, v5, v8
	s_delay_alu instid0(VALU_DEP_2) | instskip(NEXT) | instid1(VALU_DEP_2)
	v_xor3_b32 v9, v27, v22, v6
	v_mad_u64_u32 v[5:6], null, 0xcd9e8d57, v7, 0
	s_delay_alu instid0(VALU_DEP_2) | instskip(NEXT) | instid1(VALU_DEP_2)
	;; [unrolled: 6-line block ×8, first 2 shown]
	v_mad_u64_u32 v[21:22], null, 0xd2511f53, v4, 0
	v_xor3_b32 v13, v9, v46, v41
	s_delay_alu instid0(VALU_DEP_2)
	v_xor3_b32 v9, v22, v5, v42
                                        ; implicit-def: $vgpr4_vgpr5_vgpr6_vgpr7
	v_cmpx_lt_i32_e32 1, v43
	s_xor_b32 s0, exec_lo, s0
	s_cbranch_execz .LBB85_12
; %bb.7:                                ;   in Loop: Header=BB85_6 Depth=1
	s_mov_b32 s1, exec_lo
                                        ; implicit-def: $vgpr4_vgpr5_vgpr6_vgpr7
	v_cmpx_lt_i32_e32 2, v43
	s_xor_b32 s1, exec_lo, s1
; %bb.8:                                ;   in Loop: Header=BB85_6 Depth=1
	v_dual_mov_b32 v6, v3 :: v_dual_mov_b32 v7, v13
                                        ; implicit-def: $vgpr0_vgpr1_vgpr2_vgpr3
	s_delay_alu instid0(VALU_DEP_1) | instskip(NEXT) | instid1(VALU_DEP_2)
	v_mov_b32_e32 v4, v6
	v_dual_mov_b32 v5, v7 :: v_dual_mov_b32 v6, v8
	v_mov_b32_e32 v7, v9
; %bb.9:                                ;   in Loop: Header=BB85_6 Depth=1
	s_and_not1_saveexec_b32 s1, s1
; %bb.10:                               ;   in Loop: Header=BB85_6 Depth=1
	v_dual_mov_b32 v4, v2 :: v_dual_mov_b32 v5, v3
	v_dual_mov_b32 v6, v13 :: v_dual_mov_b32 v7, v8
; %bb.11:                               ;   in Loop: Header=BB85_6 Depth=1
	s_or_b32 exec_lo, exec_lo, s1
                                        ; implicit-def: $vgpr0_vgpr1_vgpr2_vgpr3
.LBB85_12:                              ;   in Loop: Header=BB85_6 Depth=1
	s_and_not1_saveexec_b32 s0, s0
	s_cbranch_execz .LBB85_16
; %bb.13:                               ;   in Loop: Header=BB85_6 Depth=1
	s_mov_b32 s1, exec_lo
	v_cmpx_eq_u32_e32 1, v43
; %bb.14:                               ;   in Loop: Header=BB85_6 Depth=1
	v_dual_mov_b32 v0, v1 :: v_dual_mov_b32 v1, v2
	v_dual_mov_b32 v2, v3 :: v_dual_mov_b32 v3, v13
; %bb.15:                               ;   in Loop: Header=BB85_6 Depth=1
	s_or_b32 exec_lo, exec_lo, s1
	s_delay_alu instid0(VALU_DEP_1) | instskip(NEXT) | instid1(VALU_DEP_3)
	v_dual_mov_b32 v7, v3 :: v_dual_mov_b32 v6, v2
	v_dual_mov_b32 v5, v1 :: v_dual_mov_b32 v4, v0
.LBB85_16:                              ;   in Loop: Header=BB85_6 Depth=1
	s_or_b32 exec_lo, exec_lo, s0
	v_add_nc_u32_e32 v24, 2, v24
	s_mov_b32 s0, exec_lo
	s_delay_alu instid0(VALU_DEP_1) | instskip(SKIP_2) | instid1(VALU_DEP_1)
	v_cmp_eq_u32_e32 vcc_lo, 0, v24
	v_cndmask_b32_e64 v0, 0, 1, vcc_lo
	v_add_co_ci_u32_e32 v44, vcc_lo, 0, v23, vcc_lo
	v_cmp_eq_u32_e32 vcc_lo, 0, v44
	s_delay_alu instid0(VALU_DEP_3) | instskip(NEXT) | instid1(VALU_DEP_1)
	v_cndmask_b32_e32 v0, 0, v0, vcc_lo
	v_add_nc_u32_e32 v20, v0, v20
	s_delay_alu instid0(VALU_DEP_1) | instskip(SKIP_2) | instid1(VALU_DEP_2)
	v_cmp_eq_u32_e32 vcc_lo, 0, v20
	v_mad_u64_u32 v[2:3], null, 0xcd9e8d57, v20, 0
	v_cndmask_b32_e32 v0, 0, v0, vcc_lo
	v_xor3_b32 v3, v3, v10, v44
	s_delay_alu instid0(VALU_DEP_2) | instskip(SKIP_1) | instid1(VALU_DEP_3)
	v_add_nc_u32_e32 v45, v0, v45
	v_mad_u64_u32 v[0:1], null, 0xd2511f53, v24, 0
	v_mad_u64_u32 v[46:47], null, 0xd2511f53, v3, 0
	s_delay_alu instid0(VALU_DEP_2) | instskip(NEXT) | instid1(VALU_DEP_1)
	v_xor_b32_e32 v1, v1, v11
	v_xor_b32_e32 v1, v45, v1
	s_delay_alu instid0(VALU_DEP_1) | instskip(NEXT) | instid1(VALU_DEP_1)
	v_mad_u64_u32 v[22:23], null, 0xcd9e8d57, v1, 0
	v_xor3_b32 v2, v26, v23, v2
	v_xor3_b32 v23, v25, v47, v0
	s_delay_alu instid0(VALU_DEP_2) | instskip(NEXT) | instid1(VALU_DEP_2)
	v_mad_u64_u32 v[0:1], null, 0xd2511f53, v2, 0
	v_mad_u64_u32 v[2:3], null, 0xcd9e8d57, v23, 0
	s_delay_alu instid0(VALU_DEP_2) | instskip(NEXT) | instid1(VALU_DEP_2)
	v_xor3_b32 v1, v28, v1, v46
	v_xor3_b32 v3, v27, v3, v22
	s_delay_alu instid0(VALU_DEP_2) | instskip(NEXT) | instid1(VALU_DEP_2)
	v_mad_u64_u32 v[22:23], null, 0xcd9e8d57, v1, 0
	v_mad_u64_u32 v[46:47], null, 0xd2511f53, v3, 0
	s_delay_alu instid0(VALU_DEP_2) | instskip(NEXT) | instid1(VALU_DEP_2)
	v_xor3_b32 v2, v30, v23, v2
	v_xor3_b32 v23, v29, v47, v0
	s_delay_alu instid0(VALU_DEP_2) | instskip(NEXT) | instid1(VALU_DEP_2)
	v_mad_u64_u32 v[0:1], null, 0xd2511f53, v2, 0
	v_mad_u64_u32 v[2:3], null, 0xcd9e8d57, v23, 0
	s_delay_alu instid0(VALU_DEP_2) | instskip(NEXT) | instid1(VALU_DEP_2)
	v_xor3_b32 v1, v32, v1, v46
	v_xor3_b32 v3, v31, v3, v22
	s_delay_alu instid0(VALU_DEP_2) | instskip(NEXT) | instid1(VALU_DEP_2)
	v_mad_u64_u32 v[22:23], null, 0xcd9e8d57, v1, 0
	v_mad_u64_u32 v[46:47], null, 0xd2511f53, v3, 0
	s_delay_alu instid0(VALU_DEP_2) | instskip(NEXT) | instid1(VALU_DEP_2)
	v_xor3_b32 v2, v34, v23, v2
	v_xor3_b32 v23, v33, v47, v0
	s_delay_alu instid0(VALU_DEP_2) | instskip(NEXT) | instid1(VALU_DEP_2)
	v_mad_u64_u32 v[0:1], null, 0xd2511f53, v2, 0
	v_mad_u64_u32 v[2:3], null, 0xcd9e8d57, v23, 0
	s_delay_alu instid0(VALU_DEP_2) | instskip(NEXT) | instid1(VALU_DEP_2)
	v_xor3_b32 v1, v36, v1, v46
	v_xor3_b32 v3, v35, v3, v22
	s_delay_alu instid0(VALU_DEP_2) | instskip(NEXT) | instid1(VALU_DEP_2)
	v_mad_u64_u32 v[22:23], null, 0xcd9e8d57, v1, 0
	v_mad_u64_u32 v[46:47], null, 0xd2511f53, v3, 0
	s_delay_alu instid0(VALU_DEP_2) | instskip(NEXT) | instid1(VALU_DEP_2)
	v_xor3_b32 v1, v38, v23, v2
	v_xor3_b32 v2, v37, v47, v0
	s_delay_alu instid0(VALU_DEP_2) | instskip(NEXT) | instid1(VALU_DEP_2)
	v_mad_u64_u32 v[47:48], null, 0xd2511f53, v1, 0
	v_mad_u64_u32 v[0:1], null, 0xcd9e8d57, v2, 0
	s_delay_alu instid0(VALU_DEP_2) | instskip(NEXT) | instid1(VALU_DEP_2)
	v_xor3_b32 v3, v39, v48, v46
	v_xor3_b32 v46, v40, v1, v22
	s_delay_alu instid0(VALU_DEP_2) | instskip(NEXT) | instid1(VALU_DEP_2)
	v_mad_u64_u32 v[1:2], null, 0xcd9e8d57, v3, 0
	v_mad_u64_u32 v[22:23], null, 0xd2511f53, v46, 0
                                        ; implicit-def: $vgpr3
                                        ; implicit-def: $vgpr46
	s_delay_alu instid0(VALU_DEP_2) | instskip(NEXT) | instid1(VALU_DEP_2)
	v_xor3_b32 v0, v2, v0, v41
	v_xor3_b32 v2, v23, v47, v42
                                        ; implicit-def: $vgpr23
	v_cmpx_lt_i32_e32 1, v43
	s_xor_b32 s0, exec_lo, s0
	s_cbranch_execz .LBB85_22
; %bb.17:                               ;   in Loop: Header=BB85_6 Depth=1
	s_mov_b32 s1, exec_lo
	v_cmpx_lt_i32_e32 2, v43
	s_xor_b32 s1, exec_lo, s1
; %bb.18:                               ;   in Loop: Header=BB85_6 Depth=1
                                        ; implicit-def: $vgpr9
; %bb.19:                               ;   in Loop: Header=BB85_6 Depth=1
	s_delay_alu instid0(SALU_CYCLE_1)
	s_or_saveexec_b32 s1, s1
	v_dual_mov_b32 v3, v2 :: v_dual_mov_b32 v46, v0
	v_mov_b32_e32 v23, v1
	s_xor_b32 exec_lo, exec_lo, s1
; %bb.20:                               ;   in Loop: Header=BB85_6 Depth=1
	v_mov_b32_e32 v3, v1
	v_dual_mov_b32 v23, v0 :: v_dual_mov_b32 v46, v21
	v_mov_b32_e32 v21, v9
; %bb.21:                               ;   in Loop: Header=BB85_6 Depth=1
	s_or_b32 exec_lo, exec_lo, s1
                                        ; implicit-def: $vgpr9
                                        ; implicit-def: $vgpr13
.LBB85_22:                              ;   in Loop: Header=BB85_6 Depth=1
	s_and_not1_saveexec_b32 s0, s0
	s_cbranch_execz .LBB85_5
; %bb.23:                               ;   in Loop: Header=BB85_6 Depth=1
	s_delay_alu instid0(VALU_DEP_1)
	v_dual_mov_b32 v3, v21 :: v_dual_mov_b32 v46, v8
	v_mov_b32_e32 v23, v9
	s_mov_b32 s1, exec_lo
	v_cmpx_eq_u32_e32 1, v43
	s_cbranch_execz .LBB85_4
; %bb.24:                               ;   in Loop: Header=BB85_6 Depth=1
	v_dual_mov_b32 v3, v0 :: v_dual_mov_b32 v46, v9
	v_mov_b32_e32 v23, v21
	v_mov_b32_e32 v13, v8
	s_branch .LBB85_4
.LBB85_25:
	s_endpgm
	.section	.rodata,"a",@progbits
	.p2align	6, 0x0
	.amdhsa_kernel _ZN2at6native12_GLOBAL__N_124fused_dropout_kernel_vecIddmLi1ELi8EhEEvNS_4cuda6detail10TensorInfoIKT_T1_EENS5_IS6_S8_EENS5_IT4_S8_EES8_T0_NS_15PhiloxCudaStateE
		.amdhsa_group_segment_fixed_size 0
		.amdhsa_private_segment_fixed_size 0
		.amdhsa_kernarg_size 1552
		.amdhsa_user_sgpr_count 15
		.amdhsa_user_sgpr_dispatch_ptr 0
		.amdhsa_user_sgpr_queue_ptr 0
		.amdhsa_user_sgpr_kernarg_segment_ptr 1
		.amdhsa_user_sgpr_dispatch_id 0
		.amdhsa_user_sgpr_private_segment_size 0
		.amdhsa_wavefront_size32 1
		.amdhsa_uses_dynamic_stack 0
		.amdhsa_enable_private_segment 0
		.amdhsa_system_sgpr_workgroup_id_x 1
		.amdhsa_system_sgpr_workgroup_id_y 0
		.amdhsa_system_sgpr_workgroup_id_z 0
		.amdhsa_system_sgpr_workgroup_info 0
		.amdhsa_system_vgpr_workitem_id 0
		.amdhsa_next_free_vgpr 69
		.amdhsa_next_free_sgpr 24
		.amdhsa_reserve_vcc 1
		.amdhsa_float_round_mode_32 0
		.amdhsa_float_round_mode_16_64 0
		.amdhsa_float_denorm_mode_32 3
		.amdhsa_float_denorm_mode_16_64 3
		.amdhsa_dx10_clamp 1
		.amdhsa_ieee_mode 1
		.amdhsa_fp16_overflow 0
		.amdhsa_workgroup_processor_mode 1
		.amdhsa_memory_ordered 1
		.amdhsa_forward_progress 0
		.amdhsa_shared_vgpr_count 0
		.amdhsa_exception_fp_ieee_invalid_op 0
		.amdhsa_exception_fp_denorm_src 0
		.amdhsa_exception_fp_ieee_div_zero 0
		.amdhsa_exception_fp_ieee_overflow 0
		.amdhsa_exception_fp_ieee_underflow 0
		.amdhsa_exception_fp_ieee_inexact 0
		.amdhsa_exception_int_div_zero 0
	.end_amdhsa_kernel
	.section	.text._ZN2at6native12_GLOBAL__N_124fused_dropout_kernel_vecIddmLi1ELi8EhEEvNS_4cuda6detail10TensorInfoIKT_T1_EENS5_IS6_S8_EENS5_IT4_S8_EES8_T0_NS_15PhiloxCudaStateE,"axG",@progbits,_ZN2at6native12_GLOBAL__N_124fused_dropout_kernel_vecIddmLi1ELi8EhEEvNS_4cuda6detail10TensorInfoIKT_T1_EENS5_IS6_S8_EENS5_IT4_S8_EES8_T0_NS_15PhiloxCudaStateE,comdat
.Lfunc_end85:
	.size	_ZN2at6native12_GLOBAL__N_124fused_dropout_kernel_vecIddmLi1ELi8EhEEvNS_4cuda6detail10TensorInfoIKT_T1_EENS5_IS6_S8_EENS5_IT4_S8_EES8_T0_NS_15PhiloxCudaStateE, .Lfunc_end85-_ZN2at6native12_GLOBAL__N_124fused_dropout_kernel_vecIddmLi1ELi8EhEEvNS_4cuda6detail10TensorInfoIKT_T1_EENS5_IS6_S8_EENS5_IT4_S8_EES8_T0_NS_15PhiloxCudaStateE
                                        ; -- End function
	.section	.AMDGPU.csdata,"",@progbits
; Kernel info:
; codeLenInByte = 3232
; NumSgprs: 26
; NumVgprs: 69
; ScratchSize: 0
; MemoryBound: 0
; FloatMode: 240
; IeeeMode: 1
; LDSByteSize: 0 bytes/workgroup (compile time only)
; SGPRBlocks: 3
; VGPRBlocks: 8
; NumSGPRsForWavesPerEU: 26
; NumVGPRsForWavesPerEU: 69
; Occupancy: 16
; WaveLimiterHint : 1
; COMPUTE_PGM_RSRC2:SCRATCH_EN: 0
; COMPUTE_PGM_RSRC2:USER_SGPR: 15
; COMPUTE_PGM_RSRC2:TRAP_HANDLER: 0
; COMPUTE_PGM_RSRC2:TGID_X_EN: 1
; COMPUTE_PGM_RSRC2:TGID_Y_EN: 0
; COMPUTE_PGM_RSRC2:TGID_Z_EN: 0
; COMPUTE_PGM_RSRC2:TIDIG_COMP_CNT: 0
	.section	.text._ZN2at6native12_GLOBAL__N_124fused_dropout_kernel_vecIddmLi1ELi4EhEEvNS_4cuda6detail10TensorInfoIKT_T1_EENS5_IS6_S8_EENS5_IT4_S8_EES8_T0_NS_15PhiloxCudaStateE,"axG",@progbits,_ZN2at6native12_GLOBAL__N_124fused_dropout_kernel_vecIddmLi1ELi4EhEEvNS_4cuda6detail10TensorInfoIKT_T1_EENS5_IS6_S8_EENS5_IT4_S8_EES8_T0_NS_15PhiloxCudaStateE,comdat
	.globl	_ZN2at6native12_GLOBAL__N_124fused_dropout_kernel_vecIddmLi1ELi4EhEEvNS_4cuda6detail10TensorInfoIKT_T1_EENS5_IS6_S8_EENS5_IT4_S8_EES8_T0_NS_15PhiloxCudaStateE ; -- Begin function _ZN2at6native12_GLOBAL__N_124fused_dropout_kernel_vecIddmLi1ELi4EhEEvNS_4cuda6detail10TensorInfoIKT_T1_EENS5_IS6_S8_EENS5_IT4_S8_EES8_T0_NS_15PhiloxCudaStateE
	.p2align	8
	.type	_ZN2at6native12_GLOBAL__N_124fused_dropout_kernel_vecIddmLi1ELi4EhEEvNS_4cuda6detail10TensorInfoIKT_T1_EENS5_IS6_S8_EENS5_IT4_S8_EES8_T0_NS_15PhiloxCudaStateE,@function
_ZN2at6native12_GLOBAL__N_124fused_dropout_kernel_vecIddmLi1ELi4EhEEvNS_4cuda6detail10TensorInfoIKT_T1_EENS5_IS6_S8_EENS5_IT4_S8_EES8_T0_NS_15PhiloxCudaStateE: ; @_ZN2at6native12_GLOBAL__N_124fused_dropout_kernel_vecIddmLi1ELi4EhEEvNS_4cuda6detail10TensorInfoIKT_T1_EENS5_IS6_S8_EENS5_IT4_S8_EES8_T0_NS_15PhiloxCudaStateE
; %bb.0:
	s_clause 0x1
	s_load_b256 s[4:11], s[0:1], 0x4e0
	s_load_b32 s2, s[0:1], 0x508
	s_waitcnt lgkmcnt(0)
	v_dual_mov_b32 v1, s10 :: v_dual_mov_b32 v2, s11
	v_dual_mov_b32 v8, s8 :: v_dual_mov_b32 v9, s9
	s_bitcmp0_b32 s2, 0
	s_cbranch_scc1 .LBB86_2
; %bb.1:
	v_dual_mov_b32 v1, s10 :: v_dual_mov_b32 v2, s11
	v_dual_mov_b32 v3, s8 :: v_dual_mov_b32 v4, s9
	s_load_b64 s[2:3], s[0:1], 0x500
	flat_load_b64 v[1:2], v[1:2]
	flat_load_b64 v[8:9], v[3:4]
	s_waitcnt vmcnt(1) lgkmcnt(0)
	v_add_co_u32 v1, vcc_lo, v1, s2
	v_add_co_ci_u32_e32 v2, vcc_lo, s3, v2, vcc_lo
.LBB86_2:
	s_load_b32 s8, s[0:1], 0x51c
	s_add_u32 s2, s0, 0x510
	s_addc_u32 s3, s1, 0
	v_mov_b32_e32 v10, 0
	s_waitcnt lgkmcnt(0)
	s_and_b32 s14, s8, 0xffff
	s_mov_b32 s8, exec_lo
	v_mad_u64_u32 v[12:13], null, s15, s14, v[0:1]
	v_mov_b32_e32 v13, v10
	s_delay_alu instid0(VALU_DEP_1) | instskip(NEXT) | instid1(VALU_DEP_1)
	v_lshlrev_b64 v[14:15], 2, v[12:13]
	v_cmpx_gt_u64_e64 s[4:5], v[14:15]
	s_cbranch_execz .LBB86_15
; %bb.3:
	v_div_scale_f64 v[3:4], null, s[6:7], s[6:7], 1.0
	v_div_scale_f64 v[18:19], vcc_lo, 1.0, s[6:7], 1.0
	v_alignbit_b32 v22, v2, v1, 2
	v_mad_u64_u32 v[20:21], null, 0xcd9e8d57, v12, 0
	v_lshrrev_b32_e32 v23, 2, v2
	s_waitcnt vmcnt(0)
	v_dual_mov_b32 v11, v9 :: v_dual_add_nc_u32 v40, 0x8ff34781, v8
	v_mad_u64_u32 v[26:27], null, 0xd2511f53, v22, 0
	v_add_co_u32 v25, null, 0x9e3779b9, v8
	v_xor3_b32 v0, v8, v21, v23
	s_delay_alu instid0(VALU_DEP_4) | instskip(SKIP_2) | instid1(VALU_DEP_4)
	v_add_co_u32 v24, null, 0xbb67ae85, v11
	v_add_co_u32 v36, null, 0x1fd5c5a3, v11
	v_xor_b32_e32 v2, v27, v9
	v_mad_u64_u32 v[28:29], null, 0xd2511f53, v0, 0
	v_add_co_u32 v27, null, 0x76cf5d0a, v11
	s_delay_alu instid0(VALU_DEP_3) | instskip(SKIP_1) | instid1(VALU_DEP_4)
	v_mad_u64_u32 v[30:31], null, 0xcd9e8d57, v2, 0
	v_add_co_u32 v37, null, 0x5384540f, v8
	v_xor3_b32 v0, v24, v29, v26
	v_add_co_u32 v26, null, 0x3c6ef372, v8
	v_add_co_u32 v29, null, 0xdaa66d2b, v8
	v_xor3_b32 v2, v31, v25, v20
	s_delay_alu instid0(VALU_DEP_4) | instskip(SKIP_4) | instid1(VALU_DEP_3)
	v_mad_u64_u32 v[20:21], null, 0xcd9e8d57, v0, 0
	s_load_b32 s2, s[2:3], 0x0
	v_add_co_u32 v38, null, 0xdb3d7428, v11
	v_rcp_f64_e32 v[5:6], v[3:4]
	v_mad_u64_u32 v[31:32], null, 0xd2511f53, v2, 0
	v_xor3_b32 v0, v26, v21, v30
	v_add_co_u32 v30, null, 0x78dde6e4, v8
	v_add_co_u32 v39, null, 0xf1bbcdc8, v8
	s_clause 0x2
	s_load_b64 s[8:9], s[0:1], 0x0
	s_load_b64 s[10:11], s[0:1], 0x1a0
	;; [unrolled: 1-line block ×3, first 2 shown]
	v_add_nc_u32_e32 v41, 0x96a522ad, v9
	v_and_b32_e32 v42, 3, v1
	s_mov_b32 s15, 0
	s_waitcnt lgkmcnt(0)
	s_mul_i32 s2, s2, s14
	s_delay_alu instid0(SALU_CYCLE_1) | instskip(NEXT) | instid1(SALU_CYCLE_1)
	s_lshl_b32 s14, s2, 2
	s_lshl_b64 s[16:17], s[14:15], 3
	s_delay_alu instid0(TRANS32_DEP_1) | instskip(NEXT) | instid1(VALU_DEP_1)
	v_fma_f64 v[16:17], -v[3:4], v[5:6], 1.0
	v_fma_f64 v[5:6], v[5:6], v[16:17], v[5:6]
	s_delay_alu instid0(VALU_DEP_1) | instskip(NEXT) | instid1(VALU_DEP_1)
	v_fma_f64 v[16:17], -v[3:4], v[5:6], 1.0
	v_fma_f64 v[5:6], v[5:6], v[16:17], v[5:6]
	s_delay_alu instid0(VALU_DEP_1) | instskip(NEXT) | instid1(VALU_DEP_1)
	v_mul_f64 v[16:17], v[18:19], v[5:6]
	v_fma_f64 v[2:3], -v[3:4], v[16:17], v[18:19]
	v_xor3_b32 v4, v32, v27, v28
	v_mad_u64_u32 v[18:19], null, 0xd2511f53, v0, 0
	v_add_co_u32 v28, null, 0x32370b8f, v11
	s_delay_alu instid0(VALU_DEP_3) | instskip(NEXT) | instid1(VALU_DEP_2)
	v_mad_u64_u32 v[32:33], null, 0xcd9e8d57, v4, 0
	v_xor3_b32 v0, v28, v19, v31
	v_add_co_u32 v31, null, 0xed9eba14, v11
	s_delay_alu instid0(VALU_DEP_3) | instskip(NEXT) | instid1(VALU_DEP_3)
	v_xor3_b32 v4, v33, v29, v20
	v_mad_u64_u32 v[19:20], null, 0xcd9e8d57, v0, 0
	v_add_co_u32 v33, null, 0x1715609d, v8
	s_delay_alu instid0(VALU_DEP_3) | instskip(NEXT) | instid1(VALU_DEP_3)
	v_mad_u64_u32 v[34:35], null, 0xd2511f53, v4, 0
	v_xor3_b32 v0, v30, v20, v32
	v_add_co_u32 v32, null, 0xa9066899, v11
	s_delay_alu instid0(VALU_DEP_3) | instskip(SKIP_3) | instid1(VALU_DEP_4)
	v_xor3_b32 v18, v35, v31, v18
	v_add_co_u32 v35, null, 0x646e171e, v11
	v_div_fmas_f64 v[2:3], v[2:3], v[5:6], v[16:17]
	v_mad_u64_u32 v[4:5], null, 0xd2511f53, v0, 0
	v_mad_u64_u32 v[6:7], null, 0xcd9e8d57, v18, 0
	s_delay_alu instid0(VALU_DEP_2) | instskip(SKIP_1) | instid1(VALU_DEP_3)
	v_xor3_b32 v0, v32, v5, v34
	v_add_co_u32 v34, null, 0xb54cda56, v8
	v_xor3_b32 v5, v7, v33, v19
	s_delay_alu instid0(VALU_DEP_3) | instskip(NEXT) | instid1(VALU_DEP_2)
	v_mad_u64_u32 v[18:19], null, 0xcd9e8d57, v0, 0
	v_mad_u64_u32 v[16:17], null, 0xd2511f53, v5, 0
	s_delay_alu instid0(VALU_DEP_2) | instskip(NEXT) | instid1(VALU_DEP_2)
	v_xor3_b32 v0, v34, v19, v6
	v_xor3_b32 v17, v17, v35, v4
	s_delay_alu instid0(VALU_DEP_2) | instskip(NEXT) | instid1(VALU_DEP_2)
	v_mad_u64_u32 v[4:5], null, 0xd2511f53, v0, 0
	v_mad_u64_u32 v[6:7], null, 0xcd9e8d57, v17, 0
	s_delay_alu instid0(VALU_DEP_2) | instskip(NEXT) | instid1(VALU_DEP_2)
	v_xor3_b32 v0, v36, v5, v16
	v_xor3_b32 v5, v7, v37, v18
	v_div_fixup_f64 v[16:17], v[2:3], s[6:7], 1.0
	s_delay_alu instid0(VALU_DEP_3) | instskip(NEXT) | instid1(VALU_DEP_3)
	v_mad_u64_u32 v[2:3], null, 0xcd9e8d57, v0, 0
	v_mad_u64_u32 v[18:19], null, 0xd2511f53, v5, 0
	s_delay_alu instid0(VALU_DEP_2) | instskip(NEXT) | instid1(VALU_DEP_2)
	v_xor3_b32 v3, v39, v3, v6
	v_xor3_b32 v0, v19, v38, v4
	s_delay_alu instid0(VALU_DEP_2) | instskip(NEXT) | instid1(VALU_DEP_2)
	v_mad_u64_u32 v[6:7], null, 0xd2511f53, v3, 0
	v_mad_u64_u32 v[4:5], null, 0xcd9e8d57, v0, 0
	s_delay_alu instid0(VALU_DEP_1) | instskip(NEXT) | instid1(VALU_DEP_3)
	v_xor3_b32 v3, v2, v5, v40
	v_xor3_b32 v5, v7, v18, v41
	v_lshlrev_b64 v[18:19], 5, v[12:13]
	v_mov_b32_e32 v13, 0
	s_branch .LBB86_6
.LBB86_4:                               ;   in Loop: Header=BB86_6 Depth=1
	s_or_b32 exec_lo, exec_lo, s1
.LBB86_5:                               ;   in Loop: Header=BB86_6 Depth=1
	s_delay_alu instid0(SALU_CYCLE_1)
	s_or_b32 exec_lo, exec_lo, s0
	v_add_co_u32 v47, vcc_lo, s8, v18
	v_add_co_ci_u32_e32 v48, vcc_lo, s9, v19, vcc_lo
	v_cvt_f32_u32_e32 v3, v3
	v_cvt_f32_u32_e32 v7, v4
	;; [unrolled: 1-line block ×3, first 2 shown]
	s_clause 0x1
	global_load_b128 v[43:46], v[47:48], off
	global_load_b128 v[47:50], v[47:48], off offset:16
	v_fmaak_f32 v3, 0x2f800000, v3, 0x2f800000
	v_fmaak_f32 v5, 0x2f800000, v5, 0x2f800000
	s_delay_alu instid0(VALU_DEP_2) | instskip(NEXT) | instid1(VALU_DEP_1)
	v_cvt_f64_f32_e32 v[3:4], v3
	v_cmp_gt_f64_e32 vcc_lo, s[6:7], v[3:4]
	v_cndmask_b32_e64 v11, 0, 0x3ff00000, vcc_lo
	s_waitcnt vmcnt(1)
	s_delay_alu instid0(VALU_DEP_1) | instskip(NEXT) | instid1(VALU_DEP_1)
	v_mul_f64 v[3:4], v[43:44], v[10:11]
	v_mul_f64 v[43:44], v[16:17], v[3:4]
	v_mov_b32_e32 v3, v20
	v_fmaak_f32 v7, 0x2f800000, v7, 0x2f800000
	s_delay_alu instid0(VALU_DEP_1) | instskip(SKIP_2) | instid1(VALU_DEP_2)
	v_cvt_f64_f32_e32 v[51:52], v7
	v_cvt_f32_u32_e32 v7, v6
	v_cvt_f64_f32_e32 v[5:6], v5
	v_fmaak_f32 v7, 0x2f800000, v7, 0x2f800000
	s_delay_alu instid0(VALU_DEP_1) | instskip(SKIP_1) | instid1(VALU_DEP_4)
	v_cvt_f64_f32_e32 v[53:54], v7
	v_cmp_gt_f64_e64 s0, s[6:7], v[51:52]
	v_cmp_gt_f64_e64 s1, s[6:7], v[5:6]
	s_delay_alu instid0(VALU_DEP_3) | instskip(NEXT) | instid1(VALU_DEP_3)
	v_cmp_gt_f64_e64 s2, s[6:7], v[53:54]
	v_cndmask_b32_e64 v11, 0, 0x3ff00000, s0
	v_cndmask_b32_e64 v4, 0, 1, s0
	s_delay_alu instid0(VALU_DEP_4) | instskip(SKIP_1) | instid1(VALU_DEP_4)
	v_cndmask_b32_e64 v7, 0, 1, s1
	v_add_co_u32 v20, s0, s12, v14
	v_mul_f64 v[45:46], v[45:46], v[10:11]
	v_cndmask_b32_e64 v11, 0, 0x3ff00000, s1
	v_lshlrev_b16 v4, 8, v4
	v_add_co_ci_u32_e64 v21, s0, s13, v15, s0
	s_waitcnt vmcnt(0)
	s_delay_alu instid0(VALU_DEP_3) | instskip(SKIP_1) | instid1(VALU_DEP_1)
	v_mul_f64 v[5:6], v[47:48], v[10:11]
	v_cndmask_b32_e64 v11, 0, 0x3ff00000, s2
	v_mul_f64 v[49:50], v[49:50], v[10:11]
	v_mul_f64 v[45:46], v[16:17], v[45:46]
	s_delay_alu instid0(VALU_DEP_4)
	v_mul_f64 v[47:48], v[16:17], v[5:6]
	v_cndmask_b32_e64 v5, 0, 1, s2
	v_cndmask_b32_e64 v6, 0, 1, vcc_lo
	v_add_co_u32 v14, vcc_lo, v14, s14
	v_add_co_ci_u32_e32 v15, vcc_lo, 0, v15, vcc_lo
	v_mul_f64 v[49:50], v[16:17], v[49:50]
	v_lshlrev_b16 v5, 8, v5
	v_or_b32_e32 v4, v6, v4
	v_add_co_u32 v51, vcc_lo, s10, v18
	v_add_co_ci_u32_e32 v52, vcc_lo, s11, v19, vcc_lo
	s_delay_alu instid0(VALU_DEP_4) | instskip(NEXT) | instid1(VALU_DEP_4)
	v_or_b32_e32 v5, v7, v5
	v_and_b32_e32 v4, 0xffff, v4
	v_cmp_le_u64_e32 vcc_lo, s[4:5], v[14:15]
	s_add_u32 s10, s10, s16
	s_addc_u32 s11, s11, s17
	v_lshlrev_b32_e32 v5, 16, v5
	s_add_u32 s8, s8, s16
	s_addc_u32 s9, s9, s17
	s_or_b32 s15, vcc_lo, s15
	s_delay_alu instid0(VALU_DEP_1)
	v_or_b32_e32 v7, v4, v5
	v_mov_b32_e32 v6, v3
	v_dual_mov_b32 v5, v2 :: v_dual_mov_b32 v4, v1
	v_mov_b32_e32 v3, v0
	s_clause 0x1
	global_store_b128 v[51:52], v[43:46], off
	global_store_b128 v[51:52], v[47:50], off offset:16
	global_store_b32 v[20:21], v7, off
	s_waitcnt_vscnt null, 0x0
	s_barrier
	buffer_gl0_inv
	s_and_not1_b32 exec_lo, exec_lo, s15
	s_cbranch_execz .LBB86_15
.LBB86_6:                               ; =>This Inner Loop Header: Depth=1
	v_add_co_u32 v22, vcc_lo, v22, 1
	s_delay_alu instid0(VALU_DEP_1) | instskip(SKIP_2) | instid1(VALU_DEP_1)
	v_cndmask_b32_e64 v0, 0, 1, vcc_lo
	v_add_co_ci_u32_e32 v23, vcc_lo, 0, v23, vcc_lo
	s_mov_b32 s0, exec_lo
	v_cmp_eq_u32_e32 vcc_lo, 0, v23
	s_delay_alu instid0(VALU_DEP_3) | instskip(NEXT) | instid1(VALU_DEP_1)
	v_cndmask_b32_e32 v0, 0, v0, vcc_lo
	v_add_nc_u32_e32 v12, v0, v12
	s_delay_alu instid0(VALU_DEP_1) | instskip(SKIP_2) | instid1(VALU_DEP_2)
	v_cmp_eq_u32_e32 vcc_lo, 0, v12
	v_mad_u64_u32 v[20:21], null, 0xcd9e8d57, v12, 0
	v_cndmask_b32_e32 v0, 0, v0, vcc_lo
	v_xor3_b32 v7, v21, v8, v23
	s_delay_alu instid0(VALU_DEP_2) | instskip(SKIP_1) | instid1(VALU_DEP_1)
	v_add_nc_u32_e32 v13, v0, v13
	v_mad_u64_u32 v[0:1], null, 0xd2511f53, v22, 0
	v_xor_b32_e32 v1, v1, v9
	s_delay_alu instid0(VALU_DEP_1) | instskip(SKIP_1) | instid1(VALU_DEP_2)
	v_xor_b32_e32 v11, v13, v1
	v_mad_u64_u32 v[1:2], null, 0xd2511f53, v7, 0
	v_mad_u64_u32 v[43:44], null, 0xcd9e8d57, v11, 0
	s_delay_alu instid0(VALU_DEP_2) | instskip(NEXT) | instid1(VALU_DEP_2)
	v_xor3_b32 v0, v24, v2, v0
	v_xor3_b32 v2, v25, v44, v20
	s_delay_alu instid0(VALU_DEP_2) | instskip(NEXT) | instid1(VALU_DEP_2)
	v_mad_u64_u32 v[20:21], null, 0xcd9e8d57, v0, 0
	v_mad_u64_u32 v[44:45], null, 0xd2511f53, v2, 0
	s_delay_alu instid0(VALU_DEP_2) | instskip(NEXT) | instid1(VALU_DEP_2)
	v_xor3_b32 v2, v26, v21, v43
	v_xor3_b32 v7, v27, v45, v1
	s_delay_alu instid0(VALU_DEP_2) | instskip(NEXT) | instid1(VALU_DEP_2)
	;; [unrolled: 6-line block ×8, first 2 shown]
	v_mad_u64_u32 v[20:21], null, 0xd2511f53, v0, 0
	v_mad_u64_u32 v[1:2], null, 0xcd9e8d57, v7, 0
	s_delay_alu instid0(VALU_DEP_2) | instskip(NEXT) | instid1(VALU_DEP_2)
	v_xor3_b32 v7, v21, v46, v41
	v_xor3_b32 v0, v2, v44, v40
	s_delay_alu instid0(VALU_DEP_2)
	v_mov_b32_e32 v2, v7
	v_cmpx_lt_i32_e32 1, v42
	s_xor_b32 s0, exec_lo, s0
	s_cbranch_execz .LBB86_12
; %bb.7:                                ;   in Loop: Header=BB86_6 Depth=1
	s_mov_b32 s1, exec_lo
	v_cmpx_lt_i32_e32 2, v42
	s_xor_b32 s1, exec_lo, s1
; %bb.8:                                ;   in Loop: Header=BB86_6 Depth=1
	v_dual_mov_b32 v4, v6 :: v_dual_mov_b32 v5, v0
	v_mov_b32_e32 v6, v1
	s_delay_alu instid0(VALU_DEP_2) | instskip(NEXT) | instid1(VALU_DEP_3)
	v_mov_b32_e32 v3, v4
	v_mov_b32_e32 v4, v5
	s_delay_alu instid0(VALU_DEP_3)
	v_mov_b32_e32 v5, v6
	v_mov_b32_e32 v6, v7
; %bb.9:                                ;   in Loop: Header=BB86_6 Depth=1
	s_and_not1_saveexec_b32 s1, s1
; %bb.10:                               ;   in Loop: Header=BB86_6 Depth=1
	s_delay_alu instid0(VALU_DEP_1)
	v_dual_mov_b32 v3, v5 :: v_dual_mov_b32 v4, v6
	v_dual_mov_b32 v5, v0 :: v_dual_mov_b32 v6, v1
; %bb.11:                               ;   in Loop: Header=BB86_6 Depth=1
	s_or_b32 exec_lo, exec_lo, s1
.LBB86_12:                              ;   in Loop: Header=BB86_6 Depth=1
	s_and_not1_saveexec_b32 s0, s0
	s_cbranch_execz .LBB86_5
; %bb.13:                               ;   in Loop: Header=BB86_6 Depth=1
	s_mov_b32 s1, exec_lo
	v_cmpx_eq_u32_e32 1, v42
	s_cbranch_execz .LBB86_4
; %bb.14:                               ;   in Loop: Header=BB86_6 Depth=1
	v_dual_mov_b32 v3, v4 :: v_dual_mov_b32 v4, v5
	v_dual_mov_b32 v5, v6 :: v_dual_mov_b32 v6, v0
	s_branch .LBB86_4
.LBB86_15:
	s_endpgm
	.section	.rodata,"a",@progbits
	.p2align	6, 0x0
	.amdhsa_kernel _ZN2at6native12_GLOBAL__N_124fused_dropout_kernel_vecIddmLi1ELi4EhEEvNS_4cuda6detail10TensorInfoIKT_T1_EENS5_IS6_S8_EENS5_IT4_S8_EES8_T0_NS_15PhiloxCudaStateE
		.amdhsa_group_segment_fixed_size 0
		.amdhsa_private_segment_fixed_size 0
		.amdhsa_kernarg_size 1552
		.amdhsa_user_sgpr_count 15
		.amdhsa_user_sgpr_dispatch_ptr 0
		.amdhsa_user_sgpr_queue_ptr 0
		.amdhsa_user_sgpr_kernarg_segment_ptr 1
		.amdhsa_user_sgpr_dispatch_id 0
		.amdhsa_user_sgpr_private_segment_size 0
		.amdhsa_wavefront_size32 1
		.amdhsa_uses_dynamic_stack 0
		.amdhsa_enable_private_segment 0
		.amdhsa_system_sgpr_workgroup_id_x 1
		.amdhsa_system_sgpr_workgroup_id_y 0
		.amdhsa_system_sgpr_workgroup_id_z 0
		.amdhsa_system_sgpr_workgroup_info 0
		.amdhsa_system_vgpr_workitem_id 0
		.amdhsa_next_free_vgpr 55
		.amdhsa_next_free_sgpr 18
		.amdhsa_reserve_vcc 1
		.amdhsa_float_round_mode_32 0
		.amdhsa_float_round_mode_16_64 0
		.amdhsa_float_denorm_mode_32 3
		.amdhsa_float_denorm_mode_16_64 3
		.amdhsa_dx10_clamp 1
		.amdhsa_ieee_mode 1
		.amdhsa_fp16_overflow 0
		.amdhsa_workgroup_processor_mode 1
		.amdhsa_memory_ordered 1
		.amdhsa_forward_progress 0
		.amdhsa_shared_vgpr_count 0
		.amdhsa_exception_fp_ieee_invalid_op 0
		.amdhsa_exception_fp_denorm_src 0
		.amdhsa_exception_fp_ieee_div_zero 0
		.amdhsa_exception_fp_ieee_overflow 0
		.amdhsa_exception_fp_ieee_underflow 0
		.amdhsa_exception_fp_ieee_inexact 0
		.amdhsa_exception_int_div_zero 0
	.end_amdhsa_kernel
	.section	.text._ZN2at6native12_GLOBAL__N_124fused_dropout_kernel_vecIddmLi1ELi4EhEEvNS_4cuda6detail10TensorInfoIKT_T1_EENS5_IS6_S8_EENS5_IT4_S8_EES8_T0_NS_15PhiloxCudaStateE,"axG",@progbits,_ZN2at6native12_GLOBAL__N_124fused_dropout_kernel_vecIddmLi1ELi4EhEEvNS_4cuda6detail10TensorInfoIKT_T1_EENS5_IS6_S8_EENS5_IT4_S8_EES8_T0_NS_15PhiloxCudaStateE,comdat
.Lfunc_end86:
	.size	_ZN2at6native12_GLOBAL__N_124fused_dropout_kernel_vecIddmLi1ELi4EhEEvNS_4cuda6detail10TensorInfoIKT_T1_EENS5_IS6_S8_EENS5_IT4_S8_EES8_T0_NS_15PhiloxCudaStateE, .Lfunc_end86-_ZN2at6native12_GLOBAL__N_124fused_dropout_kernel_vecIddmLi1ELi4EhEEvNS_4cuda6detail10TensorInfoIKT_T1_EENS5_IS6_S8_EENS5_IT4_S8_EES8_T0_NS_15PhiloxCudaStateE
                                        ; -- End function
	.section	.AMDGPU.csdata,"",@progbits
; Kernel info:
; codeLenInByte = 2224
; NumSgprs: 20
; NumVgprs: 55
; ScratchSize: 0
; MemoryBound: 0
; FloatMode: 240
; IeeeMode: 1
; LDSByteSize: 0 bytes/workgroup (compile time only)
; SGPRBlocks: 2
; VGPRBlocks: 6
; NumSGPRsForWavesPerEU: 20
; NumVGPRsForWavesPerEU: 55
; Occupancy: 16
; WaveLimiterHint : 1
; COMPUTE_PGM_RSRC2:SCRATCH_EN: 0
; COMPUTE_PGM_RSRC2:USER_SGPR: 15
; COMPUTE_PGM_RSRC2:TRAP_HANDLER: 0
; COMPUTE_PGM_RSRC2:TGID_X_EN: 1
; COMPUTE_PGM_RSRC2:TGID_Y_EN: 0
; COMPUTE_PGM_RSRC2:TGID_Z_EN: 0
; COMPUTE_PGM_RSRC2:TIDIG_COMP_CNT: 0
	.section	.text._ZN2at6native12_GLOBAL__N_124fused_dropout_kernel_vecIddmLi1ELi2EhEEvNS_4cuda6detail10TensorInfoIKT_T1_EENS5_IS6_S8_EENS5_IT4_S8_EES8_T0_NS_15PhiloxCudaStateE,"axG",@progbits,_ZN2at6native12_GLOBAL__N_124fused_dropout_kernel_vecIddmLi1ELi2EhEEvNS_4cuda6detail10TensorInfoIKT_T1_EENS5_IS6_S8_EENS5_IT4_S8_EES8_T0_NS_15PhiloxCudaStateE,comdat
	.globl	_ZN2at6native12_GLOBAL__N_124fused_dropout_kernel_vecIddmLi1ELi2EhEEvNS_4cuda6detail10TensorInfoIKT_T1_EENS5_IS6_S8_EENS5_IT4_S8_EES8_T0_NS_15PhiloxCudaStateE ; -- Begin function _ZN2at6native12_GLOBAL__N_124fused_dropout_kernel_vecIddmLi1ELi2EhEEvNS_4cuda6detail10TensorInfoIKT_T1_EENS5_IS6_S8_EENS5_IT4_S8_EES8_T0_NS_15PhiloxCudaStateE
	.p2align	8
	.type	_ZN2at6native12_GLOBAL__N_124fused_dropout_kernel_vecIddmLi1ELi2EhEEvNS_4cuda6detail10TensorInfoIKT_T1_EENS5_IS6_S8_EENS5_IT4_S8_EES8_T0_NS_15PhiloxCudaStateE,@function
_ZN2at6native12_GLOBAL__N_124fused_dropout_kernel_vecIddmLi1ELi2EhEEvNS_4cuda6detail10TensorInfoIKT_T1_EENS5_IS6_S8_EENS5_IT4_S8_EES8_T0_NS_15PhiloxCudaStateE: ; @_ZN2at6native12_GLOBAL__N_124fused_dropout_kernel_vecIddmLi1ELi2EhEEvNS_4cuda6detail10TensorInfoIKT_T1_EENS5_IS6_S8_EENS5_IT4_S8_EES8_T0_NS_15PhiloxCudaStateE
; %bb.0:
	s_clause 0x1
	s_load_b256 s[4:11], s[0:1], 0x4e0
	s_load_b32 s2, s[0:1], 0x508
	s_waitcnt lgkmcnt(0)
	v_dual_mov_b32 v3, s10 :: v_dual_mov_b32 v4, s11
	v_dual_mov_b32 v8, s8 :: v_dual_mov_b32 v9, s9
	s_bitcmp0_b32 s2, 0
	s_cbranch_scc1 .LBB87_2
; %bb.1:
	v_dual_mov_b32 v1, s10 :: v_dual_mov_b32 v2, s11
	v_dual_mov_b32 v3, s8 :: v_dual_mov_b32 v4, s9
	s_load_b64 s[2:3], s[0:1], 0x500
	flat_load_b64 v[1:2], v[1:2]
	flat_load_b64 v[8:9], v[3:4]
	s_waitcnt vmcnt(1) lgkmcnt(0)
	v_add_co_u32 v3, vcc_lo, v1, s2
	v_add_co_ci_u32_e32 v4, vcc_lo, s3, v2, vcc_lo
.LBB87_2:
	s_load_b32 s8, s[0:1], 0x51c
	s_add_u32 s2, s0, 0x510
	s_addc_u32 s3, s1, 0
	v_mov_b32_e32 v10, 0
	s_waitcnt lgkmcnt(0)
	s_and_b32 s12, s8, 0xffff
	s_mov_b32 s8, exec_lo
	v_mad_u64_u32 v[12:13], null, s15, s12, v[0:1]
	v_mov_b32_e32 v13, v10
	s_delay_alu instid0(VALU_DEP_1) | instskip(NEXT) | instid1(VALU_DEP_1)
	v_lshlrev_b64 v[14:15], 1, v[12:13]
	v_cmpx_gt_u64_e64 s[4:5], v[14:15]
	s_cbranch_execz .LBB87_15
; %bb.3:
	v_div_scale_f64 v[0:1], null, s[6:7], s[6:7], 1.0
	v_div_scale_f64 v[18:19], vcc_lo, 1.0, s[6:7], 1.0
	v_alignbit_b32 v22, v4, v3, 2
	v_mad_u64_u32 v[20:21], null, 0xcd9e8d57, v12, 0
	v_lshrrev_b32_e32 v23, 2, v4
	s_waitcnt vmcnt(0)
	v_dual_mov_b32 v11, v9 :: v_dual_add_nc_u32 v40, 0x8ff34781, v8
	v_mad_u64_u32 v[26:27], null, 0xd2511f53, v22, 0
	v_add_co_u32 v25, null, 0x9e3779b9, v8
	v_xor3_b32 v2, v8, v21, v23
	s_delay_alu instid0(VALU_DEP_4) | instskip(SKIP_2) | instid1(VALU_DEP_4)
	v_add_co_u32 v24, null, 0xbb67ae85, v11
	v_add_co_u32 v36, null, 0x1fd5c5a3, v11
	v_xor_b32_e32 v4, v27, v9
	v_mad_u64_u32 v[28:29], null, 0xd2511f53, v2, 0
	v_add_co_u32 v27, null, 0x76cf5d0a, v11
	s_delay_alu instid0(VALU_DEP_3) | instskip(SKIP_1) | instid1(VALU_DEP_4)
	v_mad_u64_u32 v[30:31], null, 0xcd9e8d57, v4, 0
	v_add_co_u32 v37, null, 0x5384540f, v8
	v_xor3_b32 v2, v24, v29, v26
	v_add_co_u32 v26, null, 0x3c6ef372, v8
	v_add_co_u32 v29, null, 0xdaa66d2b, v8
	v_xor3_b32 v4, v31, v25, v20
	s_delay_alu instid0(VALU_DEP_4) | instskip(SKIP_4) | instid1(VALU_DEP_3)
	v_mad_u64_u32 v[20:21], null, 0xcd9e8d57, v2, 0
	s_load_b32 s14, s[2:3], 0x0
	v_add_co_u32 v38, null, 0xdb3d7428, v11
	v_rcp_f64_e32 v[5:6], v[0:1]
	v_mad_u64_u32 v[31:32], null, 0xd2511f53, v4, 0
	v_xor3_b32 v2, v26, v21, v30
	v_add_co_u32 v30, null, 0x78dde6e4, v8
	v_add_co_u32 v39, null, 0xf1bbcdc8, v8
	s_clause 0x2
	s_load_b64 s[2:3], s[0:1], 0x0
	s_load_b64 s[8:9], s[0:1], 0x1a0
	;; [unrolled: 1-line block ×3, first 2 shown]
	v_xor3_b32 v4, v32, v27, v28
	v_add_co_u32 v28, null, 0x32370b8f, v11
	v_dual_mov_b32 v42, 0 :: v_dual_add_nc_u32 v41, 0x96a522ad, v9
	s_delay_alu instid0(VALU_DEP_3) | instskip(SKIP_3) | instid1(SALU_CYCLE_1)
	v_mad_u64_u32 v[32:33], null, 0xcd9e8d57, v4, 0
	s_mov_b32 s13, 0
	s_waitcnt lgkmcnt(0)
	s_mul_i32 s14, s14, s12
	s_lshl_b32 s12, s14, 1
	s_delay_alu instid0(SALU_CYCLE_1) | instskip(NEXT) | instid1(VALU_DEP_1)
	s_lshl_b64 s[14:15], s[12:13], 3
	v_xor3_b32 v4, v33, v29, v20
	v_add_co_u32 v33, null, 0x1715609d, v8
	s_delay_alu instid0(VALU_DEP_2) | instskip(NEXT) | instid1(TRANS32_DEP_1)
	v_mad_u64_u32 v[34:35], null, 0xd2511f53, v4, 0
	v_fma_f64 v[16:17], -v[0:1], v[5:6], 1.0
	s_delay_alu instid0(VALU_DEP_1) | instskip(NEXT) | instid1(VALU_DEP_1)
	v_fma_f64 v[5:6], v[5:6], v[16:17], v[5:6]
	v_fma_f64 v[16:17], -v[0:1], v[5:6], 1.0
	s_delay_alu instid0(VALU_DEP_1) | instskip(NEXT) | instid1(VALU_DEP_1)
	v_fma_f64 v[5:6], v[5:6], v[16:17], v[5:6]
	v_mul_f64 v[16:17], v[18:19], v[5:6]
	s_delay_alu instid0(VALU_DEP_1) | instskip(SKIP_1) | instid1(VALU_DEP_1)
	v_fma_f64 v[0:1], -v[0:1], v[16:17], v[18:19]
	v_mad_u64_u32 v[18:19], null, 0xd2511f53, v2, 0
	v_xor3_b32 v2, v28, v19, v31
	v_add_co_u32 v31, null, 0xed9eba14, v11
	s_delay_alu instid0(VALU_DEP_2) | instskip(NEXT) | instid1(VALU_DEP_2)
	v_mad_u64_u32 v[19:20], null, 0xcd9e8d57, v2, 0
	v_xor3_b32 v18, v35, v31, v18
	v_add_co_u32 v35, null, 0x646e171e, v11
	s_delay_alu instid0(VALU_DEP_3) | instskip(SKIP_2) | instid1(VALU_DEP_3)
	v_xor3_b32 v2, v30, v20, v32
	v_add_co_u32 v32, null, 0xa9066899, v11
	v_div_fmas_f64 v[0:1], v[0:1], v[5:6], v[16:17]
	v_mad_u64_u32 v[4:5], null, 0xd2511f53, v2, 0
	v_mad_u64_u32 v[6:7], null, 0xcd9e8d57, v18, 0
	s_delay_alu instid0(VALU_DEP_2) | instskip(SKIP_1) | instid1(VALU_DEP_3)
	v_xor3_b32 v2, v32, v5, v34
	v_add_co_u32 v34, null, 0xb54cda56, v8
	v_xor3_b32 v5, v7, v33, v19
	s_delay_alu instid0(VALU_DEP_3) | instskip(NEXT) | instid1(VALU_DEP_2)
	v_mad_u64_u32 v[18:19], null, 0xcd9e8d57, v2, 0
	v_mad_u64_u32 v[16:17], null, 0xd2511f53, v5, 0
	s_delay_alu instid0(VALU_DEP_2) | instskip(NEXT) | instid1(VALU_DEP_2)
	v_xor3_b32 v2, v34, v19, v6
	v_xor3_b32 v17, v17, v35, v4
	s_delay_alu instid0(VALU_DEP_2) | instskip(NEXT) | instid1(VALU_DEP_2)
	v_mad_u64_u32 v[4:5], null, 0xd2511f53, v2, 0
	v_mad_u64_u32 v[6:7], null, 0xcd9e8d57, v17, 0
	s_delay_alu instid0(VALU_DEP_2) | instskip(NEXT) | instid1(VALU_DEP_2)
	v_xor3_b32 v2, v36, v5, v16
	v_xor3_b32 v5, v7, v37, v18
	v_div_fixup_f64 v[16:17], v[0:1], s[6:7], 1.0
	s_delay_alu instid0(VALU_DEP_3) | instskip(SKIP_1) | instid1(VALU_DEP_4)
	v_mad_u64_u32 v[0:1], null, 0xcd9e8d57, v2, 0
	v_lshlrev_b64 v[18:19], 4, v[12:13]
	v_mad_u64_u32 v[20:21], null, 0xd2511f53, v5, 0
	v_and_b32_e32 v13, 3, v3
	s_delay_alu instid0(VALU_DEP_4) | instskip(NEXT) | instid1(VALU_DEP_4)
	v_xor3_b32 v6, v39, v1, v6
	v_or_b32_e32 v18, 8, v18
	s_delay_alu instid0(VALU_DEP_4) | instskip(NEXT) | instid1(VALU_DEP_1)
	v_xor3_b32 v4, v21, v38, v4
	v_mad_u64_u32 v[1:2], null, 0xcd9e8d57, v4, 0
	s_delay_alu instid0(VALU_DEP_4) | instskip(NEXT) | instid1(VALU_DEP_2)
	v_mad_u64_u32 v[4:5], null, 0xd2511f53, v6, 0
	v_xor3_b32 v0, v0, v2, v40
	s_delay_alu instid0(VALU_DEP_2) | instskip(NEXT) | instid1(VALU_DEP_3)
	v_xor3_b32 v2, v5, v20, v41
	v_mov_b32_e32 v3, v4
	s_branch .LBB87_6
.LBB87_4:                               ;   in Loop: Header=BB87_6 Depth=1
	s_or_b32 exec_lo, exec_lo, s1
.LBB87_5:                               ;   in Loop: Header=BB87_6 Depth=1
	s_delay_alu instid0(SALU_CYCLE_1)
	s_or_b32 exec_lo, exec_lo, s0
	v_add_co_u32 v2, vcc_lo, s2, v18
	v_add_co_ci_u32_e32 v3, vcc_lo, s3, v19, vcc_lo
	v_cvt_f32_u32_e32 v0, v0
	v_mov_b32_e32 v7, v20
	v_add_co_u32 v20, s1, s10, v14
	global_load_b128 v[43:46], v[2:3], off offset:-8
	v_fmaak_f32 v0, 0x2f800000, v0, 0x2f800000
	v_cvt_f32_u32_e32 v2, v1
	v_add_co_ci_u32_e64 v21, s1, s11, v15, s1
	s_delay_alu instid0(VALU_DEP_3) | instskip(NEXT) | instid1(VALU_DEP_3)
	v_cvt_f64_f32_e32 v[0:1], v0
	v_fmaak_f32 v2, 0x2f800000, v2, 0x2f800000
	s_delay_alu instid0(VALU_DEP_1) | instskip(NEXT) | instid1(VALU_DEP_3)
	v_cvt_f64_f32_e32 v[2:3], v2
	v_cmp_gt_f64_e32 vcc_lo, s[6:7], v[0:1]
	s_delay_alu instid0(VALU_DEP_2) | instskip(SKIP_2) | instid1(VALU_DEP_1)
	v_cmp_gt_f64_e64 s0, s[6:7], v[2:3]
	v_cndmask_b32_e64 v11, 0, 0x3ff00000, vcc_lo
	s_waitcnt vmcnt(0)
	v_mul_f64 v[0:1], v[43:44], v[10:11]
	s_delay_alu instid0(VALU_DEP_3) | instskip(NEXT) | instid1(VALU_DEP_1)
	v_cndmask_b32_e64 v11, 0, 0x3ff00000, s0
	v_mul_f64 v[2:3], v[45:46], v[10:11]
	s_delay_alu instid0(VALU_DEP_3) | instskip(SKIP_2) | instid1(VALU_DEP_1)
	v_mul_f64 v[43:44], v[16:17], v[0:1]
	v_cndmask_b32_e64 v0, 0, 1, s0
	v_add_co_u32 v14, s0, v14, s12
	v_add_co_ci_u32_e64 v15, s0, 0, v15, s0
	v_mul_f64 v[45:46], v[16:17], v[2:3]
	v_cndmask_b32_e64 v1, 0, 1, vcc_lo
	v_lshlrev_b16 v0, 8, v0
	v_add_co_u32 v47, vcc_lo, s8, v18
	v_add_co_ci_u32_e32 v48, vcc_lo, s9, v19, vcc_lo
	v_cmp_le_u64_e32 vcc_lo, s[4:5], v[14:15]
	v_add_co_u32 v18, s0, v18, s14
	v_or_b32_e32 v11, v1, v0
	v_dual_mov_b32 v0, v4 :: v_dual_mov_b32 v3, v7
	v_add_co_ci_u32_e64 v19, s0, s15, v19, s0
	v_dual_mov_b32 v1, v5 :: v_dual_mov_b32 v2, v6
	s_or_b32 s13, vcc_lo, s13
	global_store_b128 v[47:48], v[43:46], off offset:-8
	global_store_b16 v[20:21], v11, off
	s_waitcnt_vscnt null, 0x0
	s_barrier
	buffer_gl0_inv
	s_and_not1_b32 exec_lo, exec_lo, s13
	s_cbranch_execz .LBB87_15
.LBB87_6:                               ; =>This Inner Loop Header: Depth=1
	v_add_co_u32 v22, vcc_lo, v22, 1
	s_delay_alu instid0(VALU_DEP_1) | instskip(SKIP_2) | instid1(VALU_DEP_1)
	v_cndmask_b32_e64 v4, 0, 1, vcc_lo
	v_add_co_ci_u32_e32 v23, vcc_lo, 0, v23, vcc_lo
	s_mov_b32 s0, exec_lo
	v_cmp_eq_u32_e32 vcc_lo, 0, v23
	s_delay_alu instid0(VALU_DEP_3) | instskip(NEXT) | instid1(VALU_DEP_1)
	v_cndmask_b32_e32 v4, 0, v4, vcc_lo
	v_add_nc_u32_e32 v12, v4, v12
	s_delay_alu instid0(VALU_DEP_1) | instskip(SKIP_2) | instid1(VALU_DEP_2)
	v_cmp_eq_u32_e32 vcc_lo, 0, v12
	v_mad_u64_u32 v[6:7], null, 0xcd9e8d57, v12, 0
	v_cndmask_b32_e32 v4, 0, v4, vcc_lo
	v_xor3_b32 v7, v7, v8, v23
	s_delay_alu instid0(VALU_DEP_2) | instskip(SKIP_1) | instid1(VALU_DEP_3)
	v_add_nc_u32_e32 v42, v4, v42
	v_mad_u64_u32 v[4:5], null, 0xd2511f53, v22, 0
	v_mad_u64_u32 v[43:44], null, 0xd2511f53, v7, 0
	s_delay_alu instid0(VALU_DEP_2) | instskip(NEXT) | instid1(VALU_DEP_2)
	v_xor_b32_e32 v5, v5, v9
	v_xor3_b32 v11, v24, v44, v4
	s_delay_alu instid0(VALU_DEP_2) | instskip(NEXT) | instid1(VALU_DEP_1)
	v_xor_b32_e32 v5, v42, v5
	v_mad_u64_u32 v[20:21], null, 0xcd9e8d57, v5, 0
	s_delay_alu instid0(VALU_DEP_1) | instskip(NEXT) | instid1(VALU_DEP_1)
	v_xor3_b32 v6, v25, v21, v6
	v_mad_u64_u32 v[4:5], null, 0xd2511f53, v6, 0
	v_mad_u64_u32 v[6:7], null, 0xcd9e8d57, v11, 0
	s_delay_alu instid0(VALU_DEP_2) | instskip(NEXT) | instid1(VALU_DEP_2)
	v_xor3_b32 v5, v27, v5, v43
	v_xor3_b32 v7, v26, v7, v20
	s_delay_alu instid0(VALU_DEP_2) | instskip(NEXT) | instid1(VALU_DEP_2)
	v_mad_u64_u32 v[20:21], null, 0xcd9e8d57, v5, 0
	v_mad_u64_u32 v[43:44], null, 0xd2511f53, v7, 0
	s_delay_alu instid0(VALU_DEP_2) | instskip(NEXT) | instid1(VALU_DEP_2)
	v_xor3_b32 v6, v29, v21, v6
	v_xor3_b32 v11, v28, v44, v4
	s_delay_alu instid0(VALU_DEP_2) | instskip(NEXT) | instid1(VALU_DEP_2)
	v_mad_u64_u32 v[4:5], null, 0xd2511f53, v6, 0
	v_mad_u64_u32 v[6:7], null, 0xcd9e8d57, v11, 0
	s_delay_alu instid0(VALU_DEP_2) | instskip(NEXT) | instid1(VALU_DEP_2)
	v_xor3_b32 v5, v31, v5, v43
	v_xor3_b32 v7, v30, v7, v20
	s_delay_alu instid0(VALU_DEP_2) | instskip(NEXT) | instid1(VALU_DEP_2)
	v_mad_u64_u32 v[20:21], null, 0xcd9e8d57, v5, 0
	v_mad_u64_u32 v[43:44], null, 0xd2511f53, v7, 0
	s_delay_alu instid0(VALU_DEP_2) | instskip(NEXT) | instid1(VALU_DEP_2)
	v_xor3_b32 v6, v33, v21, v6
	v_xor3_b32 v11, v32, v44, v4
	s_delay_alu instid0(VALU_DEP_2) | instskip(NEXT) | instid1(VALU_DEP_2)
	v_mad_u64_u32 v[4:5], null, 0xd2511f53, v6, 0
	v_mad_u64_u32 v[6:7], null, 0xcd9e8d57, v11, 0
	s_delay_alu instid0(VALU_DEP_2) | instskip(NEXT) | instid1(VALU_DEP_2)
	v_xor3_b32 v5, v35, v5, v43
	v_xor3_b32 v7, v34, v7, v20
	s_delay_alu instid0(VALU_DEP_2) | instskip(NEXT) | instid1(VALU_DEP_2)
	v_mad_u64_u32 v[20:21], null, 0xcd9e8d57, v5, 0
	v_mad_u64_u32 v[43:44], null, 0xd2511f53, v7, 0
	s_delay_alu instid0(VALU_DEP_2) | instskip(NEXT) | instid1(VALU_DEP_2)
	v_xor3_b32 v5, v37, v21, v6
	v_xor3_b32 v6, v36, v44, v4
	s_delay_alu instid0(VALU_DEP_2) | instskip(NEXT) | instid1(VALU_DEP_2)
	v_mad_u64_u32 v[44:45], null, 0xd2511f53, v5, 0
	v_mad_u64_u32 v[4:5], null, 0xcd9e8d57, v6, 0
	s_delay_alu instid0(VALU_DEP_2) | instskip(NEXT) | instid1(VALU_DEP_2)
	v_xor3_b32 v7, v38, v45, v43
	v_xor3_b32 v11, v39, v5, v20
	s_delay_alu instid0(VALU_DEP_2) | instskip(NEXT) | instid1(VALU_DEP_2)
	v_mad_u64_u32 v[5:6], null, 0xcd9e8d57, v7, 0
	v_mad_u64_u32 v[20:21], null, 0xd2511f53, v11, 0
	s_delay_alu instid0(VALU_DEP_2) | instskip(NEXT) | instid1(VALU_DEP_2)
	v_xor3_b32 v4, v6, v4, v40
	v_xor3_b32 v6, v21, v44, v41
	v_cmpx_lt_i32_e32 1, v13
	s_xor_b32 s0, exec_lo, s0
	s_cbranch_execz .LBB87_12
; %bb.7:                                ;   in Loop: Header=BB87_6 Depth=1
	s_mov_b32 s1, exec_lo
	v_cmpx_lt_i32_e32 2, v13
	s_xor_b32 s1, exec_lo, s1
; %bb.8:                                ;   in Loop: Header=BB87_6 Depth=1
	v_dual_mov_b32 v0, v3 :: v_dual_mov_b32 v1, v4
; %bb.9:                                ;   in Loop: Header=BB87_6 Depth=1
	s_and_not1_saveexec_b32 s1, s1
; %bb.10:                               ;   in Loop: Header=BB87_6 Depth=1
	v_dual_mov_b32 v0, v2 :: v_dual_mov_b32 v1, v3
; %bb.11:                               ;   in Loop: Header=BB87_6 Depth=1
	s_or_b32 exec_lo, exec_lo, s1
.LBB87_12:                              ;   in Loop: Header=BB87_6 Depth=1
	s_and_not1_saveexec_b32 s0, s0
	s_cbranch_execz .LBB87_5
; %bb.13:                               ;   in Loop: Header=BB87_6 Depth=1
	s_mov_b32 s1, exec_lo
	v_cmpx_eq_u32_e32 1, v13
	s_cbranch_execz .LBB87_4
; %bb.14:                               ;   in Loop: Header=BB87_6 Depth=1
	v_dual_mov_b32 v0, v1 :: v_dual_mov_b32 v1, v2
	s_branch .LBB87_4
.LBB87_15:
	s_endpgm
	.section	.rodata,"a",@progbits
	.p2align	6, 0x0
	.amdhsa_kernel _ZN2at6native12_GLOBAL__N_124fused_dropout_kernel_vecIddmLi1ELi2EhEEvNS_4cuda6detail10TensorInfoIKT_T1_EENS5_IS6_S8_EENS5_IT4_S8_EES8_T0_NS_15PhiloxCudaStateE
		.amdhsa_group_segment_fixed_size 0
		.amdhsa_private_segment_fixed_size 0
		.amdhsa_kernarg_size 1552
		.amdhsa_user_sgpr_count 15
		.amdhsa_user_sgpr_dispatch_ptr 0
		.amdhsa_user_sgpr_queue_ptr 0
		.amdhsa_user_sgpr_kernarg_segment_ptr 1
		.amdhsa_user_sgpr_dispatch_id 0
		.amdhsa_user_sgpr_private_segment_size 0
		.amdhsa_wavefront_size32 1
		.amdhsa_uses_dynamic_stack 0
		.amdhsa_enable_private_segment 0
		.amdhsa_system_sgpr_workgroup_id_x 1
		.amdhsa_system_sgpr_workgroup_id_y 0
		.amdhsa_system_sgpr_workgroup_id_z 0
		.amdhsa_system_sgpr_workgroup_info 0
		.amdhsa_system_vgpr_workitem_id 0
		.amdhsa_next_free_vgpr 49
		.amdhsa_next_free_sgpr 16
		.amdhsa_reserve_vcc 1
		.amdhsa_float_round_mode_32 0
		.amdhsa_float_round_mode_16_64 0
		.amdhsa_float_denorm_mode_32 3
		.amdhsa_float_denorm_mode_16_64 3
		.amdhsa_dx10_clamp 1
		.amdhsa_ieee_mode 1
		.amdhsa_fp16_overflow 0
		.amdhsa_workgroup_processor_mode 1
		.amdhsa_memory_ordered 1
		.amdhsa_forward_progress 0
		.amdhsa_shared_vgpr_count 0
		.amdhsa_exception_fp_ieee_invalid_op 0
		.amdhsa_exception_fp_denorm_src 0
		.amdhsa_exception_fp_ieee_div_zero 0
		.amdhsa_exception_fp_ieee_overflow 0
		.amdhsa_exception_fp_ieee_underflow 0
		.amdhsa_exception_fp_ieee_inexact 0
		.amdhsa_exception_int_div_zero 0
	.end_amdhsa_kernel
	.section	.text._ZN2at6native12_GLOBAL__N_124fused_dropout_kernel_vecIddmLi1ELi2EhEEvNS_4cuda6detail10TensorInfoIKT_T1_EENS5_IS6_S8_EENS5_IT4_S8_EES8_T0_NS_15PhiloxCudaStateE,"axG",@progbits,_ZN2at6native12_GLOBAL__N_124fused_dropout_kernel_vecIddmLi1ELi2EhEEvNS_4cuda6detail10TensorInfoIKT_T1_EENS5_IS6_S8_EENS5_IT4_S8_EES8_T0_NS_15PhiloxCudaStateE,comdat
.Lfunc_end87:
	.size	_ZN2at6native12_GLOBAL__N_124fused_dropout_kernel_vecIddmLi1ELi2EhEEvNS_4cuda6detail10TensorInfoIKT_T1_EENS5_IS6_S8_EENS5_IT4_S8_EES8_T0_NS_15PhiloxCudaStateE, .Lfunc_end87-_ZN2at6native12_GLOBAL__N_124fused_dropout_kernel_vecIddmLi1ELi2EhEEvNS_4cuda6detail10TensorInfoIKT_T1_EENS5_IS6_S8_EENS5_IT4_S8_EES8_T0_NS_15PhiloxCudaStateE
                                        ; -- End function
	.section	.AMDGPU.csdata,"",@progbits
; Kernel info:
; codeLenInByte = 1988
; NumSgprs: 18
; NumVgprs: 49
; ScratchSize: 0
; MemoryBound: 0
; FloatMode: 240
; IeeeMode: 1
; LDSByteSize: 0 bytes/workgroup (compile time only)
; SGPRBlocks: 2
; VGPRBlocks: 6
; NumSGPRsForWavesPerEU: 18
; NumVGPRsForWavesPerEU: 49
; Occupancy: 16
; WaveLimiterHint : 1
; COMPUTE_PGM_RSRC2:SCRATCH_EN: 0
; COMPUTE_PGM_RSRC2:USER_SGPR: 15
; COMPUTE_PGM_RSRC2:TRAP_HANDLER: 0
; COMPUTE_PGM_RSRC2:TGID_X_EN: 1
; COMPUTE_PGM_RSRC2:TGID_Y_EN: 0
; COMPUTE_PGM_RSRC2:TGID_Z_EN: 0
; COMPUTE_PGM_RSRC2:TIDIG_COMP_CNT: 0
	.section	.text._ZN2at6native12_GLOBAL__N_120fused_dropout_kernelIddmLi1ELi1EhEEvNS_4cuda6detail10TensorInfoIKT_T1_EENS5_IS6_S8_EENS5_IT4_S8_EES8_T0_NS_15PhiloxCudaStateE,"axG",@progbits,_ZN2at6native12_GLOBAL__N_120fused_dropout_kernelIddmLi1ELi1EhEEvNS_4cuda6detail10TensorInfoIKT_T1_EENS5_IS6_S8_EENS5_IT4_S8_EES8_T0_NS_15PhiloxCudaStateE,comdat
	.globl	_ZN2at6native12_GLOBAL__N_120fused_dropout_kernelIddmLi1ELi1EhEEvNS_4cuda6detail10TensorInfoIKT_T1_EENS5_IS6_S8_EENS5_IT4_S8_EES8_T0_NS_15PhiloxCudaStateE ; -- Begin function _ZN2at6native12_GLOBAL__N_120fused_dropout_kernelIddmLi1ELi1EhEEvNS_4cuda6detail10TensorInfoIKT_T1_EENS5_IS6_S8_EENS5_IT4_S8_EES8_T0_NS_15PhiloxCudaStateE
	.p2align	8
	.type	_ZN2at6native12_GLOBAL__N_120fused_dropout_kernelIddmLi1ELi1EhEEvNS_4cuda6detail10TensorInfoIKT_T1_EENS5_IS6_S8_EENS5_IT4_S8_EES8_T0_NS_15PhiloxCudaStateE,@function
_ZN2at6native12_GLOBAL__N_120fused_dropout_kernelIddmLi1ELi1EhEEvNS_4cuda6detail10TensorInfoIKT_T1_EENS5_IS6_S8_EENS5_IT4_S8_EES8_T0_NS_15PhiloxCudaStateE: ; @_ZN2at6native12_GLOBAL__N_120fused_dropout_kernelIddmLi1ELi1EhEEvNS_4cuda6detail10TensorInfoIKT_T1_EENS5_IS6_S8_EENS5_IT4_S8_EES8_T0_NS_15PhiloxCudaStateE
; %bb.0:
	s_clause 0x1
	s_load_b256 s[4:11], s[0:1], 0x4e0
	s_load_b32 s2, s[0:1], 0x508
	s_waitcnt lgkmcnt(0)
	v_dual_mov_b32 v1, s10 :: v_dual_mov_b32 v2, s11
	v_dual_mov_b32 v20, s9 :: v_dual_mov_b32 v19, s8
	s_bitcmp0_b32 s2, 0
	s_mov_b32 s2, 0
	s_cbranch_scc1 .LBB88_2
; %bb.1:
	v_dual_mov_b32 v1, s10 :: v_dual_mov_b32 v2, s11
	v_dual_mov_b32 v3, s8 :: v_dual_mov_b32 v4, s9
	s_load_b64 s[8:9], s[0:1], 0x500
	flat_load_b64 v[1:2], v[1:2]
	flat_load_b64 v[19:20], v[3:4]
	s_waitcnt vmcnt(1) lgkmcnt(0)
	v_add_co_u32 v1, vcc_lo, v1, s8
	v_add_co_ci_u32_e32 v2, vcc_lo, s9, v2, vcc_lo
.LBB88_2:
	s_clause 0x1
	s_load_b32 s3, s[0:1], 0x51c
	s_load_b32 s8, s[0:1], 0x510
	s_waitcnt lgkmcnt(0)
	s_and_b32 s9, s3, 0xffff
	s_add_u32 s10, s4, -1
	s_mul_i32 s22, s8, s9
	s_addc_u32 s3, s5, -1
	s_lshl_b32 s23, s22, 2
	s_cmp_lg_u64 s[2:3], 0
	s_cbranch_scc0 .LBB88_35
; %bb.3:
	v_cvt_f32_u32_e32 v3, s23
	s_sub_u32 s12, 0, s23
	s_subb_u32 s13, 0, 0
	s_delay_alu instid0(VALU_DEP_1) | instskip(NEXT) | instid1(VALU_DEP_1)
	v_fmamk_f32 v3, 0, 0x4f800000, v3
	v_rcp_f32_e32 v3, v3
	s_waitcnt_depctr 0xfff
	v_mul_f32_e32 v3, 0x5f7ffffc, v3
	s_delay_alu instid0(VALU_DEP_1) | instskip(NEXT) | instid1(VALU_DEP_1)
	v_mul_f32_e32 v4, 0x2f800000, v3
	v_trunc_f32_e32 v4, v4
	s_delay_alu instid0(VALU_DEP_1) | instskip(SKIP_1) | instid1(VALU_DEP_2)
	v_fmamk_f32 v3, v4, 0xcf800000, v3
	v_cvt_u32_f32_e32 v4, v4
	v_cvt_u32_f32_e32 v3, v3
	s_delay_alu instid0(VALU_DEP_2) | instskip(NEXT) | instid1(VALU_DEP_2)
	v_readfirstlane_b32 s2, v4
	v_readfirstlane_b32 s11, v3
	s_delay_alu instid0(VALU_DEP_2) | instskip(NEXT) | instid1(VALU_DEP_1)
	s_mul_i32 s14, s12, s2
	s_mul_hi_u32 s17, s12, s11
	s_mul_i32 s16, s13, s11
	s_add_i32 s14, s17, s14
	s_mul_i32 s18, s12, s11
	s_add_i32 s14, s14, s16
	s_mul_hi_u32 s17, s11, s18
	s_mul_hi_u32 s19, s2, s18
	s_mul_i32 s16, s2, s18
	s_mul_hi_u32 s18, s11, s14
	s_mul_i32 s11, s11, s14
	s_mul_hi_u32 s20, s2, s14
	s_add_u32 s11, s17, s11
	s_addc_u32 s17, 0, s18
	s_add_u32 s11, s11, s16
	s_mul_i32 s14, s2, s14
	s_addc_u32 s11, s17, s19
	s_addc_u32 s16, s20, 0
	s_add_u32 s11, s11, s14
	s_addc_u32 s14, 0, s16
	v_add_co_u32 v3, s11, v3, s11
	s_delay_alu instid0(VALU_DEP_1) | instskip(SKIP_1) | instid1(VALU_DEP_1)
	s_cmp_lg_u32 s11, 0
	s_addc_u32 s2, s2, s14
	v_readfirstlane_b32 s11, v3
	s_mul_i32 s14, s12, s2
	s_delay_alu instid0(VALU_DEP_1)
	s_mul_hi_u32 s16, s12, s11
	s_mul_i32 s13, s13, s11
	s_add_i32 s14, s16, s14
	s_mul_i32 s12, s12, s11
	s_add_i32 s14, s14, s13
	s_mul_hi_u32 s16, s2, s12
	s_mul_i32 s17, s2, s12
	s_mul_hi_u32 s12, s11, s12
	s_mul_hi_u32 s18, s11, s14
	s_mul_i32 s11, s11, s14
	s_mul_hi_u32 s13, s2, s14
	s_add_u32 s11, s12, s11
	s_addc_u32 s12, 0, s18
	s_add_u32 s11, s11, s17
	s_mul_i32 s14, s2, s14
	s_addc_u32 s11, s12, s16
	s_addc_u32 s12, s13, 0
	s_add_u32 s11, s11, s14
	s_addc_u32 s12, 0, s12
	v_add_co_u32 v3, s11, v3, s11
	s_delay_alu instid0(VALU_DEP_1) | instskip(SKIP_1) | instid1(VALU_DEP_1)
	s_cmp_lg_u32 s11, 0
	s_addc_u32 s2, s2, s12
	v_readfirstlane_b32 s11, v3
	s_mul_i32 s13, s10, s2
	s_mul_hi_u32 s12, s10, s2
	s_mul_hi_u32 s14, s3, s2
	s_mul_i32 s2, s3, s2
	s_mul_hi_u32 s16, s10, s11
	s_mul_hi_u32 s17, s3, s11
	s_mul_i32 s11, s3, s11
	s_add_u32 s13, s16, s13
	s_addc_u32 s12, 0, s12
	s_add_u32 s11, s13, s11
	s_addc_u32 s11, s12, s17
	s_addc_u32 s12, s14, 0
	s_add_u32 s2, s11, s2
	s_addc_u32 s12, 0, s12
	s_mul_i32 s13, s23, s2
	s_add_u32 s11, s2, 1
	v_sub_co_u32 v3, s13, s10, s13
	s_mul_hi_u32 s14, s23, s2
	s_addc_u32 s16, s12, 0
	s_mul_i32 s17, s23, s12
	s_delay_alu instid0(VALU_DEP_1)
	v_sub_co_u32 v4, s18, v3, s23
	s_add_u32 s19, s2, 2
	s_addc_u32 s20, s12, 0
	s_add_i32 s14, s14, s17
	s_cmp_lg_u32 s13, 0
	v_readfirstlane_b32 s13, v4
	s_subb_u32 s3, s3, s14
	s_cmp_lg_u32 s18, 0
	s_subb_u32 s14, s3, 0
	s_delay_alu instid0(VALU_DEP_1) | instskip(SKIP_4) | instid1(SALU_CYCLE_1)
	s_cmp_ge_u32 s13, s23
	s_cselect_b32 s13, -1, 0
	s_cmp_eq_u32 s14, 0
	v_readfirstlane_b32 s14, v3
	s_cselect_b32 s13, s13, -1
	s_cmp_lg_u32 s13, 0
	s_cselect_b32 s13, s19, s11
	s_cselect_b32 s16, s20, s16
	s_cmp_ge_u32 s14, s23
	s_cselect_b32 s11, -1, 0
	s_cmp_eq_u32 s3, 0
	s_cselect_b32 s3, s11, -1
	s_delay_alu instid0(SALU_CYCLE_1)
	s_cmp_lg_u32 s3, 0
	s_cselect_b32 s3, s16, s12
	s_cselect_b32 s2, s13, s2
	s_cbranch_execnz .LBB88_5
.LBB88_4:
	v_cvt_f32_u32_e32 v3, s23
	s_sub_i32 s3, 0, s23
	s_delay_alu instid0(VALU_DEP_1) | instskip(SKIP_2) | instid1(VALU_DEP_1)
	v_rcp_iflag_f32_e32 v3, v3
	s_waitcnt_depctr 0xfff
	v_mul_f32_e32 v3, 0x4f7ffffe, v3
	v_cvt_u32_f32_e32 v3, v3
	s_delay_alu instid0(VALU_DEP_1) | instskip(NEXT) | instid1(VALU_DEP_1)
	v_readfirstlane_b32 s2, v3
	s_mul_i32 s3, s3, s2
	s_delay_alu instid0(SALU_CYCLE_1) | instskip(NEXT) | instid1(SALU_CYCLE_1)
	s_mul_hi_u32 s3, s2, s3
	s_add_i32 s2, s2, s3
	s_delay_alu instid0(SALU_CYCLE_1) | instskip(NEXT) | instid1(SALU_CYCLE_1)
	s_mul_hi_u32 s2, s10, s2
	s_mul_i32 s3, s2, s23
	s_delay_alu instid0(SALU_CYCLE_1)
	s_sub_i32 s3, s10, s3
	s_add_i32 s10, s2, 1
	s_sub_i32 s11, s3, s23
	s_cmp_ge_u32 s3, s23
	s_cselect_b32 s2, s10, s2
	s_cselect_b32 s3, s11, s3
	s_add_i32 s10, s2, 1
	s_cmp_ge_u32 s3, s23
	s_mov_b32 s3, 0
	s_cselect_b32 s2, s10, s2
.LBB88_5:
	s_delay_alu instid0(SALU_CYCLE_1)
	s_add_u32 s2, s2, 1
	s_addc_u32 s3, s3, 0
	v_mov_b32_e32 v23, 0
	v_mad_u64_u32 v[21:22], null, s15, s9, v[0:1]
	s_mul_i32 s3, s22, s3
	s_mul_hi_u32 s10, s22, s2
	s_mul_hi_u32 s8, s8, s9
	s_add_i32 s3, s10, s3
	s_mul_i32 s8, s8, s2
	v_mov_b32_e32 v22, v23
	s_add_i32 s3, s3, s8
	s_mul_i32 s2, s22, s2
	s_delay_alu instid0(SALU_CYCLE_1)
	s_lshl_b64 s[8:9], s[2:3], 2
	s_mov_b32 s2, exec_lo
	v_cmpx_gt_u64_e64 s[8:9], v[21:22]
	s_cbranch_execz .LBB88_34
; %bb.6:
	v_div_scale_f64 v[3:4], null, s[6:7], s[6:7], 1.0
	v_div_scale_f64 v[9:10], vcc_lo, 1.0, s[6:7], 1.0
	v_alignbit_b32 v55, v2, v1, 2
	v_lshrrev_b32_e32 v56, 2, v2
	s_waitcnt vmcnt(0)
	v_dual_mov_b32 v16, v20 :: v_dual_and_b32 v57, 3, v1
	v_add_co_u32 v62, null, 0x9e3779b9, v19
	v_mad_u64_u32 v[11:12], null, 0xd2511f53, v55, 0
	s_delay_alu instid0(VALU_DEP_3)
	v_add_co_u32 v60, null, 0xbb67ae85, v16
	v_add_co_u32 v64, null, 0x3c6ef372, v19
	;; [unrolled: 1-line block ×10, first 2 shown]
	s_clause 0x3
	s_load_b64 s[10:11], s[0:1], 0x0
	s_load_b64 s[2:3], s[0:1], 0xd0
	;; [unrolled: 1-line block ×4, first 2 shown]
	v_add_co_u32 v74, null, 0x646e171e, v16
	v_add_co_u32 v69, null, 0x5384540f, v19
	;; [unrolled: 1-line block ×3, first 2 shown]
	v_rcp_f64_e32 v[5:6], v[3:4]
	s_mul_i32 s26, s22, 3
	s_load_b64 s[14:15], s[0:1], 0x340
	v_add_co_u32 v17, s0, s26, v21
	v_add_co_u32 v70, null, 0xf1bbcdc8, v19
	v_add_co_ci_u32_e64 v18, null, 0, 0, s0
	v_add_co_u32 v75, null, 0xdb3d7428, v16
	s_waitcnt lgkmcnt(0)
	v_mul_lo_u32 v41, s3, v17
	s_delay_alu instid0(VALU_DEP_3)
	v_mul_lo_u32 v42, s2, v18
	v_mad_u64_u32 v[25:26], null, s18, v21, 0
	v_add_nc_u32_e32 v59, 0x96a522ad, v20
	v_mul_lo_u32 v29, s18, v18
	v_mad_u64_u32 v[27:28], null, s18, v17, 0
	s_lshl_b32 s25, s22, 1
	s_mul_hi_u32 s1, s18, s23
	v_add_co_u32 v24, s0, s25, v21
	s_delay_alu instid0(VALU_DEP_1) | instskip(SKIP_1) | instid1(VALU_DEP_2)
	v_add_co_ci_u32_e64 v35, null, 0, 0, s0
	s_mul_i32 s0, s19, s23
	v_mad_u64_u32 v[33:34], null, s18, v24, 0
	s_add_i32 s17, s1, s0
	s_mul_i32 s20, s3, s23
	s_mul_hi_u32 s21, s2, s23
	v_dual_mov_b32 v52, v22 :: v_dual_mov_b32 v51, v21
	v_mov_b32_e32 v22, 0
	s_mul_i32 s16, s18, s23
	s_add_i32 s1, s21, s20
	s_mov_b32 s24, 0
	s_delay_alu instid0(TRANS32_DEP_1) | instskip(NEXT) | instid1(VALU_DEP_1)
	v_fma_f64 v[7:8], -v[3:4], v[5:6], 1.0
	v_fma_f64 v[5:6], v[5:6], v[7:8], v[5:6]
	s_delay_alu instid0(VALU_DEP_1) | instskip(NEXT) | instid1(VALU_DEP_1)
	v_fma_f64 v[7:8], -v[3:4], v[5:6], 1.0
	v_fma_f64 v[5:6], v[5:6], v[7:8], v[5:6]
	v_mad_u64_u32 v[7:8], null, 0xcd9e8d57, v21, 0
	s_delay_alu instid0(VALU_DEP_1) | instskip(NEXT) | instid1(VALU_DEP_1)
	v_xor3_b32 v2, v19, v8, v56
	v_mad_u64_u32 v[0:1], null, 0xd2511f53, v2, 0
	v_xor_b32_e32 v2, v12, v20
	s_delay_alu instid0(VALU_DEP_1) | instskip(NEXT) | instid1(VALU_DEP_3)
	v_mad_u64_u32 v[12:13], null, 0xcd9e8d57, v2, 0
	v_xor3_b32 v8, v60, v1, v11
	s_delay_alu instid0(VALU_DEP_1) | instskip(NEXT) | instid1(VALU_DEP_3)
	v_mad_u64_u32 v[1:2], null, 0xcd9e8d57, v8, 0
	v_xor3_b32 v11, v13, v62, v7
	;; [unrolled: 3-line block ×3, first 2 shown]
	v_mul_f64 v[7:8], v[9:10], v[5:6]
	s_delay_alu instid0(VALU_DEP_2) | instskip(NEXT) | instid1(VALU_DEP_4)
	v_mad_u64_u32 v[11:12], null, 0xd2511f53, v2, 0
	v_xor3_b32 v0, v14, v66, v0
	s_delay_alu instid0(VALU_DEP_1) | instskip(NEXT) | instid1(VALU_DEP_3)
	v_mad_u64_u32 v[14:15], null, 0xcd9e8d57, v0, 0
	v_xor3_b32 v0, v68, v12, v13
	s_delay_alu instid0(VALU_DEP_1) | instskip(NEXT) | instid1(VALU_DEP_3)
	;; [unrolled: 3-line block ×3, first 2 shown]
	v_mad_u64_u32 v[0:1], null, 0xd2511f53, v2, 0
	v_xor3_b32 v13, v63, v13, v14
	s_delay_alu instid0(VALU_DEP_2) | instskip(SKIP_1) | instid1(VALU_DEP_3)
	v_xor3_b32 v1, v1, v71, v11
	v_fma_f64 v[2:3], -v[3:4], v[7:8], v[9:10]
	v_mad_u64_u32 v[9:10], null, 0xd2511f53, v13, 0
	s_delay_alu instid0(VALU_DEP_3) | instskip(NEXT) | instid1(VALU_DEP_2)
	v_mad_u64_u32 v[13:14], null, 0xcd9e8d57, v1, 0
	v_xor3_b32 v4, v72, v10, v0
	s_delay_alu instid0(VALU_DEP_1) | instskip(NEXT) | instid1(VALU_DEP_3)
	v_mad_u64_u32 v[0:1], null, 0xcd9e8d57, v4, 0
	v_xor3_b32 v4, v14, v67, v12
	s_delay_alu instid0(VALU_DEP_1) | instskip(NEXT) | instid1(VALU_DEP_3)
	v_mad_u64_u32 v[10:11], null, 0xd2511f53, v4, 0
	v_xor3_b32 v1, v61, v1, v13
	v_mad_u64_u32 v[12:13], null, s2, v21, 0
	s_delay_alu instid0(VALU_DEP_2) | instskip(NEXT) | instid1(VALU_DEP_4)
	v_mad_u64_u32 v[14:15], null, 0xd2511f53, v1, 0
	v_xor3_b32 v9, v11, v74, v9
	v_mul_lo_u32 v11, s19, v17
	v_div_fmas_f64 v[1:2], v[2:3], v[5:6], v[7:8]
	s_delay_alu instid0(VALU_DEP_3)
	v_mad_u64_u32 v[3:4], null, 0xcd9e8d57, v9, 0
	v_xor3_b32 v6, v73, v15, v10
	v_mad_u64_u32 v[15:16], null, s2, v17, 0
	v_mov_b32_e32 v8, v13
	v_add3_u32 v28, v28, v29, v11
	v_xor3_b32 v0, v4, v69, v0
	v_mad_u64_u32 v[4:5], null, 0xcd9e8d57, v6, 0
	v_add3_u32 v16, v16, v42, v41
	s_delay_alu instid0(VALU_DEP_4) | instskip(NEXT) | instid1(VALU_DEP_4)
	v_lshlrev_b64 v[39:40], 3, v[27:28]
	v_mad_u64_u32 v[6:7], null, 0xd2511f53, v0, 0
	v_mov_b32_e32 v0, v26
	s_delay_alu instid0(VALU_DEP_4) | instskip(NEXT) | instid1(VALU_DEP_2)
	v_lshlrev_b64 v[41:42], 3, v[15:16]
	v_mad_u64_u32 v[17:18], null, s19, v21, v[0:1]
	v_xor3_b32 v0, v70, v5, v3
	v_xor3_b32 v3, v7, v75, v14
	v_mad_u64_u32 v[13:14], null, s3, v21, v[8:9]
	v_add_co_u32 v7, s0, s22, v21
	s_delay_alu instid0(VALU_DEP_4) | instskip(NEXT) | instid1(VALU_DEP_4)
	v_mad_u64_u32 v[31:32], null, 0xd2511f53, v0, 0
	v_mad_u64_u32 v[9:10], null, 0xcd9e8d57, v3, 0
	v_add_nc_u32_e32 v58, 0x8ff34781, v19
	v_mov_b32_e32 v26, v17
	v_mul_lo_u32 v5, s19, v24
	v_mul_lo_u32 v14, s2, v35
	v_mov_b32_e32 v11, v31
	v_mul_lo_u32 v17, s19, v7
	v_xor3_b32 v8, v4, v10, v58
	v_xor3_b32 v10, v32, v6, v59
	v_div_fixup_f64 v[31:32], v[1:2], s[6:7], 1.0
	v_add_co_ci_u32_e64 v2, null, 0, 0, s0
	v_mul_lo_u32 v4, s18, v35
	v_mul_lo_u32 v6, s3, v24
	v_mad_u64_u32 v[0:1], null, s2, v24, 0
	s_delay_alu instid0(VALU_DEP_4)
	v_mul_lo_u32 v18, s18, v2
	v_mad_u64_u32 v[35:36], null, s18, v7, 0
	v_mul_lo_u32 v24, s3, v7
	v_mul_lo_u32 v43, s2, v2
	v_mad_u64_u32 v[2:3], null, s2, v7, 0
	v_add3_u32 v34, v34, v4, v5
	v_add3_u32 v1, v1, v14, v6
	;; [unrolled: 1-line block ×3, first 2 shown]
	v_lshlrev_b64 v[29:30], 3, v[25:26]
	v_lshlrev_b64 v[37:38], 3, v[12:13]
	s_mul_i32 s0, s2, s23
	v_add3_u32 v3, v3, v43, v24
	v_lshlrev_b64 v[43:44], 3, v[33:34]
	v_lshlrev_b64 v[45:46], 3, v[0:1]
	;; [unrolled: 1-line block ×3, first 2 shown]
	s_lshl_b64 s[18:19], s[16:17], 3
	v_lshlrev_b64 v[49:50], 3, v[2:3]
	s_lshl_b64 s[20:21], s[0:1], 3
                                        ; implicit-def: $vgpr0_vgpr1_vgpr2_vgpr3_vgpr4_vgpr5_vgpr6_vgpr7
	s_branch .LBB88_8
.LBB88_7:                               ;   in Loop: Header=BB88_8 Depth=1
	s_or_b32 exec_lo, exec_lo, s1
	v_add_co_u32 v51, vcc_lo, v51, s23
	v_add_co_ci_u32_e32 v52, vcc_lo, 0, v52, vcc_lo
	v_mov_b32_e32 v15, v53
	s_add_u32 s12, s12, s18
	s_addc_u32 s13, s13, s19
	s_delay_alu instid0(VALU_DEP_2)
	v_cmp_le_u64_e32 vcc_lo, s[8:9], v[51:52]
	s_add_u32 s14, s14, s16
	v_dual_mov_b32 v8, v12 :: v_dual_mov_b32 v9, v13
	s_addc_u32 s15, s15, s17
	v_dual_mov_b32 v10, v14 :: v_dual_mov_b32 v11, v15
	s_add_u32 s10, s10, s20
	s_addc_u32 s11, s11, s21
	s_or_b32 s24, vcc_lo, s24
	s_waitcnt vmcnt(0)
	s_waitcnt_vscnt null, 0x0
	s_barrier
	buffer_gl0_inv
	s_and_not1_b32 exec_lo, exec_lo, s24
	s_cbranch_execz .LBB88_34
.LBB88_8:                               ; =>This Inner Loop Header: Depth=1
	v_add_co_u32 v55, vcc_lo, v55, 1
	s_delay_alu instid0(VALU_DEP_1) | instskip(SKIP_2) | instid1(VALU_DEP_1)
	v_cndmask_b32_e64 v12, 0, 1, vcc_lo
	v_add_co_ci_u32_e32 v56, vcc_lo, 0, v56, vcc_lo
	s_mov_b32 s0, exec_lo
	v_cmp_eq_u32_e32 vcc_lo, 0, v56
	s_delay_alu instid0(VALU_DEP_3) | instskip(NEXT) | instid1(VALU_DEP_1)
	v_cndmask_b32_e32 v12, 0, v12, vcc_lo
	v_add_nc_u32_e32 v21, v12, v21
	s_delay_alu instid0(VALU_DEP_1) | instskip(SKIP_2) | instid1(VALU_DEP_2)
	v_cmp_eq_u32_e32 vcc_lo, 0, v21
	v_cndmask_b32_e32 v12, 0, v12, vcc_lo
	v_mad_u64_u32 v[14:15], null, 0xcd9e8d57, v21, 0
	v_add_nc_u32_e32 v22, v12, v22
	v_mad_u64_u32 v[12:13], null, 0xd2511f53, v55, 0
	s_delay_alu instid0(VALU_DEP_3) | instskip(NEXT) | instid1(VALU_DEP_2)
	v_xor3_b32 v17, v15, v19, v56
	v_xor_b32_e32 v13, v13, v20
	s_delay_alu instid0(VALU_DEP_2) | instskip(NEXT) | instid1(VALU_DEP_2)
	v_mad_u64_u32 v[15:16], null, 0xd2511f53, v17, 0
	v_xor_b32_e32 v13, v22, v13
	s_delay_alu instid0(VALU_DEP_2) | instskip(NEXT) | instid1(VALU_DEP_2)
	v_xor3_b32 v16, v60, v16, v12
	v_mad_u64_u32 v[17:18], null, 0xcd9e8d57, v13, 0
	s_delay_alu instid0(VALU_DEP_2) | instskip(NEXT) | instid1(VALU_DEP_2)
	v_mad_u64_u32 v[12:13], null, 0xcd9e8d57, v16, 0
	v_xor3_b32 v14, v62, v18, v14
	s_delay_alu instid0(VALU_DEP_2) | instskip(NEXT) | instid1(VALU_DEP_2)
	v_xor3_b32 v16, v64, v13, v17
	v_mad_u64_u32 v[53:54], null, 0xd2511f53, v14, 0
	s_delay_alu instid0(VALU_DEP_2) | instskip(NEXT) | instid1(VALU_DEP_2)
	v_mad_u64_u32 v[13:14], null, 0xd2511f53, v16, 0
	v_xor3_b32 v17, v66, v54, v15
	s_delay_alu instid0(VALU_DEP_2) | instskip(NEXT) | instid1(VALU_DEP_2)
	v_xor3_b32 v14, v68, v14, v53
	v_mad_u64_u32 v[15:16], null, 0xcd9e8d57, v17, 0
	s_delay_alu instid0(VALU_DEP_1) | instskip(NEXT) | instid1(VALU_DEP_3)
	v_xor3_b32 v12, v65, v16, v12
	v_mad_u64_u32 v[16:17], null, 0xcd9e8d57, v14, 0
	s_delay_alu instid0(VALU_DEP_2) | instskip(NEXT) | instid1(VALU_DEP_2)
	v_mad_u64_u32 v[53:54], null, 0xd2511f53, v12, 0
	v_xor3_b32 v14, v63, v17, v15
	s_delay_alu instid0(VALU_DEP_2) | instskip(NEXT) | instid1(VALU_DEP_2)
	v_xor3_b32 v17, v71, v54, v13
	v_mad_u64_u32 v[12:13], null, 0xd2511f53, v14, 0
	s_delay_alu instid0(VALU_DEP_2) | instskip(NEXT) | instid1(VALU_DEP_2)
	v_mad_u64_u32 v[14:15], null, 0xcd9e8d57, v17, 0
	v_xor3_b32 v13, v72, v13, v53
	s_delay_alu instid0(VALU_DEP_2) | instskip(NEXT) | instid1(VALU_DEP_2)
	;; [unrolled: 6-line block ×6, first 2 shown]
	v_xor3_b32 v12, v14, v15, v58
	v_mov_b32_e32 v14, v18
	v_cmpx_lt_i32_e32 1, v57
	s_xor_b32 s0, exec_lo, s0
	s_cbranch_execnz .LBB88_21
; %bb.9:                                ;   in Loop: Header=BB88_8 Depth=1
	s_and_not1_saveexec_b32 s0, s0
	s_cbranch_execnz .LBB88_26
.LBB88_10:                              ;   in Loop: Header=BB88_8 Depth=1
	s_or_b32 exec_lo, exec_lo, s0
	v_cmp_gt_u64_e64 s2, s[4:5], v[51:52]
	s_delay_alu instid0(VALU_DEP_1)
	s_and_saveexec_b32 s0, s2
	s_cbranch_execz .LBB88_12
.LBB88_11:                              ;   in Loop: Header=BB88_8 Depth=1
	v_add_co_u32 v0, vcc_lo, s10, v37
	v_add_co_ci_u32_e32 v1, vcc_lo, s11, v38, vcc_lo
	global_load_b64 v[0:1], v[0:1], off
.LBB88_12:                              ;   in Loop: Header=BB88_8 Depth=1
	s_or_b32 exec_lo, exec_lo, s0
	v_add_co_u32 v15, vcc_lo, s22, v51
	v_add_co_ci_u32_e32 v16, vcc_lo, 0, v52, vcc_lo
	s_delay_alu instid0(VALU_DEP_1) | instskip(NEXT) | instid1(VALU_DEP_1)
	v_cmp_gt_u64_e64 s1, s[4:5], v[15:16]
	s_and_saveexec_b32 s0, s1
	s_cbranch_execz .LBB88_14
; %bb.13:                               ;   in Loop: Header=BB88_8 Depth=1
	v_add_co_u32 v2, vcc_lo, s10, v49
	v_add_co_ci_u32_e32 v3, vcc_lo, s11, v50, vcc_lo
	global_load_b64 v[2:3], v[2:3], off
.LBB88_14:                              ;   in Loop: Header=BB88_8 Depth=1
	s_or_b32 exec_lo, exec_lo, s0
	v_add_co_u32 v15, vcc_lo, s25, v51
	v_add_co_ci_u32_e32 v16, vcc_lo, 0, v52, vcc_lo
	s_delay_alu instid0(VALU_DEP_1) | instskip(NEXT) | instid1(VALU_DEP_1)
	v_cmp_gt_u64_e64 s0, s[4:5], v[15:16]
	s_and_saveexec_b32 s3, s0
	s_cbranch_execz .LBB88_16
; %bb.15:                               ;   in Loop: Header=BB88_8 Depth=1
	v_add_co_u32 v4, vcc_lo, s10, v45
	v_add_co_ci_u32_e32 v5, vcc_lo, s11, v46, vcc_lo
	global_load_b64 v[4:5], v[4:5], off
.LBB88_16:                              ;   in Loop: Header=BB88_8 Depth=1
	s_or_b32 exec_lo, exec_lo, s3
	v_add_co_u32 v15, vcc_lo, s26, v51
	v_add_co_ci_u32_e32 v16, vcc_lo, 0, v52, vcc_lo
	s_delay_alu instid0(VALU_DEP_1)
	v_cmp_gt_u64_e32 vcc_lo, s[4:5], v[15:16]
	s_and_saveexec_b32 s27, vcc_lo
	s_cbranch_execnz .LBB88_29
; %bb.17:                               ;   in Loop: Header=BB88_8 Depth=1
	s_or_b32 exec_lo, exec_lo, s27
	s_and_saveexec_b32 s27, s2
	s_cbranch_execnz .LBB88_30
.LBB88_18:                              ;   in Loop: Header=BB88_8 Depth=1
	s_or_b32 exec_lo, exec_lo, s27
	s_and_saveexec_b32 s3, s1
	s_cbranch_execnz .LBB88_31
.LBB88_19:                              ;   in Loop: Header=BB88_8 Depth=1
	s_or_b32 exec_lo, exec_lo, s3
	s_and_saveexec_b32 s2, s0
	s_cbranch_execnz .LBB88_32
.LBB88_20:                              ;   in Loop: Header=BB88_8 Depth=1
	s_or_b32 exec_lo, exec_lo, s2
	s_and_saveexec_b32 s1, vcc_lo
	s_cbranch_execz .LBB88_7
	s_branch .LBB88_33
.LBB88_21:                              ;   in Loop: Header=BB88_8 Depth=1
	s_mov_b32 s1, exec_lo
	v_cmpx_lt_i32_e32 2, v57
	s_xor_b32 s1, exec_lo, s1
; %bb.22:                               ;   in Loop: Header=BB88_8 Depth=1
	v_dual_mov_b32 v15, v11 :: v_dual_mov_b32 v16, v12
	v_mov_b32_e32 v17, v13
	s_delay_alu instid0(VALU_DEP_2) | instskip(NEXT) | instid1(VALU_DEP_2)
	v_dual_mov_b32 v8, v15 :: v_dual_mov_b32 v9, v16
	v_dual_mov_b32 v10, v17 :: v_dual_mov_b32 v11, v18
; %bb.23:                               ;   in Loop: Header=BB88_8 Depth=1
	s_and_not1_saveexec_b32 s1, s1
; %bb.24:                               ;   in Loop: Header=BB88_8 Depth=1
	s_delay_alu instid0(VALU_DEP_1)
	v_dual_mov_b32 v8, v10 :: v_dual_mov_b32 v9, v11
	v_dual_mov_b32 v10, v12 :: v_dual_mov_b32 v11, v13
; %bb.25:                               ;   in Loop: Header=BB88_8 Depth=1
	s_or_b32 exec_lo, exec_lo, s1
	s_and_not1_saveexec_b32 s0, s0
	s_cbranch_execz .LBB88_10
.LBB88_26:                              ;   in Loop: Header=BB88_8 Depth=1
	s_mov_b32 s1, exec_lo
	v_cmpx_eq_u32_e32 1, v57
; %bb.27:                               ;   in Loop: Header=BB88_8 Depth=1
	v_dual_mov_b32 v8, v9 :: v_dual_mov_b32 v9, v10
	v_dual_mov_b32 v10, v11 :: v_dual_mov_b32 v11, v12
; %bb.28:                               ;   in Loop: Header=BB88_8 Depth=1
	s_or_b32 exec_lo, exec_lo, s1
	s_delay_alu instid0(SALU_CYCLE_1) | instskip(SKIP_1) | instid1(VALU_DEP_1)
	s_or_b32 exec_lo, exec_lo, s0
	v_cmp_gt_u64_e64 s2, s[4:5], v[51:52]
	s_and_saveexec_b32 s0, s2
	s_cbranch_execnz .LBB88_11
	s_branch .LBB88_12
.LBB88_29:                              ;   in Loop: Header=BB88_8 Depth=1
	v_add_co_u32 v6, s3, s10, v41
	s_delay_alu instid0(VALU_DEP_1)
	v_add_co_ci_u32_e64 v7, s3, s11, v42, s3
	global_load_b64 v[6:7], v[6:7], off
	s_or_b32 exec_lo, exec_lo, s27
	s_and_saveexec_b32 s27, s2
	s_cbranch_execz .LBB88_18
.LBB88_30:                              ;   in Loop: Header=BB88_8 Depth=1
	v_cvt_f32_u32_e32 v8, v8
	v_add_co_u32 v17, s3, s12, v29
	s_delay_alu instid0(VALU_DEP_1) | instskip(NEXT) | instid1(VALU_DEP_3)
	v_add_co_ci_u32_e64 v18, s3, s13, v30, s3
	v_fmaak_f32 v8, 0x2f800000, v8, 0x2f800000
	v_add_co_u32 v76, s3, s14, v25
	s_delay_alu instid0(VALU_DEP_1) | instskip(NEXT) | instid1(VALU_DEP_3)
	v_add_co_ci_u32_e64 v77, s3, s15, v26, s3
	v_cvt_f64_f32_e32 v[15:16], v8
	s_delay_alu instid0(VALU_DEP_1) | instskip(NEXT) | instid1(VALU_DEP_1)
	v_cmp_gt_f64_e64 s2, s[6:7], v[15:16]
	v_cndmask_b32_e64 v24, 0, 0x3ff00000, s2
	v_cndmask_b32_e64 v8, 0, 1, s2
	s_waitcnt vmcnt(0)
	s_delay_alu instid0(VALU_DEP_2) | instskip(NEXT) | instid1(VALU_DEP_1)
	v_mul_f64 v[15:16], v[0:1], v[23:24]
	v_mul_f64 v[15:16], v[31:32], v[15:16]
	global_store_b64 v[17:18], v[15:16], off
	global_store_b8 v[76:77], v8, off
	s_or_b32 exec_lo, exec_lo, s27
	s_and_saveexec_b32 s3, s1
	s_cbranch_execz .LBB88_19
.LBB88_31:                              ;   in Loop: Header=BB88_8 Depth=1
	v_cvt_f32_u32_e32 v8, v9
	v_add_co_u32 v15, s2, s12, v47
	s_delay_alu instid0(VALU_DEP_1) | instskip(NEXT) | instid1(VALU_DEP_3)
	v_add_co_ci_u32_e64 v16, s2, s13, v48, s2
	v_fmaak_f32 v8, 0x2f800000, v8, 0x2f800000
	v_add_co_u32 v17, s2, s14, v35
	s_delay_alu instid0(VALU_DEP_1) | instskip(NEXT) | instid1(VALU_DEP_3)
	v_add_co_ci_u32_e64 v18, s2, s15, v36, s2
	v_cvt_f64_f32_e32 v[8:9], v8
	s_delay_alu instid0(VALU_DEP_1) | instskip(NEXT) | instid1(VALU_DEP_1)
	v_cmp_gt_f64_e64 s1, s[6:7], v[8:9]
	v_cndmask_b32_e64 v24, 0, 0x3ff00000, s1
	s_waitcnt vmcnt(0)
	s_delay_alu instid0(VALU_DEP_1) | instskip(SKIP_1) | instid1(VALU_DEP_2)
	v_mul_f64 v[8:9], v[2:3], v[23:24]
	v_cndmask_b32_e64 v24, 0, 1, s1
	v_mul_f64 v[8:9], v[31:32], v[8:9]
	global_store_b64 v[15:16], v[8:9], off
	global_store_b8 v[17:18], v24, off
	s_or_b32 exec_lo, exec_lo, s3
	s_and_saveexec_b32 s2, s0
	s_cbranch_execz .LBB88_20
.LBB88_32:                              ;   in Loop: Header=BB88_8 Depth=1
	v_cvt_f32_u32_e32 v8, v10
	v_add_co_u32 v15, s1, s12, v43
	s_delay_alu instid0(VALU_DEP_1) | instskip(NEXT) | instid1(VALU_DEP_3)
	v_add_co_ci_u32_e64 v16, s1, s13, v44, s1
	v_fmaak_f32 v8, 0x2f800000, v8, 0x2f800000
	v_add_co_u32 v17, s1, s14, v33
	s_delay_alu instid0(VALU_DEP_1) | instskip(NEXT) | instid1(VALU_DEP_3)
	v_add_co_ci_u32_e64 v18, s1, s15, v34, s1
	v_cvt_f64_f32_e32 v[8:9], v8
	s_delay_alu instid0(VALU_DEP_1) | instskip(NEXT) | instid1(VALU_DEP_1)
	v_cmp_gt_f64_e64 s0, s[6:7], v[8:9]
	v_cndmask_b32_e64 v24, 0, 0x3ff00000, s0
	v_cndmask_b32_e64 v10, 0, 1, s0
	s_waitcnt vmcnt(0)
	s_delay_alu instid0(VALU_DEP_2) | instskip(NEXT) | instid1(VALU_DEP_1)
	v_mul_f64 v[8:9], v[4:5], v[23:24]
	v_mul_f64 v[8:9], v[31:32], v[8:9]
	global_store_b64 v[15:16], v[8:9], off
	global_store_b8 v[17:18], v10, off
	s_or_b32 exec_lo, exec_lo, s2
	s_and_saveexec_b32 s1, vcc_lo
	s_cbranch_execz .LBB88_7
.LBB88_33:                              ;   in Loop: Header=BB88_8 Depth=1
	v_cvt_f32_u32_e32 v8, v11
	v_add_co_u32 v10, s0, s12, v39
	s_delay_alu instid0(VALU_DEP_1) | instskip(NEXT) | instid1(VALU_DEP_3)
	v_add_co_ci_u32_e64 v11, s0, s13, v40, s0
	v_fmaak_f32 v8, 0x2f800000, v8, 0x2f800000
	v_add_co_u32 v15, s0, s14, v27
	s_delay_alu instid0(VALU_DEP_1) | instskip(NEXT) | instid1(VALU_DEP_3)
	v_add_co_ci_u32_e64 v16, s0, s15, v28, s0
	v_cvt_f64_f32_e32 v[8:9], v8
	s_delay_alu instid0(VALU_DEP_1) | instskip(SKIP_3) | instid1(VALU_DEP_2)
	v_cmp_gt_f64_e32 vcc_lo, s[6:7], v[8:9]
	v_cndmask_b32_e64 v24, 0, 0x3ff00000, vcc_lo
	v_cndmask_b32_e64 v17, 0, 1, vcc_lo
	s_waitcnt vmcnt(0)
	v_mul_f64 v[8:9], v[6:7], v[23:24]
	s_delay_alu instid0(VALU_DEP_1)
	v_mul_f64 v[8:9], v[31:32], v[8:9]
	global_store_b64 v[10:11], v[8:9], off
	global_store_b8 v[15:16], v17, off
	s_branch .LBB88_7
.LBB88_34:
	s_endpgm
.LBB88_35:
                                        ; implicit-def: $sgpr2_sgpr3
	s_branch .LBB88_4
	.section	.rodata,"a",@progbits
	.p2align	6, 0x0
	.amdhsa_kernel _ZN2at6native12_GLOBAL__N_120fused_dropout_kernelIddmLi1ELi1EhEEvNS_4cuda6detail10TensorInfoIKT_T1_EENS5_IS6_S8_EENS5_IT4_S8_EES8_T0_NS_15PhiloxCudaStateE
		.amdhsa_group_segment_fixed_size 0
		.amdhsa_private_segment_fixed_size 0
		.amdhsa_kernarg_size 1552
		.amdhsa_user_sgpr_count 15
		.amdhsa_user_sgpr_dispatch_ptr 0
		.amdhsa_user_sgpr_queue_ptr 0
		.amdhsa_user_sgpr_kernarg_segment_ptr 1
		.amdhsa_user_sgpr_dispatch_id 0
		.amdhsa_user_sgpr_private_segment_size 0
		.amdhsa_wavefront_size32 1
		.amdhsa_uses_dynamic_stack 0
		.amdhsa_enable_private_segment 0
		.amdhsa_system_sgpr_workgroup_id_x 1
		.amdhsa_system_sgpr_workgroup_id_y 0
		.amdhsa_system_sgpr_workgroup_id_z 0
		.amdhsa_system_sgpr_workgroup_info 0
		.amdhsa_system_vgpr_workitem_id 0
		.amdhsa_next_free_vgpr 78
		.amdhsa_next_free_sgpr 28
		.amdhsa_reserve_vcc 1
		.amdhsa_float_round_mode_32 0
		.amdhsa_float_round_mode_16_64 0
		.amdhsa_float_denorm_mode_32 3
		.amdhsa_float_denorm_mode_16_64 3
		.amdhsa_dx10_clamp 1
		.amdhsa_ieee_mode 1
		.amdhsa_fp16_overflow 0
		.amdhsa_workgroup_processor_mode 1
		.amdhsa_memory_ordered 1
		.amdhsa_forward_progress 0
		.amdhsa_shared_vgpr_count 0
		.amdhsa_exception_fp_ieee_invalid_op 0
		.amdhsa_exception_fp_denorm_src 0
		.amdhsa_exception_fp_ieee_div_zero 0
		.amdhsa_exception_fp_ieee_overflow 0
		.amdhsa_exception_fp_ieee_underflow 0
		.amdhsa_exception_fp_ieee_inexact 0
		.amdhsa_exception_int_div_zero 0
	.end_amdhsa_kernel
	.section	.text._ZN2at6native12_GLOBAL__N_120fused_dropout_kernelIddmLi1ELi1EhEEvNS_4cuda6detail10TensorInfoIKT_T1_EENS5_IS6_S8_EENS5_IT4_S8_EES8_T0_NS_15PhiloxCudaStateE,"axG",@progbits,_ZN2at6native12_GLOBAL__N_120fused_dropout_kernelIddmLi1ELi1EhEEvNS_4cuda6detail10TensorInfoIKT_T1_EENS5_IS6_S8_EENS5_IT4_S8_EES8_T0_NS_15PhiloxCudaStateE,comdat
.Lfunc_end88:
	.size	_ZN2at6native12_GLOBAL__N_120fused_dropout_kernelIddmLi1ELi1EhEEvNS_4cuda6detail10TensorInfoIKT_T1_EENS5_IS6_S8_EENS5_IT4_S8_EES8_T0_NS_15PhiloxCudaStateE, .Lfunc_end88-_ZN2at6native12_GLOBAL__N_120fused_dropout_kernelIddmLi1ELi1EhEEvNS_4cuda6detail10TensorInfoIKT_T1_EENS5_IS6_S8_EENS5_IT4_S8_EES8_T0_NS_15PhiloxCudaStateE
                                        ; -- End function
	.section	.AMDGPU.csdata,"",@progbits
; Kernel info:
; codeLenInByte = 3768
; NumSgprs: 30
; NumVgprs: 78
; ScratchSize: 0
; MemoryBound: 0
; FloatMode: 240
; IeeeMode: 1
; LDSByteSize: 0 bytes/workgroup (compile time only)
; SGPRBlocks: 3
; VGPRBlocks: 9
; NumSGPRsForWavesPerEU: 30
; NumVGPRsForWavesPerEU: 78
; Occupancy: 16
; WaveLimiterHint : 1
; COMPUTE_PGM_RSRC2:SCRATCH_EN: 0
; COMPUTE_PGM_RSRC2:USER_SGPR: 15
; COMPUTE_PGM_RSRC2:TRAP_HANDLER: 0
; COMPUTE_PGM_RSRC2:TGID_X_EN: 1
; COMPUTE_PGM_RSRC2:TGID_Y_EN: 0
; COMPUTE_PGM_RSRC2:TGID_Z_EN: 0
; COMPUTE_PGM_RSRC2:TIDIG_COMP_CNT: 0
	.section	.text._ZN2at6native12_GLOBAL__N_120fused_dropout_kernelIddmLin1ELi1EhEEvNS_4cuda6detail10TensorInfoIKT_T1_EENS5_IS6_S8_EENS5_IT4_S8_EES8_T0_NS_15PhiloxCudaStateE,"axG",@progbits,_ZN2at6native12_GLOBAL__N_120fused_dropout_kernelIddmLin1ELi1EhEEvNS_4cuda6detail10TensorInfoIKT_T1_EENS5_IS6_S8_EENS5_IT4_S8_EES8_T0_NS_15PhiloxCudaStateE,comdat
	.globl	_ZN2at6native12_GLOBAL__N_120fused_dropout_kernelIddmLin1ELi1EhEEvNS_4cuda6detail10TensorInfoIKT_T1_EENS5_IS6_S8_EENS5_IT4_S8_EES8_T0_NS_15PhiloxCudaStateE ; -- Begin function _ZN2at6native12_GLOBAL__N_120fused_dropout_kernelIddmLin1ELi1EhEEvNS_4cuda6detail10TensorInfoIKT_T1_EENS5_IS6_S8_EENS5_IT4_S8_EES8_T0_NS_15PhiloxCudaStateE
	.p2align	8
	.type	_ZN2at6native12_GLOBAL__N_120fused_dropout_kernelIddmLin1ELi1EhEEvNS_4cuda6detail10TensorInfoIKT_T1_EENS5_IS6_S8_EENS5_IT4_S8_EES8_T0_NS_15PhiloxCudaStateE,@function
_ZN2at6native12_GLOBAL__N_120fused_dropout_kernelIddmLin1ELi1EhEEvNS_4cuda6detail10TensorInfoIKT_T1_EENS5_IS6_S8_EENS5_IT4_S8_EES8_T0_NS_15PhiloxCudaStateE: ; @_ZN2at6native12_GLOBAL__N_120fused_dropout_kernelIddmLin1ELi1EhEEvNS_4cuda6detail10TensorInfoIKT_T1_EENS5_IS6_S8_EENS5_IT4_S8_EES8_T0_NS_15PhiloxCudaStateE
; %bb.0:
	s_clause 0x1
	s_load_b256 s[16:23], s[0:1], 0x4e0
	s_load_b32 s2, s[0:1], 0x508
	s_waitcnt lgkmcnt(0)
	v_dual_mov_b32 v1, s22 :: v_dual_mov_b32 v2, s23
	v_dual_mov_b32 v19, s20 :: v_dual_mov_b32 v20, s21
	s_bitcmp0_b32 s2, 0
	s_mov_b32 s2, 0
	s_cbranch_scc1 .LBB89_2
; %bb.1:
	v_dual_mov_b32 v1, s22 :: v_dual_mov_b32 v2, s23
	v_dual_mov_b32 v3, s20 :: v_dual_mov_b32 v4, s21
	s_load_b64 s[4:5], s[0:1], 0x500
	flat_load_b64 v[1:2], v[1:2]
	flat_load_b64 v[19:20], v[3:4]
	s_waitcnt vmcnt(1) lgkmcnt(0)
	v_add_co_u32 v1, vcc_lo, v1, s4
	v_add_co_ci_u32_e32 v2, vcc_lo, s5, v2, vcc_lo
.LBB89_2:
	s_clause 0x1
	s_load_b32 s3, s[0:1], 0x51c
	s_load_b32 s4, s[0:1], 0x510
	s_waitcnt lgkmcnt(0)
	s_and_b32 s5, s3, 0xffff
	s_add_u32 s6, s16, -1
	s_mul_i32 s28, s4, s5
	s_addc_u32 s3, s17, -1
	s_lshl_b32 s29, s28, 2
	s_cmp_lg_u64 s[2:3], 0
	s_cbranch_scc0 .LBB89_63
; %bb.3:
	v_cvt_f32_u32_e32 v3, s29
	s_sub_u32 s8, 0, s29
	s_subb_u32 s9, 0, 0
	s_delay_alu instid0(VALU_DEP_1) | instskip(NEXT) | instid1(VALU_DEP_1)
	v_fmamk_f32 v3, 0, 0x4f800000, v3
	v_rcp_f32_e32 v3, v3
	s_waitcnt_depctr 0xfff
	v_mul_f32_e32 v3, 0x5f7ffffc, v3
	s_delay_alu instid0(VALU_DEP_1) | instskip(NEXT) | instid1(VALU_DEP_1)
	v_mul_f32_e32 v4, 0x2f800000, v3
	v_trunc_f32_e32 v4, v4
	s_delay_alu instid0(VALU_DEP_1) | instskip(SKIP_1) | instid1(VALU_DEP_2)
	v_fmamk_f32 v3, v4, 0xcf800000, v3
	v_cvt_u32_f32_e32 v4, v4
	v_cvt_u32_f32_e32 v3, v3
	s_delay_alu instid0(VALU_DEP_2) | instskip(NEXT) | instid1(VALU_DEP_2)
	v_readfirstlane_b32 s2, v4
	v_readfirstlane_b32 s7, v3
	s_delay_alu instid0(VALU_DEP_2) | instskip(NEXT) | instid1(VALU_DEP_1)
	s_mul_i32 s10, s8, s2
	s_mul_hi_u32 s12, s8, s7
	s_mul_i32 s11, s9, s7
	s_add_i32 s10, s12, s10
	s_mul_i32 s13, s8, s7
	s_add_i32 s10, s10, s11
	s_mul_hi_u32 s12, s7, s13
	s_mul_hi_u32 s14, s2, s13
	s_mul_i32 s11, s2, s13
	s_mul_hi_u32 s13, s7, s10
	s_mul_i32 s7, s7, s10
	s_mul_hi_u32 s20, s2, s10
	s_add_u32 s7, s12, s7
	s_addc_u32 s12, 0, s13
	s_add_u32 s7, s7, s11
	s_mul_i32 s10, s2, s10
	s_addc_u32 s7, s12, s14
	s_addc_u32 s11, s20, 0
	s_add_u32 s7, s7, s10
	s_addc_u32 s10, 0, s11
	v_add_co_u32 v3, s7, v3, s7
	s_delay_alu instid0(VALU_DEP_1) | instskip(SKIP_1) | instid1(VALU_DEP_1)
	s_cmp_lg_u32 s7, 0
	s_addc_u32 s2, s2, s10
	v_readfirstlane_b32 s7, v3
	s_mul_i32 s10, s8, s2
	s_delay_alu instid0(VALU_DEP_1)
	s_mul_hi_u32 s11, s8, s7
	s_mul_i32 s9, s9, s7
	s_add_i32 s10, s11, s10
	s_mul_i32 s8, s8, s7
	s_add_i32 s10, s10, s9
	s_mul_hi_u32 s11, s2, s8
	s_mul_i32 s12, s2, s8
	s_mul_hi_u32 s8, s7, s8
	s_mul_hi_u32 s13, s7, s10
	s_mul_i32 s7, s7, s10
	s_mul_hi_u32 s9, s2, s10
	s_add_u32 s7, s8, s7
	s_addc_u32 s8, 0, s13
	s_add_u32 s7, s7, s12
	s_mul_i32 s10, s2, s10
	s_addc_u32 s7, s8, s11
	s_addc_u32 s8, s9, 0
	s_add_u32 s7, s7, s10
	s_addc_u32 s8, 0, s8
	v_add_co_u32 v3, s7, v3, s7
	s_delay_alu instid0(VALU_DEP_1) | instskip(SKIP_1) | instid1(VALU_DEP_1)
	s_cmp_lg_u32 s7, 0
	s_addc_u32 s2, s2, s8
	v_readfirstlane_b32 s7, v3
	s_mul_i32 s9, s6, s2
	s_mul_hi_u32 s8, s6, s2
	s_mul_hi_u32 s10, s3, s2
	s_mul_i32 s2, s3, s2
	s_mul_hi_u32 s11, s6, s7
	s_mul_hi_u32 s12, s3, s7
	s_mul_i32 s7, s3, s7
	s_add_u32 s9, s11, s9
	s_addc_u32 s8, 0, s8
	s_add_u32 s7, s9, s7
	s_addc_u32 s7, s8, s12
	s_addc_u32 s8, s10, 0
	s_add_u32 s2, s7, s2
	s_addc_u32 s8, 0, s8
	s_mul_i32 s9, s29, s2
	s_add_u32 s7, s2, 1
	v_sub_co_u32 v3, s9, s6, s9
	s_mul_hi_u32 s10, s29, s2
	s_addc_u32 s11, s8, 0
	s_mul_i32 s12, s29, s8
	s_delay_alu instid0(VALU_DEP_1)
	v_sub_co_u32 v4, s13, v3, s29
	s_add_u32 s14, s2, 2
	s_addc_u32 s20, s8, 0
	s_add_i32 s10, s10, s12
	s_cmp_lg_u32 s9, 0
	v_readfirstlane_b32 s9, v4
	s_subb_u32 s3, s3, s10
	s_cmp_lg_u32 s13, 0
	s_subb_u32 s10, s3, 0
	s_delay_alu instid0(VALU_DEP_1) | instskip(SKIP_4) | instid1(SALU_CYCLE_1)
	s_cmp_ge_u32 s9, s29
	s_cselect_b32 s9, -1, 0
	s_cmp_eq_u32 s10, 0
	v_readfirstlane_b32 s10, v3
	s_cselect_b32 s9, s9, -1
	s_cmp_lg_u32 s9, 0
	s_cselect_b32 s9, s14, s7
	s_cselect_b32 s11, s20, s11
	s_cmp_ge_u32 s10, s29
	s_cselect_b32 s7, -1, 0
	s_cmp_eq_u32 s3, 0
	s_cselect_b32 s3, s7, -1
	s_delay_alu instid0(SALU_CYCLE_1)
	s_cmp_lg_u32 s3, 0
	s_cselect_b32 s3, s11, s8
	s_cselect_b32 s2, s9, s2
	s_cbranch_execnz .LBB89_5
.LBB89_4:
	v_cvt_f32_u32_e32 v3, s29
	s_sub_i32 s3, 0, s29
	s_delay_alu instid0(VALU_DEP_1) | instskip(SKIP_2) | instid1(VALU_DEP_1)
	v_rcp_iflag_f32_e32 v3, v3
	s_waitcnt_depctr 0xfff
	v_mul_f32_e32 v3, 0x4f7ffffe, v3
	v_cvt_u32_f32_e32 v3, v3
	s_delay_alu instid0(VALU_DEP_1) | instskip(NEXT) | instid1(VALU_DEP_1)
	v_readfirstlane_b32 s2, v3
	s_mul_i32 s3, s3, s2
	s_delay_alu instid0(SALU_CYCLE_1) | instskip(NEXT) | instid1(SALU_CYCLE_1)
	s_mul_hi_u32 s3, s2, s3
	s_add_i32 s2, s2, s3
	s_delay_alu instid0(SALU_CYCLE_1) | instskip(NEXT) | instid1(SALU_CYCLE_1)
	s_mul_hi_u32 s2, s6, s2
	s_mul_i32 s3, s2, s29
	s_delay_alu instid0(SALU_CYCLE_1)
	s_sub_i32 s3, s6, s3
	s_add_i32 s6, s2, 1
	s_sub_i32 s7, s3, s29
	s_cmp_ge_u32 s3, s29
	s_cselect_b32 s2, s6, s2
	s_cselect_b32 s3, s7, s3
	s_add_i32 s6, s2, 1
	s_cmp_ge_u32 s3, s29
	s_mov_b32 s3, 0
	s_cselect_b32 s2, s6, s2
.LBB89_5:
	s_delay_alu instid0(SALU_CYCLE_1)
	s_add_u32 s2, s2, 1
	s_addc_u32 s3, s3, 0
	v_mov_b32_e32 v23, 0
	v_mad_u64_u32 v[21:22], null, s15, s5, v[0:1]
	s_mul_i32 s3, s28, s3
	s_mul_hi_u32 s6, s28, s2
	s_mul_hi_u32 s4, s4, s5
	s_add_i32 s3, s6, s3
	s_mul_i32 s4, s4, s2
	v_mov_b32_e32 v22, v23
	s_add_i32 s3, s3, s4
	s_mul_i32 s2, s28, s2
	s_delay_alu instid0(SALU_CYCLE_1)
	s_lshl_b64 s[6:7], s[2:3], 2
	s_mov_b32 s2, exec_lo
	v_cmpx_gt_u64_e64 s[6:7], v[21:22]
	s_cbranch_execz .LBB89_62
; %bb.6:
	v_div_scale_f64 v[3:4], null, s[18:19], s[18:19], 1.0
	v_div_scale_f64 v[9:10], vcc_lo, 1.0, s[18:19], 1.0
	v_alignbit_b32 v36, v2, v1, 2
	v_lshrrev_b32_e32 v37, 2, v2
	s_waitcnt vmcnt(0)
	v_add_co_u32 v39, null, 0x9e3779b9, v19
	v_dual_mov_b32 v24, v20 :: v_dual_add_nc_u32 v55, 0x96a522ad, v20
	v_mad_u64_u32 v[13:14], null, 0xd2511f53, v36, 0
	v_add_co_u32 v40, null, 0x3c6ef372, v19
	s_delay_alu instid0(VALU_DEP_3) | instskip(SKIP_1) | instid1(VALU_DEP_4)
	v_add_co_u32 v38, null, 0xbb67ae85, v24
	v_add_co_u32 v41, null, 0x76cf5d0a, v24
	v_xor_b32_e32 v2, v14, v20
	v_add_co_u32 v42, null, 0x32370b8f, v24
	v_add_co_u32 v43, null, 0xdaa66d2b, v19
	s_delay_alu instid0(VALU_DEP_3)
	v_mad_u64_u32 v[16:17], null, 0xcd9e8d57, v2, 0
	v_add_co_u32 v44, null, 0x78dde6e4, v19
	v_add_co_u32 v45, null, 0xed9eba14, v24
	;; [unrolled: 1-line block ×7, first 2 shown]
	v_rcp_f64_e32 v[5:6], v[3:4]
	v_add_co_u32 v51, null, 0x5384540f, v19
	s_clause 0x1
	s_load_b32 s22, s[0:1], 0x198
	s_load_b64 s[8:9], s[0:1], 0x1a0
	v_add_co_u32 v52, null, 0xdb3d7428, v24
	v_add_co_u32 v53, null, 0xf1bbcdc8, v19
	s_clause 0x3
	s_load_b64 s[10:11], s[0:1], 0x270
	s_load_b64 s[12:13], s[0:1], 0x340
	;; [unrolled: 1-line block ×4, first 2 shown]
	s_mov_b32 s5, 0
	v_mov_b32_e32 v28, v22
	v_dual_mov_b32 v27, v21 :: v_dual_and_b32 v56, 3, v1
	v_mov_b32_e32 v22, 0
	s_mul_i32 s33, s28, 3
	s_waitcnt lgkmcnt(0)
	s_cmp_gt_i32 s22, 1
	s_cselect_b32 s30, -1, 0
	s_add_i32 s4, s22, -1
	s_lshl_b32 s31, s28, 1
	s_lshl_b64 s[2:3], s[4:5], 3
	s_add_i32 s34, s22, 1
	s_add_u32 s0, s2, s0
	s_addc_u32 s1, s3, s1
	s_add_u32 s22, s0, 8
	s_addc_u32 s23, s1, 0
	s_delay_alu instid0(TRANS32_DEP_1) | instskip(NEXT) | instid1(VALU_DEP_1)
	v_fma_f64 v[7:8], -v[3:4], v[5:6], 1.0
	v_fma_f64 v[5:6], v[5:6], v[7:8], v[5:6]
	s_delay_alu instid0(VALU_DEP_1) | instskip(NEXT) | instid1(VALU_DEP_1)
	v_fma_f64 v[7:8], -v[3:4], v[5:6], 1.0
	v_fma_f64 v[5:6], v[5:6], v[7:8], v[5:6]
	v_mad_u64_u32 v[7:8], null, 0xcd9e8d57, v21, 0
	s_delay_alu instid0(VALU_DEP_1) | instskip(NEXT) | instid1(VALU_DEP_2)
	v_xor3_b32 v0, v19, v8, v37
	v_xor3_b32 v2, v17, v39, v7
	s_delay_alu instid0(VALU_DEP_2) | instskip(NEXT) | instid1(VALU_DEP_2)
	v_mad_u64_u32 v[14:15], null, 0xd2511f53, v0, 0
	v_mad_u64_u32 v[17:18], null, 0xd2511f53, v2, 0
	s_delay_alu instid0(VALU_DEP_2) | instskip(NEXT) | instid1(VALU_DEP_2)
	v_xor3_b32 v0, v38, v15, v13
	v_xor3_b32 v15, v18, v41, v14
	s_delay_alu instid0(VALU_DEP_2) | instskip(NEXT) | instid1(VALU_DEP_2)
	v_mad_u64_u32 v[7:8], null, 0xcd9e8d57, v0, 0
	v_mad_u64_u32 v[13:14], null, 0xcd9e8d57, v15, 0
	s_delay_alu instid0(VALU_DEP_2) | instskip(SKIP_1) | instid1(VALU_DEP_1)
	v_xor3_b32 v0, v40, v8, v16
	v_mul_f64 v[11:12], v[9:10], v[5:6]
	v_fma_f64 v[2:3], -v[3:4], v[11:12], v[9:10]
	s_delay_alu instid0(VALU_DEP_3) | instskip(SKIP_1) | instid1(VALU_DEP_1)
	v_mad_u64_u32 v[8:9], null, 0xd2511f53, v0, 0
	v_xor3_b32 v4, v14, v43, v7
	v_mad_u64_u32 v[14:15], null, 0xd2511f53, v4, 0
	s_delay_alu instid0(VALU_DEP_3) | instskip(NEXT) | instid1(VALU_DEP_1)
	v_xor3_b32 v0, v42, v9, v17
	v_mad_u64_u32 v[9:10], null, 0xcd9e8d57, v0, 0
	s_delay_alu instid0(VALU_DEP_3) | instskip(NEXT) | instid1(VALU_DEP_1)
	;; [unrolled: 3-line block ×3, first 2 shown]
	v_xor3_b32 v0, v44, v10, v13
	v_mad_u64_u32 v[7:8], null, 0xd2511f53, v0, 0
	s_delay_alu instid0(VALU_DEP_1) | instskip(SKIP_2) | instid1(VALU_DEP_3)
	v_xor3_b32 v0, v47, v8, v14
	v_div_fmas_f64 v[2:3], v[2:3], v[5:6], v[11:12]
	v_xor3_b32 v6, v16, v46, v9
	v_mad_u64_u32 v[4:5], null, 0xcd9e8d57, v0, 0
	s_delay_alu instid0(VALU_DEP_2) | instskip(NEXT) | instid1(VALU_DEP_2)
	v_mad_u64_u32 v[8:9], null, 0xd2511f53, v6, 0
	v_xor3_b32 v0, v48, v5, v15
	s_delay_alu instid0(VALU_DEP_2) | instskip(NEXT) | instid1(VALU_DEP_2)
	v_xor3_b32 v7, v9, v49, v7
	v_mad_u64_u32 v[5:6], null, 0xd2511f53, v0, 0
	s_delay_alu instid0(VALU_DEP_2) | instskip(NEXT) | instid1(VALU_DEP_2)
	v_mad_u64_u32 v[9:10], null, 0xcd9e8d57, v7, 0
	v_xor3_b32 v0, v50, v6, v8
	s_delay_alu instid0(VALU_DEP_2) | instskip(NEXT) | instid1(VALU_DEP_2)
	v_xor3_b32 v4, v10, v51, v4
	v_mad_u64_u32 v[6:7], null, 0xcd9e8d57, v0, 0
	s_delay_alu instid0(VALU_DEP_2) | instskip(NEXT) | instid1(VALU_DEP_2)
	v_mad_u64_u32 v[11:12], null, 0xd2511f53, v4, 0
	v_xor3_b32 v4, v53, v7, v9
	v_div_fixup_f64 v[25:26], v[2:3], s[18:19], 1.0
	s_delay_alu instid0(VALU_DEP_3) | instskip(NEXT) | instid1(VALU_DEP_3)
	v_xor3_b32 v0, v12, v52, v5
	v_mad_u64_u32 v[2:3], null, 0xd2511f53, v4, 0
	s_delay_alu instid0(VALU_DEP_2) | instskip(SKIP_1) | instid1(VALU_DEP_1)
	v_mad_u64_u32 v[9:10], null, 0xcd9e8d57, v0, 0
	v_add_nc_u32_e32 v54, 0x8ff34781, v19
	v_xor3_b32 v8, v6, v10, v54
	s_delay_alu instid0(VALU_DEP_4)
	v_xor3_b32 v10, v3, v11, v55
	v_mov_b32_e32 v11, v2
                                        ; implicit-def: $vgpr0_vgpr1_vgpr2_vgpr3_vgpr4_vgpr5_vgpr6_vgpr7
	s_branch .LBB89_8
.LBB89_7:                               ;   in Loop: Header=BB89_8 Depth=1
	s_or_b32 exec_lo, exec_lo, s1
	v_add_co_u32 v27, vcc_lo, v27, s29
	v_add_co_ci_u32_e32 v28, vcc_lo, 0, v28, vcc_lo
	v_mov_b32_e32 v15, v29
	v_dual_mov_b32 v8, v12 :: v_dual_mov_b32 v9, v13
	s_delay_alu instid0(VALU_DEP_3) | instskip(NEXT) | instid1(VALU_DEP_3)
	v_cmp_le_u64_e32 vcc_lo, s[6:7], v[27:28]
	v_dual_mov_b32 v10, v14 :: v_dual_mov_b32 v11, v15
	s_waitcnt vmcnt(0)
	s_waitcnt_vscnt null, 0x0
	s_barrier
	buffer_gl0_inv
	s_or_b32 s5, vcc_lo, s5
	s_delay_alu instid0(SALU_CYCLE_1)
	s_and_not1_b32 exec_lo, exec_lo, s5
	s_cbranch_execz .LBB89_62
.LBB89_8:                               ; =>This Loop Header: Depth=1
                                        ;     Child Loop BB89_20 Depth 2
                                        ;     Child Loop BB89_29 Depth 2
	;; [unrolled: 1-line block ×4, first 2 shown]
	v_add_co_u32 v36, vcc_lo, v36, 1
	s_delay_alu instid0(VALU_DEP_1) | instskip(SKIP_2) | instid1(VALU_DEP_1)
	v_cndmask_b32_e64 v12, 0, 1, vcc_lo
	v_add_co_ci_u32_e32 v37, vcc_lo, 0, v37, vcc_lo
	s_mov_b32 s0, exec_lo
	v_cmp_eq_u32_e32 vcc_lo, 0, v37
	s_delay_alu instid0(VALU_DEP_3) | instskip(NEXT) | instid1(VALU_DEP_1)
	v_cndmask_b32_e32 v12, 0, v12, vcc_lo
	v_add_nc_u32_e32 v21, v12, v21
	s_delay_alu instid0(VALU_DEP_1) | instskip(SKIP_2) | instid1(VALU_DEP_2)
	v_cmp_eq_u32_e32 vcc_lo, 0, v21
	v_cndmask_b32_e32 v12, 0, v12, vcc_lo
	v_mad_u64_u32 v[14:15], null, 0xcd9e8d57, v21, 0
	v_add_nc_u32_e32 v22, v12, v22
	v_mad_u64_u32 v[12:13], null, 0xd2511f53, v36, 0
	s_delay_alu instid0(VALU_DEP_3) | instskip(NEXT) | instid1(VALU_DEP_2)
	v_xor3_b32 v17, v15, v19, v37
	v_xor_b32_e32 v13, v13, v20
	s_delay_alu instid0(VALU_DEP_2) | instskip(NEXT) | instid1(VALU_DEP_2)
	v_mad_u64_u32 v[15:16], null, 0xd2511f53, v17, 0
	v_xor_b32_e32 v13, v22, v13
	s_delay_alu instid0(VALU_DEP_2) | instskip(NEXT) | instid1(VALU_DEP_2)
	v_xor3_b32 v16, v38, v16, v12
	v_mad_u64_u32 v[17:18], null, 0xcd9e8d57, v13, 0
	s_delay_alu instid0(VALU_DEP_2) | instskip(NEXT) | instid1(VALU_DEP_2)
	v_mad_u64_u32 v[12:13], null, 0xcd9e8d57, v16, 0
	v_xor3_b32 v14, v39, v18, v14
	s_delay_alu instid0(VALU_DEP_2) | instskip(NEXT) | instid1(VALU_DEP_2)
	v_xor3_b32 v16, v40, v13, v17
	v_mad_u64_u32 v[29:30], null, 0xd2511f53, v14, 0
	s_delay_alu instid0(VALU_DEP_2) | instskip(NEXT) | instid1(VALU_DEP_2)
	v_mad_u64_u32 v[13:14], null, 0xd2511f53, v16, 0
	v_xor3_b32 v17, v41, v30, v15
	s_delay_alu instid0(VALU_DEP_2) | instskip(NEXT) | instid1(VALU_DEP_2)
	v_xor3_b32 v14, v42, v14, v29
	v_mad_u64_u32 v[15:16], null, 0xcd9e8d57, v17, 0
	s_delay_alu instid0(VALU_DEP_1) | instskip(NEXT) | instid1(VALU_DEP_3)
	v_xor3_b32 v12, v43, v16, v12
	v_mad_u64_u32 v[16:17], null, 0xcd9e8d57, v14, 0
	s_delay_alu instid0(VALU_DEP_2) | instskip(NEXT) | instid1(VALU_DEP_2)
	v_mad_u64_u32 v[29:30], null, 0xd2511f53, v12, 0
	v_xor3_b32 v14, v44, v17, v15
	s_delay_alu instid0(VALU_DEP_2) | instskip(NEXT) | instid1(VALU_DEP_2)
	v_xor3_b32 v17, v45, v30, v13
	v_mad_u64_u32 v[12:13], null, 0xd2511f53, v14, 0
	s_delay_alu instid0(VALU_DEP_2) | instskip(NEXT) | instid1(VALU_DEP_2)
	v_mad_u64_u32 v[14:15], null, 0xcd9e8d57, v17, 0
	v_xor3_b32 v13, v47, v13, v29
	s_delay_alu instid0(VALU_DEP_2) | instskip(NEXT) | instid1(VALU_DEP_2)
	;; [unrolled: 6-line block ×6, first 2 shown]
	v_xor3_b32 v12, v14, v15, v54
	v_mov_b32_e32 v14, v18
	v_cmpx_lt_i32_e32 1, v56
	s_xor_b32 s0, exec_lo, s0
	s_cbranch_execnz .LBB89_11
; %bb.9:                                ;   in Loop: Header=BB89_8 Depth=1
	s_and_not1_saveexec_b32 s0, s0
	s_cbranch_execnz .LBB89_16
.LBB89_10:                              ;   in Loop: Header=BB89_8 Depth=1
	s_or_b32 exec_lo, exec_lo, s0
	v_cmp_gt_u64_e64 s0, s[16:17], v[27:28]
	s_delay_alu instid0(VALU_DEP_1)
	s_and_saveexec_b32 s4, s0
	s_cbranch_execnz .LBB89_19
	s_branch .LBB89_27
.LBB89_11:                              ;   in Loop: Header=BB89_8 Depth=1
	s_mov_b32 s1, exec_lo
	v_cmpx_lt_i32_e32 2, v56
	s_xor_b32 s1, exec_lo, s1
; %bb.12:                               ;   in Loop: Header=BB89_8 Depth=1
	v_dual_mov_b32 v15, v11 :: v_dual_mov_b32 v16, v12
	v_mov_b32_e32 v17, v13
	s_delay_alu instid0(VALU_DEP_2) | instskip(NEXT) | instid1(VALU_DEP_2)
	v_dual_mov_b32 v8, v15 :: v_dual_mov_b32 v9, v16
	v_dual_mov_b32 v10, v17 :: v_dual_mov_b32 v11, v18
; %bb.13:                               ;   in Loop: Header=BB89_8 Depth=1
	s_and_not1_saveexec_b32 s1, s1
; %bb.14:                               ;   in Loop: Header=BB89_8 Depth=1
	s_delay_alu instid0(VALU_DEP_1)
	v_dual_mov_b32 v8, v10 :: v_dual_mov_b32 v9, v11
	v_dual_mov_b32 v10, v12 :: v_dual_mov_b32 v11, v13
; %bb.15:                               ;   in Loop: Header=BB89_8 Depth=1
	s_or_b32 exec_lo, exec_lo, s1
	s_and_not1_saveexec_b32 s0, s0
	s_cbranch_execz .LBB89_10
.LBB89_16:                              ;   in Loop: Header=BB89_8 Depth=1
	s_mov_b32 s1, exec_lo
	v_cmpx_eq_u32_e32 1, v56
; %bb.17:                               ;   in Loop: Header=BB89_8 Depth=1
	v_dual_mov_b32 v8, v9 :: v_dual_mov_b32 v9, v10
	v_dual_mov_b32 v10, v11 :: v_dual_mov_b32 v11, v12
; %bb.18:                               ;   in Loop: Header=BB89_8 Depth=1
	s_or_b32 exec_lo, exec_lo, s1
	s_delay_alu instid0(SALU_CYCLE_1) | instskip(SKIP_1) | instid1(VALU_DEP_1)
	s_or_b32 exec_lo, exec_lo, s0
	v_cmp_gt_u64_e64 s0, s[16:17], v[27:28]
	s_and_saveexec_b32 s4, s0
	s_cbranch_execz .LBB89_27
.LBB89_19:                              ;   in Loop: Header=BB89_8 Depth=1
	v_dual_mov_b32 v0, 0 :: v_dual_mov_b32 v15, v27
	v_dual_mov_b32 v1, 0 :: v_dual_mov_b32 v16, v28
	v_dual_mov_b32 v17, v27 :: v_dual_mov_b32 v18, v28
	s_and_not1_b32 vcc_lo, exec_lo, s30
	s_mov_b64 s[2:3], s[22:23]
	s_mov_b32 s26, s34
	s_cbranch_vccnz .LBB89_26
.LBB89_20:                              ;   Parent Loop BB89_8 Depth=1
                                        ; =>  This Inner Loop Header: Depth=2
	s_load_b64 s[24:25], s[2:3], 0x0
                                        ; implicit-def: $vgpr17_vgpr18
	s_mov_b32 s1, exec_lo
	s_waitcnt lgkmcnt(0)
	v_or_b32_e32 v24, s25, v16
	s_delay_alu instid0(VALU_DEP_1)
	v_cmpx_ne_u64_e32 0, v[23:24]
	s_xor_b32 s27, exec_lo, s1
	s_cbranch_execz .LBB89_22
; %bb.21:                               ;   in Loop: Header=BB89_20 Depth=2
	v_cvt_f32_u32_e32 v17, s24
	v_cvt_f32_u32_e32 v18, s25
	s_sub_u32 s1, 0, s24
	s_subb_u32 s35, 0, s25
	s_delay_alu instid0(VALU_DEP_1) | instskip(NEXT) | instid1(VALU_DEP_1)
	v_fmac_f32_e32 v17, 0x4f800000, v18
	v_rcp_f32_e32 v17, v17
	s_waitcnt_depctr 0xfff
	v_mul_f32_e32 v17, 0x5f7ffffc, v17
	s_delay_alu instid0(VALU_DEP_1) | instskip(NEXT) | instid1(VALU_DEP_1)
	v_mul_f32_e32 v18, 0x2f800000, v17
	v_trunc_f32_e32 v18, v18
	s_delay_alu instid0(VALU_DEP_1) | instskip(SKIP_1) | instid1(VALU_DEP_2)
	v_fmac_f32_e32 v17, 0xcf800000, v18
	v_cvt_u32_f32_e32 v18, v18
	v_cvt_u32_f32_e32 v17, v17
	s_delay_alu instid0(VALU_DEP_2) | instskip(NEXT) | instid1(VALU_DEP_2)
	v_mul_lo_u32 v24, s1, v18
	v_mul_hi_u32 v30, s1, v17
	v_mul_lo_u32 v31, s35, v17
	s_delay_alu instid0(VALU_DEP_2) | instskip(SKIP_1) | instid1(VALU_DEP_2)
	v_add_nc_u32_e32 v24, v30, v24
	v_mul_lo_u32 v30, s1, v17
	v_add_nc_u32_e32 v24, v24, v31
	s_delay_alu instid0(VALU_DEP_2) | instskip(NEXT) | instid1(VALU_DEP_2)
	v_mul_hi_u32 v31, v17, v30
	v_mul_lo_u32 v32, v17, v24
	v_mul_hi_u32 v33, v17, v24
	v_mul_hi_u32 v34, v18, v30
	v_mul_lo_u32 v30, v18, v30
	v_mul_hi_u32 v35, v18, v24
	v_mul_lo_u32 v24, v18, v24
	v_add_co_u32 v31, vcc_lo, v31, v32
	v_add_co_ci_u32_e32 v32, vcc_lo, 0, v33, vcc_lo
	s_delay_alu instid0(VALU_DEP_2) | instskip(NEXT) | instid1(VALU_DEP_2)
	v_add_co_u32 v30, vcc_lo, v31, v30
	v_add_co_ci_u32_e32 v30, vcc_lo, v32, v34, vcc_lo
	v_add_co_ci_u32_e32 v31, vcc_lo, 0, v35, vcc_lo
	s_delay_alu instid0(VALU_DEP_2) | instskip(NEXT) | instid1(VALU_DEP_2)
	v_add_co_u32 v24, vcc_lo, v30, v24
	v_add_co_ci_u32_e32 v30, vcc_lo, 0, v31, vcc_lo
	s_delay_alu instid0(VALU_DEP_2) | instskip(NEXT) | instid1(VALU_DEP_2)
	v_add_co_u32 v17, vcc_lo, v17, v24
	v_add_co_ci_u32_e32 v18, vcc_lo, v18, v30, vcc_lo
	s_delay_alu instid0(VALU_DEP_2) | instskip(SKIP_1) | instid1(VALU_DEP_3)
	v_mul_hi_u32 v24, s1, v17
	v_mul_lo_u32 v31, s35, v17
	v_mul_lo_u32 v30, s1, v18
	s_delay_alu instid0(VALU_DEP_1) | instskip(SKIP_1) | instid1(VALU_DEP_2)
	v_add_nc_u32_e32 v24, v24, v30
	v_mul_lo_u32 v30, s1, v17
	v_add_nc_u32_e32 v24, v24, v31
	s_delay_alu instid0(VALU_DEP_2) | instskip(NEXT) | instid1(VALU_DEP_2)
	v_mul_hi_u32 v31, v17, v30
	v_mul_lo_u32 v32, v17, v24
	v_mul_hi_u32 v33, v17, v24
	v_mul_hi_u32 v34, v18, v30
	v_mul_lo_u32 v30, v18, v30
	v_mul_hi_u32 v35, v18, v24
	v_mul_lo_u32 v24, v18, v24
	v_add_co_u32 v31, vcc_lo, v31, v32
	v_add_co_ci_u32_e32 v32, vcc_lo, 0, v33, vcc_lo
	s_delay_alu instid0(VALU_DEP_2) | instskip(NEXT) | instid1(VALU_DEP_2)
	v_add_co_u32 v30, vcc_lo, v31, v30
	v_add_co_ci_u32_e32 v30, vcc_lo, v32, v34, vcc_lo
	v_add_co_ci_u32_e32 v31, vcc_lo, 0, v35, vcc_lo
	s_delay_alu instid0(VALU_DEP_2) | instskip(NEXT) | instid1(VALU_DEP_2)
	v_add_co_u32 v24, vcc_lo, v30, v24
	v_add_co_ci_u32_e32 v30, vcc_lo, 0, v31, vcc_lo
	s_delay_alu instid0(VALU_DEP_2) | instskip(NEXT) | instid1(VALU_DEP_2)
	v_add_co_u32 v24, vcc_lo, v17, v24
	v_add_co_ci_u32_e32 v34, vcc_lo, v18, v30, vcc_lo
	s_delay_alu instid0(VALU_DEP_2) | instskip(SKIP_1) | instid1(VALU_DEP_3)
	v_mul_hi_u32 v35, v15, v24
	v_mad_u64_u32 v[30:31], null, v16, v24, 0
	v_mad_u64_u32 v[17:18], null, v15, v34, 0
	;; [unrolled: 1-line block ×3, first 2 shown]
	s_delay_alu instid0(VALU_DEP_2) | instskip(NEXT) | instid1(VALU_DEP_3)
	v_add_co_u32 v17, vcc_lo, v35, v17
	v_add_co_ci_u32_e32 v18, vcc_lo, 0, v18, vcc_lo
	s_delay_alu instid0(VALU_DEP_2) | instskip(NEXT) | instid1(VALU_DEP_2)
	v_add_co_u32 v17, vcc_lo, v17, v30
	v_add_co_ci_u32_e32 v17, vcc_lo, v18, v31, vcc_lo
	v_add_co_ci_u32_e32 v18, vcc_lo, 0, v33, vcc_lo
	s_delay_alu instid0(VALU_DEP_2) | instskip(NEXT) | instid1(VALU_DEP_2)
	v_add_co_u32 v24, vcc_lo, v17, v32
	v_add_co_ci_u32_e32 v30, vcc_lo, 0, v18, vcc_lo
	s_delay_alu instid0(VALU_DEP_2) | instskip(SKIP_1) | instid1(VALU_DEP_3)
	v_mul_lo_u32 v31, s25, v24
	v_mad_u64_u32 v[17:18], null, s24, v24, 0
	v_mul_lo_u32 v32, s24, v30
	s_delay_alu instid0(VALU_DEP_2) | instskip(NEXT) | instid1(VALU_DEP_2)
	v_sub_co_u32 v17, vcc_lo, v15, v17
	v_add3_u32 v18, v18, v32, v31
	s_delay_alu instid0(VALU_DEP_1) | instskip(NEXT) | instid1(VALU_DEP_1)
	v_sub_nc_u32_e32 v31, v16, v18
	v_subrev_co_ci_u32_e64 v31, s1, s25, v31, vcc_lo
	v_add_co_u32 v32, s1, v24, 2
	s_delay_alu instid0(VALU_DEP_1) | instskip(SKIP_3) | instid1(VALU_DEP_3)
	v_add_co_ci_u32_e64 v33, s1, 0, v30, s1
	v_sub_co_u32 v34, s1, v17, s24
	v_sub_co_ci_u32_e32 v18, vcc_lo, v16, v18, vcc_lo
	v_subrev_co_ci_u32_e64 v31, s1, 0, v31, s1
	v_cmp_le_u32_e32 vcc_lo, s24, v34
	s_delay_alu instid0(VALU_DEP_3) | instskip(SKIP_1) | instid1(VALU_DEP_4)
	v_cmp_eq_u32_e64 s1, s25, v18
	v_cndmask_b32_e64 v34, 0, -1, vcc_lo
	v_cmp_le_u32_e32 vcc_lo, s25, v31
	v_cndmask_b32_e64 v35, 0, -1, vcc_lo
	v_cmp_le_u32_e32 vcc_lo, s24, v17
	;; [unrolled: 2-line block ×3, first 2 shown]
	v_cndmask_b32_e64 v57, 0, -1, vcc_lo
	v_cmp_eq_u32_e32 vcc_lo, s25, v31
	s_delay_alu instid0(VALU_DEP_2) | instskip(SKIP_3) | instid1(VALU_DEP_3)
	v_cndmask_b32_e64 v17, v57, v17, s1
	v_cndmask_b32_e32 v31, v35, v34, vcc_lo
	v_add_co_u32 v34, vcc_lo, v24, 1
	v_add_co_ci_u32_e32 v35, vcc_lo, 0, v30, vcc_lo
	v_cmp_ne_u32_e32 vcc_lo, 0, v31
	s_delay_alu instid0(VALU_DEP_2) | instskip(SKIP_1) | instid1(VALU_DEP_2)
	v_dual_cndmask_b32 v31, v34, v32 :: v_dual_cndmask_b32 v18, v35, v33
	v_cmp_ne_u32_e32 vcc_lo, 0, v17
	v_dual_cndmask_b32 v17, v24, v31 :: v_dual_cndmask_b32 v18, v30, v18
.LBB89_22:                              ;   in Loop: Header=BB89_20 Depth=2
	s_and_not1_saveexec_b32 s1, s27
	s_cbranch_execz .LBB89_24
; %bb.23:                               ;   in Loop: Header=BB89_20 Depth=2
	v_cvt_f32_u32_e32 v17, s24
	s_sub_i32 s27, 0, s24
	s_delay_alu instid0(VALU_DEP_1) | instskip(SKIP_2) | instid1(VALU_DEP_1)
	v_rcp_iflag_f32_e32 v17, v17
	s_waitcnt_depctr 0xfff
	v_mul_f32_e32 v17, 0x4f7ffffe, v17
	v_cvt_u32_f32_e32 v17, v17
	s_delay_alu instid0(VALU_DEP_1) | instskip(NEXT) | instid1(VALU_DEP_1)
	v_mul_lo_u32 v18, s27, v17
	v_mul_hi_u32 v18, v17, v18
	s_delay_alu instid0(VALU_DEP_1) | instskip(NEXT) | instid1(VALU_DEP_1)
	v_add_nc_u32_e32 v17, v17, v18
	v_mul_hi_u32 v17, v15, v17
	s_delay_alu instid0(VALU_DEP_1) | instskip(SKIP_1) | instid1(VALU_DEP_2)
	v_mul_lo_u32 v18, v17, s24
	v_add_nc_u32_e32 v24, 1, v17
	v_sub_nc_u32_e32 v18, v15, v18
	s_delay_alu instid0(VALU_DEP_1) | instskip(SKIP_1) | instid1(VALU_DEP_2)
	v_subrev_nc_u32_e32 v30, s24, v18
	v_cmp_le_u32_e32 vcc_lo, s24, v18
	v_dual_cndmask_b32 v18, v18, v30 :: v_dual_cndmask_b32 v17, v17, v24
	s_delay_alu instid0(VALU_DEP_1) | instskip(SKIP_1) | instid1(VALU_DEP_3)
	v_cmp_le_u32_e32 vcc_lo, s24, v18
	v_mov_b32_e32 v18, v23
	v_add_nc_u32_e32 v24, 1, v17
	s_delay_alu instid0(VALU_DEP_1)
	v_cndmask_b32_e32 v17, v17, v24, vcc_lo
.LBB89_24:                              ;   in Loop: Header=BB89_20 Depth=2
	s_or_b32 exec_lo, exec_lo, s1
	s_load_b64 s[36:37], s[2:3], 0xc8
	v_mul_lo_u32 v24, v18, s24
	s_delay_alu instid0(VALU_DEP_2)
	v_mul_lo_u32 v32, v17, s25
	v_mad_u64_u32 v[30:31], null, v17, s24, 0
	s_add_i32 s26, s26, -1
	s_add_u32 s2, s2, -8
	s_addc_u32 s3, s3, -1
	s_cmp_gt_u32 s26, 2
	s_delay_alu instid0(VALU_DEP_1) | instskip(NEXT) | instid1(VALU_DEP_2)
	v_add3_u32 v24, v31, v32, v24
	v_sub_co_u32 v30, vcc_lo, v15, v30
	s_delay_alu instid0(VALU_DEP_2) | instskip(SKIP_1) | instid1(VALU_DEP_2)
	v_sub_co_ci_u32_e32 v15, vcc_lo, v16, v24, vcc_lo
	s_waitcnt lgkmcnt(0)
	v_mul_lo_u32 v31, s37, v30
	s_delay_alu instid0(VALU_DEP_2) | instskip(SKIP_1) | instid1(VALU_DEP_1)
	v_mul_lo_u32 v24, s36, v15
	v_mad_u64_u32 v[15:16], null, s36, v30, v[0:1]
	v_add3_u32 v1, v31, v16, v24
	s_delay_alu instid0(VALU_DEP_2)
	v_mov_b32_e32 v0, v15
	s_cbranch_scc0 .LBB89_26
; %bb.25:                               ;   in Loop: Header=BB89_20 Depth=2
	v_dual_mov_b32 v15, v17 :: v_dual_mov_b32 v16, v18
	s_branch .LBB89_20
.LBB89_26:                              ;   in Loop: Header=BB89_8 Depth=1
	v_mul_lo_u32 v24, s15, v17
	v_mul_lo_u32 v18, s14, v18
	v_mad_u64_u32 v[15:16], null, s14, v17, 0
	v_lshlrev_b64 v[0:1], 3, v[0:1]
	s_delay_alu instid0(VALU_DEP_2) | instskip(NEXT) | instid1(VALU_DEP_1)
	v_add3_u32 v16, v16, v18, v24
	v_lshlrev_b64 v[15:16], 3, v[15:16]
	s_delay_alu instid0(VALU_DEP_1) | instskip(NEXT) | instid1(VALU_DEP_2)
	v_add_co_u32 v15, vcc_lo, s20, v15
	v_add_co_ci_u32_e32 v16, vcc_lo, s21, v16, vcc_lo
	s_delay_alu instid0(VALU_DEP_2) | instskip(NEXT) | instid1(VALU_DEP_2)
	v_add_co_u32 v0, vcc_lo, v15, v0
	v_add_co_ci_u32_e32 v1, vcc_lo, v16, v1, vcc_lo
	global_load_b64 v[0:1], v[0:1], off
.LBB89_27:                              ;   in Loop: Header=BB89_8 Depth=1
	s_or_b32 exec_lo, exec_lo, s4
	v_add_co_u32 v15, vcc_lo, v27, s28
	v_add_co_ci_u32_e32 v16, vcc_lo, 0, v28, vcc_lo
	s_delay_alu instid0(VALU_DEP_1) | instskip(NEXT) | instid1(VALU_DEP_1)
	v_cmp_gt_u64_e64 s1, s[16:17], v[15:16]
	s_and_saveexec_b32 s3, s1
	s_cbranch_execz .LBB89_36
; %bb.28:                               ;   in Loop: Header=BB89_8 Depth=1
	v_mov_b32_e32 v2, 0
	v_dual_mov_b32 v3, 0 :: v_dual_mov_b32 v18, v16
	v_mov_b32_e32 v17, v15
	v_dual_mov_b32 v31, v16 :: v_dual_mov_b32 v30, v15
	s_and_not1_b32 vcc_lo, exec_lo, s30
	s_mov_b64 s[24:25], s[22:23]
	s_mov_b32 s4, s34
	s_cbranch_vccnz .LBB89_35
.LBB89_29:                              ;   Parent Loop BB89_8 Depth=1
                                        ; =>  This Inner Loop Header: Depth=2
	s_load_b64 s[26:27], s[24:25], 0x0
                                        ; implicit-def: $vgpr30_vgpr31
	s_mov_b32 s2, exec_lo
	s_waitcnt lgkmcnt(0)
	v_or_b32_e32 v24, s27, v18
	s_delay_alu instid0(VALU_DEP_1)
	v_cmpx_ne_u64_e32 0, v[23:24]
	s_xor_b32 s35, exec_lo, s2
	s_cbranch_execz .LBB89_31
; %bb.30:                               ;   in Loop: Header=BB89_29 Depth=2
	v_cvt_f32_u32_e32 v24, s26
	v_cvt_f32_u32_e32 v30, s27
	s_sub_u32 s2, 0, s26
	s_subb_u32 s36, 0, s27
	s_delay_alu instid0(VALU_DEP_1) | instskip(NEXT) | instid1(VALU_DEP_1)
	v_fmac_f32_e32 v24, 0x4f800000, v30
	v_rcp_f32_e32 v24, v24
	s_waitcnt_depctr 0xfff
	v_mul_f32_e32 v24, 0x5f7ffffc, v24
	s_delay_alu instid0(VALU_DEP_1) | instskip(NEXT) | instid1(VALU_DEP_1)
	v_mul_f32_e32 v30, 0x2f800000, v24
	v_trunc_f32_e32 v30, v30
	s_delay_alu instid0(VALU_DEP_1) | instskip(SKIP_1) | instid1(VALU_DEP_2)
	v_fmac_f32_e32 v24, 0xcf800000, v30
	v_cvt_u32_f32_e32 v30, v30
	v_cvt_u32_f32_e32 v24, v24
	s_delay_alu instid0(VALU_DEP_2) | instskip(NEXT) | instid1(VALU_DEP_2)
	v_mul_lo_u32 v31, s2, v30
	v_mul_hi_u32 v32, s2, v24
	v_mul_lo_u32 v33, s36, v24
	s_delay_alu instid0(VALU_DEP_2) | instskip(SKIP_1) | instid1(VALU_DEP_2)
	v_add_nc_u32_e32 v31, v32, v31
	v_mul_lo_u32 v32, s2, v24
	v_add_nc_u32_e32 v31, v31, v33
	s_delay_alu instid0(VALU_DEP_2) | instskip(NEXT) | instid1(VALU_DEP_2)
	v_mul_hi_u32 v33, v24, v32
	v_mul_lo_u32 v34, v24, v31
	v_mul_hi_u32 v35, v24, v31
	v_mul_hi_u32 v57, v30, v32
	v_mul_lo_u32 v32, v30, v32
	v_mul_hi_u32 v58, v30, v31
	v_mul_lo_u32 v31, v30, v31
	v_add_co_u32 v33, vcc_lo, v33, v34
	v_add_co_ci_u32_e32 v34, vcc_lo, 0, v35, vcc_lo
	s_delay_alu instid0(VALU_DEP_2) | instskip(NEXT) | instid1(VALU_DEP_2)
	v_add_co_u32 v32, vcc_lo, v33, v32
	v_add_co_ci_u32_e32 v32, vcc_lo, v34, v57, vcc_lo
	v_add_co_ci_u32_e32 v33, vcc_lo, 0, v58, vcc_lo
	s_delay_alu instid0(VALU_DEP_2) | instskip(NEXT) | instid1(VALU_DEP_2)
	v_add_co_u32 v31, vcc_lo, v32, v31
	v_add_co_ci_u32_e32 v32, vcc_lo, 0, v33, vcc_lo
	s_delay_alu instid0(VALU_DEP_2) | instskip(NEXT) | instid1(VALU_DEP_2)
	v_add_co_u32 v24, vcc_lo, v24, v31
	v_add_co_ci_u32_e32 v30, vcc_lo, v30, v32, vcc_lo
	s_delay_alu instid0(VALU_DEP_2) | instskip(SKIP_1) | instid1(VALU_DEP_3)
	v_mul_hi_u32 v31, s2, v24
	v_mul_lo_u32 v33, s36, v24
	v_mul_lo_u32 v32, s2, v30
	s_delay_alu instid0(VALU_DEP_1) | instskip(SKIP_1) | instid1(VALU_DEP_2)
	v_add_nc_u32_e32 v31, v31, v32
	v_mul_lo_u32 v32, s2, v24
	v_add_nc_u32_e32 v31, v31, v33
	s_delay_alu instid0(VALU_DEP_2) | instskip(NEXT) | instid1(VALU_DEP_2)
	v_mul_hi_u32 v33, v24, v32
	v_mul_lo_u32 v34, v24, v31
	v_mul_hi_u32 v35, v24, v31
	v_mul_hi_u32 v57, v30, v32
	v_mul_lo_u32 v32, v30, v32
	v_mul_hi_u32 v58, v30, v31
	v_mul_lo_u32 v31, v30, v31
	v_add_co_u32 v33, vcc_lo, v33, v34
	v_add_co_ci_u32_e32 v34, vcc_lo, 0, v35, vcc_lo
	s_delay_alu instid0(VALU_DEP_2) | instskip(NEXT) | instid1(VALU_DEP_2)
	v_add_co_u32 v32, vcc_lo, v33, v32
	v_add_co_ci_u32_e32 v32, vcc_lo, v34, v57, vcc_lo
	v_add_co_ci_u32_e32 v33, vcc_lo, 0, v58, vcc_lo
	s_delay_alu instid0(VALU_DEP_2) | instskip(NEXT) | instid1(VALU_DEP_2)
	v_add_co_u32 v31, vcc_lo, v32, v31
	v_add_co_ci_u32_e32 v32, vcc_lo, 0, v33, vcc_lo
	s_delay_alu instid0(VALU_DEP_2) | instskip(NEXT) | instid1(VALU_DEP_2)
	v_add_co_u32 v24, vcc_lo, v24, v31
	v_add_co_ci_u32_e32 v57, vcc_lo, v30, v32, vcc_lo
	s_delay_alu instid0(VALU_DEP_2) | instskip(SKIP_1) | instid1(VALU_DEP_3)
	v_mul_hi_u32 v58, v17, v24
	v_mad_u64_u32 v[32:33], null, v18, v24, 0
	v_mad_u64_u32 v[30:31], null, v17, v57, 0
	;; [unrolled: 1-line block ×3, first 2 shown]
	s_delay_alu instid0(VALU_DEP_2) | instskip(NEXT) | instid1(VALU_DEP_3)
	v_add_co_u32 v24, vcc_lo, v58, v30
	v_add_co_ci_u32_e32 v30, vcc_lo, 0, v31, vcc_lo
	s_delay_alu instid0(VALU_DEP_2) | instskip(NEXT) | instid1(VALU_DEP_2)
	v_add_co_u32 v24, vcc_lo, v24, v32
	v_add_co_ci_u32_e32 v24, vcc_lo, v30, v33, vcc_lo
	v_add_co_ci_u32_e32 v30, vcc_lo, 0, v35, vcc_lo
	s_delay_alu instid0(VALU_DEP_2) | instskip(NEXT) | instid1(VALU_DEP_2)
	v_add_co_u32 v24, vcc_lo, v24, v34
	v_add_co_ci_u32_e32 v32, vcc_lo, 0, v30, vcc_lo
	s_delay_alu instid0(VALU_DEP_2) | instskip(SKIP_1) | instid1(VALU_DEP_3)
	v_mul_lo_u32 v33, s27, v24
	v_mad_u64_u32 v[30:31], null, s26, v24, 0
	v_mul_lo_u32 v34, s26, v32
	s_delay_alu instid0(VALU_DEP_2) | instskip(NEXT) | instid1(VALU_DEP_2)
	v_sub_co_u32 v30, vcc_lo, v17, v30
	v_add3_u32 v31, v31, v34, v33
	s_delay_alu instid0(VALU_DEP_1) | instskip(NEXT) | instid1(VALU_DEP_1)
	v_sub_nc_u32_e32 v33, v18, v31
	v_subrev_co_ci_u32_e64 v33, s2, s27, v33, vcc_lo
	v_add_co_u32 v34, s2, v24, 2
	s_delay_alu instid0(VALU_DEP_1) | instskip(SKIP_3) | instid1(VALU_DEP_3)
	v_add_co_ci_u32_e64 v35, s2, 0, v32, s2
	v_sub_co_u32 v57, s2, v30, s26
	v_sub_co_ci_u32_e32 v31, vcc_lo, v18, v31, vcc_lo
	v_subrev_co_ci_u32_e64 v33, s2, 0, v33, s2
	v_cmp_le_u32_e32 vcc_lo, s26, v57
	s_delay_alu instid0(VALU_DEP_3) | instskip(SKIP_1) | instid1(VALU_DEP_4)
	v_cmp_eq_u32_e64 s2, s27, v31
	v_cndmask_b32_e64 v57, 0, -1, vcc_lo
	v_cmp_le_u32_e32 vcc_lo, s27, v33
	v_cndmask_b32_e64 v58, 0, -1, vcc_lo
	v_cmp_le_u32_e32 vcc_lo, s26, v30
	;; [unrolled: 2-line block ×3, first 2 shown]
	v_cndmask_b32_e64 v59, 0, -1, vcc_lo
	v_cmp_eq_u32_e32 vcc_lo, s27, v33
	s_delay_alu instid0(VALU_DEP_2) | instskip(SKIP_3) | instid1(VALU_DEP_3)
	v_cndmask_b32_e64 v30, v59, v30, s2
	v_cndmask_b32_e32 v33, v58, v57, vcc_lo
	v_add_co_u32 v57, vcc_lo, v24, 1
	v_add_co_ci_u32_e32 v58, vcc_lo, 0, v32, vcc_lo
	v_cmp_ne_u32_e32 vcc_lo, 0, v33
	s_delay_alu instid0(VALU_DEP_3) | instskip(NEXT) | instid1(VALU_DEP_3)
	v_cndmask_b32_e32 v33, v57, v34, vcc_lo
	v_cndmask_b32_e32 v31, v58, v35, vcc_lo
	v_cmp_ne_u32_e32 vcc_lo, 0, v30
	s_delay_alu instid0(VALU_DEP_3) | instskip(NEXT) | instid1(VALU_DEP_3)
	v_cndmask_b32_e32 v30, v24, v33, vcc_lo
	v_cndmask_b32_e32 v31, v32, v31, vcc_lo
.LBB89_31:                              ;   in Loop: Header=BB89_29 Depth=2
	s_and_not1_saveexec_b32 s2, s35
	s_cbranch_execz .LBB89_33
; %bb.32:                               ;   in Loop: Header=BB89_29 Depth=2
	v_cvt_f32_u32_e32 v24, s26
	s_sub_i32 s35, 0, s26
	s_delay_alu instid0(VALU_DEP_1) | instskip(SKIP_2) | instid1(VALU_DEP_1)
	v_rcp_iflag_f32_e32 v24, v24
	s_waitcnt_depctr 0xfff
	v_mul_f32_e32 v24, 0x4f7ffffe, v24
	v_cvt_u32_f32_e32 v24, v24
	s_delay_alu instid0(VALU_DEP_1) | instskip(NEXT) | instid1(VALU_DEP_1)
	v_mul_lo_u32 v30, s35, v24
	v_mul_hi_u32 v30, v24, v30
	s_delay_alu instid0(VALU_DEP_1) | instskip(NEXT) | instid1(VALU_DEP_1)
	v_add_nc_u32_e32 v24, v24, v30
	v_mul_hi_u32 v24, v17, v24
	s_delay_alu instid0(VALU_DEP_1) | instskip(SKIP_1) | instid1(VALU_DEP_2)
	v_mul_lo_u32 v30, v24, s26
	v_add_nc_u32_e32 v31, 1, v24
	v_sub_nc_u32_e32 v30, v17, v30
	s_delay_alu instid0(VALU_DEP_1) | instskip(SKIP_1) | instid1(VALU_DEP_2)
	v_subrev_nc_u32_e32 v32, s26, v30
	v_cmp_le_u32_e32 vcc_lo, s26, v30
	v_cndmask_b32_e32 v30, v30, v32, vcc_lo
	v_cndmask_b32_e32 v24, v24, v31, vcc_lo
	s_delay_alu instid0(VALU_DEP_2) | instskip(NEXT) | instid1(VALU_DEP_2)
	v_cmp_le_u32_e32 vcc_lo, s26, v30
	v_add_nc_u32_e32 v31, 1, v24
	s_delay_alu instid0(VALU_DEP_1)
	v_dual_cndmask_b32 v30, v24, v31 :: v_dual_mov_b32 v31, v23
.LBB89_33:                              ;   in Loop: Header=BB89_29 Depth=2
	s_or_b32 exec_lo, exec_lo, s2
	s_load_b64 s[36:37], s[24:25], 0xc8
	s_delay_alu instid0(VALU_DEP_1) | instskip(NEXT) | instid1(VALU_DEP_2)
	v_mul_lo_u32 v24, v31, s26
	v_mul_lo_u32 v34, v30, s27
	v_mad_u64_u32 v[32:33], null, v30, s26, 0
	s_add_i32 s4, s4, -1
	s_add_u32 s24, s24, -8
	s_addc_u32 s25, s25, -1
	s_cmp_gt_u32 s4, 2
	s_delay_alu instid0(VALU_DEP_1) | instskip(NEXT) | instid1(VALU_DEP_2)
	v_add3_u32 v24, v33, v34, v24
	v_sub_co_u32 v32, vcc_lo, v17, v32
	s_delay_alu instid0(VALU_DEP_2) | instskip(SKIP_1) | instid1(VALU_DEP_2)
	v_sub_co_ci_u32_e32 v17, vcc_lo, v18, v24, vcc_lo
	s_waitcnt lgkmcnt(0)
	v_mul_lo_u32 v33, s37, v32
	s_delay_alu instid0(VALU_DEP_2) | instskip(SKIP_1) | instid1(VALU_DEP_1)
	v_mul_lo_u32 v24, s36, v17
	v_mad_u64_u32 v[17:18], null, s36, v32, v[2:3]
	v_add3_u32 v3, v33, v18, v24
	s_delay_alu instid0(VALU_DEP_2)
	v_mov_b32_e32 v2, v17
	s_cbranch_scc0 .LBB89_35
; %bb.34:                               ;   in Loop: Header=BB89_29 Depth=2
	v_dual_mov_b32 v17, v30 :: v_dual_mov_b32 v18, v31
	s_branch .LBB89_29
.LBB89_35:                              ;   in Loop: Header=BB89_8 Depth=1
	v_mul_lo_u32 v24, s15, v30
	v_mul_lo_u32 v31, s14, v31
	v_mad_u64_u32 v[17:18], null, s14, v30, 0
	v_lshlrev_b64 v[2:3], 3, v[2:3]
	s_delay_alu instid0(VALU_DEP_2) | instskip(NEXT) | instid1(VALU_DEP_1)
	v_add3_u32 v18, v18, v31, v24
	v_lshlrev_b64 v[17:18], 3, v[17:18]
	s_delay_alu instid0(VALU_DEP_1) | instskip(NEXT) | instid1(VALU_DEP_2)
	v_add_co_u32 v17, vcc_lo, s20, v17
	v_add_co_ci_u32_e32 v18, vcc_lo, s21, v18, vcc_lo
	s_delay_alu instid0(VALU_DEP_2) | instskip(NEXT) | instid1(VALU_DEP_2)
	v_add_co_u32 v2, vcc_lo, v17, v2
	v_add_co_ci_u32_e32 v3, vcc_lo, v18, v3, vcc_lo
	global_load_b64 v[2:3], v[2:3], off
.LBB89_36:                              ;   in Loop: Header=BB89_8 Depth=1
	s_or_b32 exec_lo, exec_lo, s3
	v_add_co_u32 v17, vcc_lo, v27, s31
	v_add_co_ci_u32_e32 v18, vcc_lo, 0, v28, vcc_lo
	s_delay_alu instid0(VALU_DEP_1) | instskip(NEXT) | instid1(VALU_DEP_1)
	v_cmp_gt_u64_e64 s2, s[16:17], v[17:18]
	s_and_saveexec_b32 s4, s2
	s_cbranch_execz .LBB89_45
; %bb.37:                               ;   in Loop: Header=BB89_8 Depth=1
	v_dual_mov_b32 v4, 0 :: v_dual_mov_b32 v31, v18
	v_dual_mov_b32 v5, 0 :: v_dual_mov_b32 v30, v17
	;; [unrolled: 1-line block ×3, first 2 shown]
	s_and_not1_b32 vcc_lo, exec_lo, s30
	s_mov_b64 s[24:25], s[22:23]
	s_mov_b32 s35, s34
	s_cbranch_vccnz .LBB89_44
.LBB89_38:                              ;   Parent Loop BB89_8 Depth=1
                                        ; =>  This Inner Loop Header: Depth=2
	s_load_b64 s[26:27], s[24:25], 0x0
                                        ; implicit-def: $vgpr32_vgpr33
	s_mov_b32 s3, exec_lo
	s_waitcnt lgkmcnt(0)
	v_or_b32_e32 v24, s27, v31
	s_delay_alu instid0(VALU_DEP_1)
	v_cmpx_ne_u64_e32 0, v[23:24]
	s_xor_b32 s36, exec_lo, s3
	s_cbranch_execz .LBB89_40
; %bb.39:                               ;   in Loop: Header=BB89_38 Depth=2
	v_cvt_f32_u32_e32 v24, s26
	v_cvt_f32_u32_e32 v32, s27
	s_sub_u32 s3, 0, s26
	s_subb_u32 s37, 0, s27
	s_delay_alu instid0(VALU_DEP_1) | instskip(NEXT) | instid1(VALU_DEP_1)
	v_fmac_f32_e32 v24, 0x4f800000, v32
	v_rcp_f32_e32 v24, v24
	s_waitcnt_depctr 0xfff
	v_mul_f32_e32 v24, 0x5f7ffffc, v24
	s_delay_alu instid0(VALU_DEP_1) | instskip(NEXT) | instid1(VALU_DEP_1)
	v_mul_f32_e32 v32, 0x2f800000, v24
	v_trunc_f32_e32 v32, v32
	s_delay_alu instid0(VALU_DEP_1) | instskip(SKIP_1) | instid1(VALU_DEP_2)
	v_fmac_f32_e32 v24, 0xcf800000, v32
	v_cvt_u32_f32_e32 v32, v32
	v_cvt_u32_f32_e32 v24, v24
	s_delay_alu instid0(VALU_DEP_2) | instskip(NEXT) | instid1(VALU_DEP_2)
	v_mul_lo_u32 v33, s3, v32
	v_mul_hi_u32 v34, s3, v24
	v_mul_lo_u32 v35, s37, v24
	s_delay_alu instid0(VALU_DEP_2) | instskip(SKIP_1) | instid1(VALU_DEP_2)
	v_add_nc_u32_e32 v33, v34, v33
	v_mul_lo_u32 v34, s3, v24
	v_add_nc_u32_e32 v33, v33, v35
	s_delay_alu instid0(VALU_DEP_2) | instskip(NEXT) | instid1(VALU_DEP_2)
	v_mul_hi_u32 v35, v24, v34
	v_mul_lo_u32 v57, v24, v33
	v_mul_hi_u32 v58, v24, v33
	v_mul_hi_u32 v59, v32, v34
	v_mul_lo_u32 v34, v32, v34
	v_mul_hi_u32 v60, v32, v33
	v_mul_lo_u32 v33, v32, v33
	v_add_co_u32 v35, vcc_lo, v35, v57
	v_add_co_ci_u32_e32 v57, vcc_lo, 0, v58, vcc_lo
	s_delay_alu instid0(VALU_DEP_2) | instskip(NEXT) | instid1(VALU_DEP_2)
	v_add_co_u32 v34, vcc_lo, v35, v34
	v_add_co_ci_u32_e32 v34, vcc_lo, v57, v59, vcc_lo
	v_add_co_ci_u32_e32 v35, vcc_lo, 0, v60, vcc_lo
	s_delay_alu instid0(VALU_DEP_2) | instskip(NEXT) | instid1(VALU_DEP_2)
	v_add_co_u32 v33, vcc_lo, v34, v33
	v_add_co_ci_u32_e32 v34, vcc_lo, 0, v35, vcc_lo
	s_delay_alu instid0(VALU_DEP_2) | instskip(NEXT) | instid1(VALU_DEP_2)
	v_add_co_u32 v24, vcc_lo, v24, v33
	v_add_co_ci_u32_e32 v32, vcc_lo, v32, v34, vcc_lo
	s_delay_alu instid0(VALU_DEP_2) | instskip(SKIP_1) | instid1(VALU_DEP_3)
	v_mul_hi_u32 v33, s3, v24
	v_mul_lo_u32 v35, s37, v24
	v_mul_lo_u32 v34, s3, v32
	s_delay_alu instid0(VALU_DEP_1) | instskip(SKIP_1) | instid1(VALU_DEP_2)
	v_add_nc_u32_e32 v33, v33, v34
	v_mul_lo_u32 v34, s3, v24
	v_add_nc_u32_e32 v33, v33, v35
	s_delay_alu instid0(VALU_DEP_2) | instskip(NEXT) | instid1(VALU_DEP_2)
	v_mul_hi_u32 v35, v24, v34
	v_mul_lo_u32 v57, v24, v33
	v_mul_hi_u32 v58, v24, v33
	v_mul_hi_u32 v59, v32, v34
	v_mul_lo_u32 v34, v32, v34
	v_mul_hi_u32 v60, v32, v33
	v_mul_lo_u32 v33, v32, v33
	v_add_co_u32 v35, vcc_lo, v35, v57
	v_add_co_ci_u32_e32 v57, vcc_lo, 0, v58, vcc_lo
	s_delay_alu instid0(VALU_DEP_2) | instskip(NEXT) | instid1(VALU_DEP_2)
	v_add_co_u32 v34, vcc_lo, v35, v34
	v_add_co_ci_u32_e32 v34, vcc_lo, v57, v59, vcc_lo
	v_add_co_ci_u32_e32 v35, vcc_lo, 0, v60, vcc_lo
	s_delay_alu instid0(VALU_DEP_2) | instskip(NEXT) | instid1(VALU_DEP_2)
	v_add_co_u32 v33, vcc_lo, v34, v33
	v_add_co_ci_u32_e32 v34, vcc_lo, 0, v35, vcc_lo
	s_delay_alu instid0(VALU_DEP_2) | instskip(NEXT) | instid1(VALU_DEP_2)
	v_add_co_u32 v24, vcc_lo, v24, v33
	v_add_co_ci_u32_e32 v59, vcc_lo, v32, v34, vcc_lo
	s_delay_alu instid0(VALU_DEP_2) | instskip(SKIP_1) | instid1(VALU_DEP_3)
	v_mul_hi_u32 v60, v30, v24
	v_mad_u64_u32 v[34:35], null, v31, v24, 0
	v_mad_u64_u32 v[32:33], null, v30, v59, 0
	;; [unrolled: 1-line block ×3, first 2 shown]
	s_delay_alu instid0(VALU_DEP_2) | instskip(NEXT) | instid1(VALU_DEP_3)
	v_add_co_u32 v24, vcc_lo, v60, v32
	v_add_co_ci_u32_e32 v32, vcc_lo, 0, v33, vcc_lo
	s_delay_alu instid0(VALU_DEP_2) | instskip(NEXT) | instid1(VALU_DEP_2)
	v_add_co_u32 v24, vcc_lo, v24, v34
	v_add_co_ci_u32_e32 v24, vcc_lo, v32, v35, vcc_lo
	v_add_co_ci_u32_e32 v32, vcc_lo, 0, v58, vcc_lo
	s_delay_alu instid0(VALU_DEP_2) | instskip(NEXT) | instid1(VALU_DEP_2)
	v_add_co_u32 v24, vcc_lo, v24, v57
	v_add_co_ci_u32_e32 v34, vcc_lo, 0, v32, vcc_lo
	s_delay_alu instid0(VALU_DEP_2) | instskip(SKIP_1) | instid1(VALU_DEP_3)
	v_mul_lo_u32 v35, s27, v24
	v_mad_u64_u32 v[32:33], null, s26, v24, 0
	v_mul_lo_u32 v57, s26, v34
	s_delay_alu instid0(VALU_DEP_2) | instskip(NEXT) | instid1(VALU_DEP_2)
	v_sub_co_u32 v32, vcc_lo, v30, v32
	v_add3_u32 v33, v33, v57, v35
	s_delay_alu instid0(VALU_DEP_1) | instskip(NEXT) | instid1(VALU_DEP_1)
	v_sub_nc_u32_e32 v35, v31, v33
	v_subrev_co_ci_u32_e64 v35, s3, s27, v35, vcc_lo
	v_add_co_u32 v57, s3, v24, 2
	s_delay_alu instid0(VALU_DEP_1) | instskip(SKIP_3) | instid1(VALU_DEP_3)
	v_add_co_ci_u32_e64 v58, s3, 0, v34, s3
	v_sub_co_u32 v59, s3, v32, s26
	v_sub_co_ci_u32_e32 v33, vcc_lo, v31, v33, vcc_lo
	v_subrev_co_ci_u32_e64 v35, s3, 0, v35, s3
	v_cmp_le_u32_e32 vcc_lo, s26, v59
	s_delay_alu instid0(VALU_DEP_3) | instskip(SKIP_1) | instid1(VALU_DEP_4)
	v_cmp_eq_u32_e64 s3, s27, v33
	v_cndmask_b32_e64 v59, 0, -1, vcc_lo
	v_cmp_le_u32_e32 vcc_lo, s27, v35
	v_cndmask_b32_e64 v60, 0, -1, vcc_lo
	v_cmp_le_u32_e32 vcc_lo, s26, v32
	;; [unrolled: 2-line block ×3, first 2 shown]
	v_cndmask_b32_e64 v61, 0, -1, vcc_lo
	v_cmp_eq_u32_e32 vcc_lo, s27, v35
	s_delay_alu instid0(VALU_DEP_2) | instskip(SKIP_3) | instid1(VALU_DEP_3)
	v_cndmask_b32_e64 v32, v61, v32, s3
	v_cndmask_b32_e32 v35, v60, v59, vcc_lo
	v_add_co_u32 v59, vcc_lo, v24, 1
	v_add_co_ci_u32_e32 v60, vcc_lo, 0, v34, vcc_lo
	v_cmp_ne_u32_e32 vcc_lo, 0, v35
	s_delay_alu instid0(VALU_DEP_2) | instskip(NEXT) | instid1(VALU_DEP_4)
	v_cndmask_b32_e32 v33, v60, v58, vcc_lo
	v_cndmask_b32_e32 v35, v59, v57, vcc_lo
	v_cmp_ne_u32_e32 vcc_lo, 0, v32
	s_delay_alu instid0(VALU_DEP_2)
	v_dual_cndmask_b32 v33, v34, v33 :: v_dual_cndmask_b32 v32, v24, v35
.LBB89_40:                              ;   in Loop: Header=BB89_38 Depth=2
	s_and_not1_saveexec_b32 s3, s36
	s_cbranch_execz .LBB89_42
; %bb.41:                               ;   in Loop: Header=BB89_38 Depth=2
	v_cvt_f32_u32_e32 v24, s26
	s_sub_i32 s36, 0, s26
	s_delay_alu instid0(VALU_DEP_1) | instskip(SKIP_2) | instid1(VALU_DEP_1)
	v_rcp_iflag_f32_e32 v24, v24
	s_waitcnt_depctr 0xfff
	v_mul_f32_e32 v24, 0x4f7ffffe, v24
	v_cvt_u32_f32_e32 v24, v24
	s_delay_alu instid0(VALU_DEP_1) | instskip(NEXT) | instid1(VALU_DEP_1)
	v_mul_lo_u32 v32, s36, v24
	v_mul_hi_u32 v32, v24, v32
	s_delay_alu instid0(VALU_DEP_1) | instskip(NEXT) | instid1(VALU_DEP_1)
	v_add_nc_u32_e32 v24, v24, v32
	v_mul_hi_u32 v24, v30, v24
	s_delay_alu instid0(VALU_DEP_1) | instskip(NEXT) | instid1(VALU_DEP_1)
	v_mul_lo_u32 v32, v24, s26
	v_sub_nc_u32_e32 v32, v30, v32
	s_delay_alu instid0(VALU_DEP_1) | instskip(SKIP_1) | instid1(VALU_DEP_2)
	v_subrev_nc_u32_e32 v34, s26, v32
	v_cmp_le_u32_e32 vcc_lo, s26, v32
	v_dual_cndmask_b32 v32, v32, v34 :: v_dual_add_nc_u32 v33, 1, v24
	s_delay_alu instid0(VALU_DEP_1) | instskip(NEXT) | instid1(VALU_DEP_2)
	v_cndmask_b32_e32 v24, v24, v33, vcc_lo
	v_cmp_le_u32_e32 vcc_lo, s26, v32
	s_delay_alu instid0(VALU_DEP_2) | instskip(NEXT) | instid1(VALU_DEP_1)
	v_add_nc_u32_e32 v33, 1, v24
	v_dual_cndmask_b32 v32, v24, v33 :: v_dual_mov_b32 v33, v23
.LBB89_42:                              ;   in Loop: Header=BB89_38 Depth=2
	s_or_b32 exec_lo, exec_lo, s3
	s_load_b64 s[36:37], s[24:25], 0xc8
	s_delay_alu instid0(VALU_DEP_1) | instskip(NEXT) | instid1(VALU_DEP_2)
	v_mul_lo_u32 v24, v33, s26
	v_mul_lo_u32 v57, v32, s27
	v_mad_u64_u32 v[34:35], null, v32, s26, 0
	s_add_i32 s35, s35, -1
	s_add_u32 s24, s24, -8
	s_addc_u32 s25, s25, -1
	s_cmp_gt_u32 s35, 2
	s_delay_alu instid0(VALU_DEP_1) | instskip(NEXT) | instid1(VALU_DEP_2)
	v_add3_u32 v24, v35, v57, v24
	v_sub_co_u32 v34, vcc_lo, v30, v34
	s_delay_alu instid0(VALU_DEP_2) | instskip(SKIP_1) | instid1(VALU_DEP_2)
	v_sub_co_ci_u32_e32 v24, vcc_lo, v31, v24, vcc_lo
	s_waitcnt lgkmcnt(0)
	v_mul_lo_u32 v35, s37, v34
	s_delay_alu instid0(VALU_DEP_2) | instskip(SKIP_1) | instid1(VALU_DEP_1)
	v_mul_lo_u32 v24, s36, v24
	v_mad_u64_u32 v[30:31], null, s36, v34, v[4:5]
	v_add3_u32 v5, v35, v31, v24
	s_delay_alu instid0(VALU_DEP_2)
	v_mov_b32_e32 v4, v30
	s_cbranch_scc0 .LBB89_44
; %bb.43:                               ;   in Loop: Header=BB89_38 Depth=2
	v_dual_mov_b32 v30, v32 :: v_dual_mov_b32 v31, v33
	s_branch .LBB89_38
.LBB89_44:                              ;   in Loop: Header=BB89_8 Depth=1
	v_mul_lo_u32 v24, s15, v32
	v_mul_lo_u32 v33, s14, v33
	v_mad_u64_u32 v[30:31], null, s14, v32, 0
	v_lshlrev_b64 v[4:5], 3, v[4:5]
	s_delay_alu instid0(VALU_DEP_2) | instskip(NEXT) | instid1(VALU_DEP_1)
	v_add3_u32 v31, v31, v33, v24
	v_lshlrev_b64 v[30:31], 3, v[30:31]
	s_delay_alu instid0(VALU_DEP_1) | instskip(NEXT) | instid1(VALU_DEP_2)
	v_add_co_u32 v24, vcc_lo, s20, v30
	v_add_co_ci_u32_e32 v30, vcc_lo, s21, v31, vcc_lo
	s_delay_alu instid0(VALU_DEP_2) | instskip(NEXT) | instid1(VALU_DEP_2)
	v_add_co_u32 v4, vcc_lo, v24, v4
	v_add_co_ci_u32_e32 v5, vcc_lo, v30, v5, vcc_lo
	global_load_b64 v[4:5], v[4:5], off
.LBB89_45:                              ;   in Loop: Header=BB89_8 Depth=1
	s_or_b32 exec_lo, exec_lo, s4
	v_add_co_u32 v30, vcc_lo, v27, s33
	v_add_co_ci_u32_e32 v31, vcc_lo, 0, v28, vcc_lo
	s_delay_alu instid0(VALU_DEP_1) | instskip(NEXT) | instid1(VALU_DEP_1)
	v_cmp_gt_u64_e64 s3, s[16:17], v[30:31]
	s_and_saveexec_b32 s35, s3
	s_cbranch_execnz .LBB89_50
; %bb.46:                               ;   in Loop: Header=BB89_8 Depth=1
	s_or_b32 exec_lo, exec_lo, s35
	s_and_saveexec_b32 s4, s0
	s_cbranch_execnz .LBB89_58
.LBB89_47:                              ;   in Loop: Header=BB89_8 Depth=1
	s_or_b32 exec_lo, exec_lo, s4
	s_and_saveexec_b32 s4, s1
	s_cbranch_execnz .LBB89_59
.LBB89_48:                              ;   in Loop: Header=BB89_8 Depth=1
	s_or_b32 exec_lo, exec_lo, s4
	s_and_saveexec_b32 s1, s2
	s_cbranch_execnz .LBB89_60
.LBB89_49:                              ;   in Loop: Header=BB89_8 Depth=1
	s_or_b32 exec_lo, exec_lo, s1
	s_and_saveexec_b32 s1, s3
	s_cbranch_execz .LBB89_7
	s_branch .LBB89_61
.LBB89_50:                              ;   in Loop: Header=BB89_8 Depth=1
	v_dual_mov_b32 v6, 0 :: v_dual_mov_b32 v33, v31
	v_dual_mov_b32 v7, 0 :: v_dual_mov_b32 v32, v30
	;; [unrolled: 1-line block ×3, first 2 shown]
	s_and_not1_b32 vcc_lo, exec_lo, s30
	s_mov_b64 s[24:25], s[22:23]
	s_mov_b32 s36, s34
	s_cbranch_vccnz .LBB89_57
.LBB89_51:                              ;   Parent Loop BB89_8 Depth=1
                                        ; =>  This Inner Loop Header: Depth=2
	s_load_b64 s[26:27], s[24:25], 0x0
                                        ; implicit-def: $vgpr34_vgpr35
	s_mov_b32 s4, exec_lo
	s_waitcnt lgkmcnt(0)
	v_or_b32_e32 v24, s27, v33
	s_delay_alu instid0(VALU_DEP_1)
	v_cmpx_ne_u64_e32 0, v[23:24]
	s_xor_b32 s37, exec_lo, s4
	s_cbranch_execz .LBB89_53
; %bb.52:                               ;   in Loop: Header=BB89_51 Depth=2
	v_cvt_f32_u32_e32 v24, s26
	v_cvt_f32_u32_e32 v34, s27
	s_sub_u32 s4, 0, s26
	s_subb_u32 s38, 0, s27
	s_delay_alu instid0(VALU_DEP_1) | instskip(NEXT) | instid1(VALU_DEP_1)
	v_fmac_f32_e32 v24, 0x4f800000, v34
	v_rcp_f32_e32 v24, v24
	s_waitcnt_depctr 0xfff
	v_mul_f32_e32 v24, 0x5f7ffffc, v24
	s_delay_alu instid0(VALU_DEP_1) | instskip(NEXT) | instid1(VALU_DEP_1)
	v_mul_f32_e32 v34, 0x2f800000, v24
	v_trunc_f32_e32 v34, v34
	s_delay_alu instid0(VALU_DEP_1) | instskip(SKIP_1) | instid1(VALU_DEP_2)
	v_fmac_f32_e32 v24, 0xcf800000, v34
	v_cvt_u32_f32_e32 v34, v34
	v_cvt_u32_f32_e32 v24, v24
	s_delay_alu instid0(VALU_DEP_2) | instskip(NEXT) | instid1(VALU_DEP_2)
	v_mul_lo_u32 v35, s4, v34
	v_mul_hi_u32 v57, s4, v24
	v_mul_lo_u32 v58, s38, v24
	s_delay_alu instid0(VALU_DEP_2) | instskip(SKIP_1) | instid1(VALU_DEP_2)
	v_add_nc_u32_e32 v35, v57, v35
	v_mul_lo_u32 v57, s4, v24
	v_add_nc_u32_e32 v35, v35, v58
	s_delay_alu instid0(VALU_DEP_2) | instskip(NEXT) | instid1(VALU_DEP_2)
	v_mul_hi_u32 v58, v24, v57
	v_mul_lo_u32 v59, v24, v35
	v_mul_hi_u32 v60, v24, v35
	v_mul_hi_u32 v61, v34, v57
	v_mul_lo_u32 v57, v34, v57
	v_mul_hi_u32 v62, v34, v35
	v_mul_lo_u32 v35, v34, v35
	v_add_co_u32 v58, vcc_lo, v58, v59
	v_add_co_ci_u32_e32 v59, vcc_lo, 0, v60, vcc_lo
	s_delay_alu instid0(VALU_DEP_2) | instskip(NEXT) | instid1(VALU_DEP_2)
	v_add_co_u32 v57, vcc_lo, v58, v57
	v_add_co_ci_u32_e32 v57, vcc_lo, v59, v61, vcc_lo
	v_add_co_ci_u32_e32 v58, vcc_lo, 0, v62, vcc_lo
	s_delay_alu instid0(VALU_DEP_2) | instskip(NEXT) | instid1(VALU_DEP_2)
	v_add_co_u32 v35, vcc_lo, v57, v35
	v_add_co_ci_u32_e32 v57, vcc_lo, 0, v58, vcc_lo
	s_delay_alu instid0(VALU_DEP_2) | instskip(NEXT) | instid1(VALU_DEP_2)
	v_add_co_u32 v24, vcc_lo, v24, v35
	v_add_co_ci_u32_e32 v34, vcc_lo, v34, v57, vcc_lo
	s_delay_alu instid0(VALU_DEP_2) | instskip(SKIP_1) | instid1(VALU_DEP_3)
	v_mul_hi_u32 v35, s4, v24
	v_mul_lo_u32 v58, s38, v24
	v_mul_lo_u32 v57, s4, v34
	s_delay_alu instid0(VALU_DEP_1) | instskip(SKIP_1) | instid1(VALU_DEP_2)
	v_add_nc_u32_e32 v35, v35, v57
	v_mul_lo_u32 v57, s4, v24
	v_add_nc_u32_e32 v35, v35, v58
	s_delay_alu instid0(VALU_DEP_2) | instskip(NEXT) | instid1(VALU_DEP_2)
	v_mul_hi_u32 v58, v24, v57
	v_mul_lo_u32 v59, v24, v35
	v_mul_hi_u32 v60, v24, v35
	v_mul_hi_u32 v61, v34, v57
	v_mul_lo_u32 v57, v34, v57
	v_mul_hi_u32 v62, v34, v35
	v_mul_lo_u32 v35, v34, v35
	v_add_co_u32 v58, vcc_lo, v58, v59
	v_add_co_ci_u32_e32 v59, vcc_lo, 0, v60, vcc_lo
	s_delay_alu instid0(VALU_DEP_2) | instskip(NEXT) | instid1(VALU_DEP_2)
	v_add_co_u32 v57, vcc_lo, v58, v57
	v_add_co_ci_u32_e32 v57, vcc_lo, v59, v61, vcc_lo
	v_add_co_ci_u32_e32 v58, vcc_lo, 0, v62, vcc_lo
	s_delay_alu instid0(VALU_DEP_2) | instskip(NEXT) | instid1(VALU_DEP_2)
	v_add_co_u32 v35, vcc_lo, v57, v35
	v_add_co_ci_u32_e32 v57, vcc_lo, 0, v58, vcc_lo
	s_delay_alu instid0(VALU_DEP_2) | instskip(NEXT) | instid1(VALU_DEP_2)
	v_add_co_u32 v24, vcc_lo, v24, v35
	v_add_co_ci_u32_e32 v61, vcc_lo, v34, v57, vcc_lo
	s_delay_alu instid0(VALU_DEP_2) | instskip(SKIP_1) | instid1(VALU_DEP_3)
	v_mul_hi_u32 v62, v32, v24
	v_mad_u64_u32 v[57:58], null, v33, v24, 0
	v_mad_u64_u32 v[34:35], null, v32, v61, 0
	;; [unrolled: 1-line block ×3, first 2 shown]
	s_delay_alu instid0(VALU_DEP_2) | instskip(NEXT) | instid1(VALU_DEP_3)
	v_add_co_u32 v24, vcc_lo, v62, v34
	v_add_co_ci_u32_e32 v34, vcc_lo, 0, v35, vcc_lo
	s_delay_alu instid0(VALU_DEP_2) | instskip(NEXT) | instid1(VALU_DEP_2)
	v_add_co_u32 v24, vcc_lo, v24, v57
	v_add_co_ci_u32_e32 v24, vcc_lo, v34, v58, vcc_lo
	v_add_co_ci_u32_e32 v34, vcc_lo, 0, v60, vcc_lo
	s_delay_alu instid0(VALU_DEP_2) | instskip(NEXT) | instid1(VALU_DEP_2)
	v_add_co_u32 v24, vcc_lo, v24, v59
	v_add_co_ci_u32_e32 v57, vcc_lo, 0, v34, vcc_lo
	s_delay_alu instid0(VALU_DEP_2) | instskip(SKIP_1) | instid1(VALU_DEP_3)
	v_mul_lo_u32 v58, s27, v24
	v_mad_u64_u32 v[34:35], null, s26, v24, 0
	v_mul_lo_u32 v59, s26, v57
	s_delay_alu instid0(VALU_DEP_2) | instskip(NEXT) | instid1(VALU_DEP_2)
	v_sub_co_u32 v34, vcc_lo, v32, v34
	v_add3_u32 v35, v35, v59, v58
	s_delay_alu instid0(VALU_DEP_1) | instskip(NEXT) | instid1(VALU_DEP_1)
	v_sub_nc_u32_e32 v58, v33, v35
	v_subrev_co_ci_u32_e64 v58, s4, s27, v58, vcc_lo
	v_add_co_u32 v59, s4, v24, 2
	s_delay_alu instid0(VALU_DEP_1) | instskip(SKIP_3) | instid1(VALU_DEP_3)
	v_add_co_ci_u32_e64 v60, s4, 0, v57, s4
	v_sub_co_u32 v61, s4, v34, s26
	v_sub_co_ci_u32_e32 v35, vcc_lo, v33, v35, vcc_lo
	v_subrev_co_ci_u32_e64 v58, s4, 0, v58, s4
	v_cmp_le_u32_e32 vcc_lo, s26, v61
	s_delay_alu instid0(VALU_DEP_3) | instskip(SKIP_1) | instid1(VALU_DEP_4)
	v_cmp_eq_u32_e64 s4, s27, v35
	v_cndmask_b32_e64 v61, 0, -1, vcc_lo
	v_cmp_le_u32_e32 vcc_lo, s27, v58
	v_cndmask_b32_e64 v62, 0, -1, vcc_lo
	v_cmp_le_u32_e32 vcc_lo, s26, v34
	;; [unrolled: 2-line block ×3, first 2 shown]
	v_cndmask_b32_e64 v63, 0, -1, vcc_lo
	v_cmp_eq_u32_e32 vcc_lo, s27, v58
	s_delay_alu instid0(VALU_DEP_2) | instskip(SKIP_3) | instid1(VALU_DEP_3)
	v_cndmask_b32_e64 v34, v63, v34, s4
	v_cndmask_b32_e32 v58, v62, v61, vcc_lo
	v_add_co_u32 v61, vcc_lo, v24, 1
	v_add_co_ci_u32_e32 v62, vcc_lo, 0, v57, vcc_lo
	v_cmp_ne_u32_e32 vcc_lo, 0, v58
	s_delay_alu instid0(VALU_DEP_2) | instskip(SKIP_1) | instid1(VALU_DEP_2)
	v_dual_cndmask_b32 v35, v62, v60 :: v_dual_cndmask_b32 v58, v61, v59
	v_cmp_ne_u32_e32 vcc_lo, 0, v34
	v_dual_cndmask_b32 v35, v57, v35 :: v_dual_cndmask_b32 v34, v24, v58
.LBB89_53:                              ;   in Loop: Header=BB89_51 Depth=2
	s_and_not1_saveexec_b32 s4, s37
	s_cbranch_execz .LBB89_55
; %bb.54:                               ;   in Loop: Header=BB89_51 Depth=2
	v_cvt_f32_u32_e32 v24, s26
	s_sub_i32 s37, 0, s26
	s_delay_alu instid0(VALU_DEP_1) | instskip(SKIP_2) | instid1(VALU_DEP_1)
	v_rcp_iflag_f32_e32 v24, v24
	s_waitcnt_depctr 0xfff
	v_mul_f32_e32 v24, 0x4f7ffffe, v24
	v_cvt_u32_f32_e32 v24, v24
	s_delay_alu instid0(VALU_DEP_1) | instskip(NEXT) | instid1(VALU_DEP_1)
	v_mul_lo_u32 v34, s37, v24
	v_mul_hi_u32 v34, v24, v34
	s_delay_alu instid0(VALU_DEP_1) | instskip(NEXT) | instid1(VALU_DEP_1)
	v_add_nc_u32_e32 v24, v24, v34
	v_mul_hi_u32 v24, v32, v24
	s_delay_alu instid0(VALU_DEP_1) | instskip(NEXT) | instid1(VALU_DEP_1)
	v_mul_lo_u32 v34, v24, s26
	v_sub_nc_u32_e32 v34, v32, v34
	s_delay_alu instid0(VALU_DEP_1) | instskip(SKIP_1) | instid1(VALU_DEP_2)
	v_subrev_nc_u32_e32 v57, s26, v34
	v_cmp_le_u32_e32 vcc_lo, s26, v34
	v_dual_cndmask_b32 v34, v34, v57 :: v_dual_add_nc_u32 v35, 1, v24
	s_delay_alu instid0(VALU_DEP_1) | instskip(NEXT) | instid1(VALU_DEP_2)
	v_cndmask_b32_e32 v24, v24, v35, vcc_lo
	v_cmp_le_u32_e32 vcc_lo, s26, v34
	s_delay_alu instid0(VALU_DEP_2) | instskip(NEXT) | instid1(VALU_DEP_1)
	v_add_nc_u32_e32 v35, 1, v24
	v_dual_cndmask_b32 v34, v24, v35 :: v_dual_mov_b32 v35, v23
.LBB89_55:                              ;   in Loop: Header=BB89_51 Depth=2
	s_or_b32 exec_lo, exec_lo, s4
	s_load_b64 s[38:39], s[24:25], 0xc8
	s_delay_alu instid0(VALU_DEP_1) | instskip(NEXT) | instid1(VALU_DEP_2)
	v_mul_lo_u32 v24, v35, s26
	v_mul_lo_u32 v59, v34, s27
	v_mad_u64_u32 v[57:58], null, v34, s26, 0
	s_add_i32 s36, s36, -1
	s_add_u32 s24, s24, -8
	s_addc_u32 s25, s25, -1
	s_cmp_gt_u32 s36, 2
	s_delay_alu instid0(VALU_DEP_1) | instskip(NEXT) | instid1(VALU_DEP_2)
	v_add3_u32 v24, v58, v59, v24
	v_sub_co_u32 v57, vcc_lo, v32, v57
	s_delay_alu instid0(VALU_DEP_2) | instskip(SKIP_1) | instid1(VALU_DEP_2)
	v_sub_co_ci_u32_e32 v24, vcc_lo, v33, v24, vcc_lo
	s_waitcnt lgkmcnt(0)
	v_mul_lo_u32 v58, s39, v57
	s_delay_alu instid0(VALU_DEP_2) | instskip(SKIP_1) | instid1(VALU_DEP_1)
	v_mul_lo_u32 v24, s38, v24
	v_mad_u64_u32 v[32:33], null, s38, v57, v[6:7]
	v_add3_u32 v7, v58, v33, v24
	s_delay_alu instid0(VALU_DEP_2)
	v_mov_b32_e32 v6, v32
	s_cbranch_scc0 .LBB89_57
; %bb.56:                               ;   in Loop: Header=BB89_51 Depth=2
	v_dual_mov_b32 v32, v34 :: v_dual_mov_b32 v33, v35
	s_branch .LBB89_51
.LBB89_57:                              ;   in Loop: Header=BB89_8 Depth=1
	v_mul_lo_u32 v24, s15, v34
	v_mul_lo_u32 v35, s14, v35
	v_mad_u64_u32 v[32:33], null, s14, v34, 0
	v_lshlrev_b64 v[6:7], 3, v[6:7]
	s_delay_alu instid0(VALU_DEP_2) | instskip(NEXT) | instid1(VALU_DEP_1)
	v_add3_u32 v33, v33, v35, v24
	v_lshlrev_b64 v[32:33], 3, v[32:33]
	s_delay_alu instid0(VALU_DEP_1) | instskip(NEXT) | instid1(VALU_DEP_2)
	v_add_co_u32 v24, vcc_lo, s20, v32
	v_add_co_ci_u32_e32 v32, vcc_lo, s21, v33, vcc_lo
	s_delay_alu instid0(VALU_DEP_2) | instskip(NEXT) | instid1(VALU_DEP_2)
	v_add_co_u32 v6, vcc_lo, v24, v6
	v_add_co_ci_u32_e32 v7, vcc_lo, v32, v7, vcc_lo
	global_load_b64 v[6:7], v[6:7], off
	s_or_b32 exec_lo, exec_lo, s35
	s_and_saveexec_b32 s4, s0
	s_cbranch_execz .LBB89_47
.LBB89_58:                              ;   in Loop: Header=BB89_8 Depth=1
	v_cvt_f32_u32_e32 v8, v8
	v_mad_u64_u32 v[34:35], null, v27, s10, 0
	s_delay_alu instid0(VALU_DEP_2) | instskip(NEXT) | instid1(VALU_DEP_1)
	v_fmaak_f32 v8, 0x2f800000, v8, 0x2f800000
	v_cvt_f64_f32_e32 v[32:33], v8
	v_mul_lo_u32 v8, v28, s10
	s_delay_alu instid0(VALU_DEP_2) | instskip(SKIP_2) | instid1(VALU_DEP_1)
	v_cmp_gt_f64_e32 vcc_lo, s[18:19], v[32:33]
	v_cndmask_b32_e64 v24, 0, 0x3ff00000, vcc_lo
	s_waitcnt vmcnt(0)
	v_mul_f64 v[32:33], v[0:1], v[23:24]
	v_mul_lo_u32 v24, v27, s11
	s_delay_alu instid0(VALU_DEP_1) | instskip(SKIP_1) | instid1(VALU_DEP_2)
	v_add3_u32 v35, v35, v24, v8
	v_cndmask_b32_e64 v8, 0, 1, vcc_lo
	v_lshlrev_b64 v[57:58], 3, v[34:35]
	v_add_co_u32 v34, s0, s12, v34
	s_delay_alu instid0(VALU_DEP_1) | instskip(NEXT) | instid1(VALU_DEP_3)
	v_add_co_ci_u32_e64 v35, s0, s13, v35, s0
	v_add_co_u32 v57, s0, s8, v57
	s_delay_alu instid0(VALU_DEP_1)
	v_add_co_ci_u32_e64 v58, s0, s9, v58, s0
	v_mul_f64 v[32:33], v[25:26], v[32:33]
	global_store_b64 v[57:58], v[32:33], off
	global_store_b8 v[34:35], v8, off
	s_or_b32 exec_lo, exec_lo, s4
	s_and_saveexec_b32 s4, s1
	s_cbranch_execz .LBB89_48
.LBB89_59:                              ;   in Loop: Header=BB89_8 Depth=1
	v_cvt_f32_u32_e32 v8, v9
	v_mul_lo_u32 v16, v16, s10
	v_mad_u64_u32 v[32:33], null, v15, s10, 0
	s_delay_alu instid0(VALU_DEP_3) | instskip(NEXT) | instid1(VALU_DEP_1)
	v_fmaak_f32 v8, 0x2f800000, v8, 0x2f800000
	v_cvt_f64_f32_e32 v[8:9], v8
	s_delay_alu instid0(VALU_DEP_1) | instskip(SKIP_2) | instid1(VALU_DEP_1)
	v_cmp_gt_f64_e32 vcc_lo, s[18:19], v[8:9]
	v_cndmask_b32_e64 v24, 0, 0x3ff00000, vcc_lo
	s_waitcnt vmcnt(0)
	v_mul_f64 v[8:9], v[2:3], v[23:24]
	v_mul_lo_u32 v24, v15, s11
	s_delay_alu instid0(VALU_DEP_1) | instskip(SKIP_1) | instid1(VALU_DEP_2)
	v_add3_u32 v33, v33, v24, v16
	v_cndmask_b32_e64 v24, 0, 1, vcc_lo
	v_lshlrev_b64 v[15:16], 3, v[32:33]
	v_add_co_u32 v32, s0, s12, v32
	s_delay_alu instid0(VALU_DEP_1) | instskip(NEXT) | instid1(VALU_DEP_3)
	v_add_co_ci_u32_e64 v33, s0, s13, v33, s0
	v_add_co_u32 v15, s0, s8, v15
	s_delay_alu instid0(VALU_DEP_1)
	v_add_co_ci_u32_e64 v16, s0, s9, v16, s0
	v_mul_f64 v[8:9], v[25:26], v[8:9]
	global_store_b64 v[15:16], v[8:9], off
	global_store_b8 v[32:33], v24, off
	s_or_b32 exec_lo, exec_lo, s4
	s_and_saveexec_b32 s1, s2
	s_cbranch_execz .LBB89_49
.LBB89_60:                              ;   in Loop: Header=BB89_8 Depth=1
	v_cvt_f32_u32_e32 v8, v10
	v_mul_lo_u32 v10, v18, s10
	v_mul_lo_u32 v18, v17, s11
	v_mad_u64_u32 v[15:16], null, v17, s10, 0
	s_delay_alu instid0(VALU_DEP_4) | instskip(NEXT) | instid1(VALU_DEP_1)
	v_fmaak_f32 v8, 0x2f800000, v8, 0x2f800000
	v_cvt_f64_f32_e32 v[8:9], v8
	s_delay_alu instid0(VALU_DEP_3) | instskip(NEXT) | instid1(VALU_DEP_1)
	v_add3_u32 v16, v16, v18, v10
	v_lshlrev_b64 v[17:18], 3, v[15:16]
	v_add_co_u32 v15, s0, s12, v15
	s_delay_alu instid0(VALU_DEP_1) | instskip(NEXT) | instid1(VALU_DEP_3)
	v_add_co_ci_u32_e64 v16, s0, s13, v16, s0
	v_add_co_u32 v17, s0, s8, v17
	s_delay_alu instid0(VALU_DEP_1) | instskip(SKIP_4) | instid1(VALU_DEP_2)
	v_add_co_ci_u32_e64 v18, s0, s9, v18, s0
	v_cmp_gt_f64_e32 vcc_lo, s[18:19], v[8:9]
	v_cndmask_b32_e64 v24, 0, 0x3ff00000, vcc_lo
	v_cndmask_b32_e64 v10, 0, 1, vcc_lo
	s_waitcnt vmcnt(0)
	v_mul_f64 v[8:9], v[4:5], v[23:24]
	s_delay_alu instid0(VALU_DEP_1)
	v_mul_f64 v[8:9], v[25:26], v[8:9]
	global_store_b64 v[17:18], v[8:9], off
	global_store_b8 v[15:16], v10, off
	s_or_b32 exec_lo, exec_lo, s1
	s_and_saveexec_b32 s1, s3
	s_cbranch_execz .LBB89_7
.LBB89_61:                              ;   in Loop: Header=BB89_8 Depth=1
	v_cvt_f32_u32_e32 v8, v11
	v_mul_lo_u32 v15, v31, s10
	v_mul_lo_u32 v16, v30, s11
	v_mad_u64_u32 v[10:11], null, v30, s10, 0
	s_delay_alu instid0(VALU_DEP_4) | instskip(NEXT) | instid1(VALU_DEP_1)
	v_fmaak_f32 v8, 0x2f800000, v8, 0x2f800000
	v_cvt_f64_f32_e32 v[8:9], v8
	s_delay_alu instid0(VALU_DEP_3) | instskip(NEXT) | instid1(VALU_DEP_1)
	v_add3_u32 v11, v11, v16, v15
	v_lshlrev_b64 v[15:16], 3, v[10:11]
	v_add_co_u32 v10, s0, s12, v10
	s_delay_alu instid0(VALU_DEP_1) | instskip(NEXT) | instid1(VALU_DEP_3)
	v_add_co_ci_u32_e64 v11, s0, s13, v11, s0
	v_add_co_u32 v15, s0, s8, v15
	s_delay_alu instid0(VALU_DEP_1) | instskip(SKIP_4) | instid1(VALU_DEP_2)
	v_add_co_ci_u32_e64 v16, s0, s9, v16, s0
	v_cmp_gt_f64_e32 vcc_lo, s[18:19], v[8:9]
	v_cndmask_b32_e64 v24, 0, 0x3ff00000, vcc_lo
	v_cndmask_b32_e64 v17, 0, 1, vcc_lo
	s_waitcnt vmcnt(0)
	v_mul_f64 v[8:9], v[6:7], v[23:24]
	s_delay_alu instid0(VALU_DEP_1)
	v_mul_f64 v[8:9], v[25:26], v[8:9]
	global_store_b64 v[15:16], v[8:9], off
	global_store_b8 v[10:11], v17, off
	s_branch .LBB89_7
.LBB89_62:
	s_endpgm
.LBB89_63:
                                        ; implicit-def: $sgpr2_sgpr3
	s_branch .LBB89_4
	.section	.rodata,"a",@progbits
	.p2align	6, 0x0
	.amdhsa_kernel _ZN2at6native12_GLOBAL__N_120fused_dropout_kernelIddmLin1ELi1EhEEvNS_4cuda6detail10TensorInfoIKT_T1_EENS5_IS6_S8_EENS5_IT4_S8_EES8_T0_NS_15PhiloxCudaStateE
		.amdhsa_group_segment_fixed_size 0
		.amdhsa_private_segment_fixed_size 0
		.amdhsa_kernarg_size 1552
		.amdhsa_user_sgpr_count 15
		.amdhsa_user_sgpr_dispatch_ptr 0
		.amdhsa_user_sgpr_queue_ptr 0
		.amdhsa_user_sgpr_kernarg_segment_ptr 1
		.amdhsa_user_sgpr_dispatch_id 0
		.amdhsa_user_sgpr_private_segment_size 0
		.amdhsa_wavefront_size32 1
		.amdhsa_uses_dynamic_stack 0
		.amdhsa_enable_private_segment 0
		.amdhsa_system_sgpr_workgroup_id_x 1
		.amdhsa_system_sgpr_workgroup_id_y 0
		.amdhsa_system_sgpr_workgroup_id_z 0
		.amdhsa_system_sgpr_workgroup_info 0
		.amdhsa_system_vgpr_workitem_id 0
		.amdhsa_next_free_vgpr 64
		.amdhsa_next_free_sgpr 40
		.amdhsa_reserve_vcc 1
		.amdhsa_float_round_mode_32 0
		.amdhsa_float_round_mode_16_64 0
		.amdhsa_float_denorm_mode_32 3
		.amdhsa_float_denorm_mode_16_64 3
		.amdhsa_dx10_clamp 1
		.amdhsa_ieee_mode 1
		.amdhsa_fp16_overflow 0
		.amdhsa_workgroup_processor_mode 1
		.amdhsa_memory_ordered 1
		.amdhsa_forward_progress 0
		.amdhsa_shared_vgpr_count 0
		.amdhsa_exception_fp_ieee_invalid_op 0
		.amdhsa_exception_fp_denorm_src 0
		.amdhsa_exception_fp_ieee_div_zero 0
		.amdhsa_exception_fp_ieee_overflow 0
		.amdhsa_exception_fp_ieee_underflow 0
		.amdhsa_exception_fp_ieee_inexact 0
		.amdhsa_exception_int_div_zero 0
	.end_amdhsa_kernel
	.section	.text._ZN2at6native12_GLOBAL__N_120fused_dropout_kernelIddmLin1ELi1EhEEvNS_4cuda6detail10TensorInfoIKT_T1_EENS5_IS6_S8_EENS5_IT4_S8_EES8_T0_NS_15PhiloxCudaStateE,"axG",@progbits,_ZN2at6native12_GLOBAL__N_120fused_dropout_kernelIddmLin1ELi1EhEEvNS_4cuda6detail10TensorInfoIKT_T1_EENS5_IS6_S8_EENS5_IT4_S8_EES8_T0_NS_15PhiloxCudaStateE,comdat
.Lfunc_end89:
	.size	_ZN2at6native12_GLOBAL__N_120fused_dropout_kernelIddmLin1ELi1EhEEvNS_4cuda6detail10TensorInfoIKT_T1_EENS5_IS6_S8_EENS5_IT4_S8_EES8_T0_NS_15PhiloxCudaStateE, .Lfunc_end89-_ZN2at6native12_GLOBAL__N_120fused_dropout_kernelIddmLin1ELi1EhEEvNS_4cuda6detail10TensorInfoIKT_T1_EENS5_IS6_S8_EENS5_IT4_S8_EES8_T0_NS_15PhiloxCudaStateE
                                        ; -- End function
	.section	.AMDGPU.csdata,"",@progbits
; Kernel info:
; codeLenInByte = 8260
; NumSgprs: 42
; NumVgprs: 64
; ScratchSize: 0
; MemoryBound: 0
; FloatMode: 240
; IeeeMode: 1
; LDSByteSize: 0 bytes/workgroup (compile time only)
; SGPRBlocks: 5
; VGPRBlocks: 7
; NumSGPRsForWavesPerEU: 42
; NumVGPRsForWavesPerEU: 64
; Occupancy: 16
; WaveLimiterHint : 1
; COMPUTE_PGM_RSRC2:SCRATCH_EN: 0
; COMPUTE_PGM_RSRC2:USER_SGPR: 15
; COMPUTE_PGM_RSRC2:TRAP_HANDLER: 0
; COMPUTE_PGM_RSRC2:TGID_X_EN: 1
; COMPUTE_PGM_RSRC2:TGID_Y_EN: 0
; COMPUTE_PGM_RSRC2:TGID_Z_EN: 0
; COMPUTE_PGM_RSRC2:TIDIG_COMP_CNT: 0
	.section	.text._ZN2at6native12_GLOBAL__N_120fused_dropout_kernelIddmLin1ELin1EhEEvNS_4cuda6detail10TensorInfoIKT_T1_EENS5_IS6_S8_EENS5_IT4_S8_EES8_T0_NS_15PhiloxCudaStateE,"axG",@progbits,_ZN2at6native12_GLOBAL__N_120fused_dropout_kernelIddmLin1ELin1EhEEvNS_4cuda6detail10TensorInfoIKT_T1_EENS5_IS6_S8_EENS5_IT4_S8_EES8_T0_NS_15PhiloxCudaStateE,comdat
	.globl	_ZN2at6native12_GLOBAL__N_120fused_dropout_kernelIddmLin1ELin1EhEEvNS_4cuda6detail10TensorInfoIKT_T1_EENS5_IS6_S8_EENS5_IT4_S8_EES8_T0_NS_15PhiloxCudaStateE ; -- Begin function _ZN2at6native12_GLOBAL__N_120fused_dropout_kernelIddmLin1ELin1EhEEvNS_4cuda6detail10TensorInfoIKT_T1_EENS5_IS6_S8_EENS5_IT4_S8_EES8_T0_NS_15PhiloxCudaStateE
	.p2align	8
	.type	_ZN2at6native12_GLOBAL__N_120fused_dropout_kernelIddmLin1ELin1EhEEvNS_4cuda6detail10TensorInfoIKT_T1_EENS5_IS6_S8_EENS5_IT4_S8_EES8_T0_NS_15PhiloxCudaStateE,@function
_ZN2at6native12_GLOBAL__N_120fused_dropout_kernelIddmLin1ELin1EhEEvNS_4cuda6detail10TensorInfoIKT_T1_EENS5_IS6_S8_EENS5_IT4_S8_EES8_T0_NS_15PhiloxCudaStateE: ; @_ZN2at6native12_GLOBAL__N_120fused_dropout_kernelIddmLin1ELin1EhEEvNS_4cuda6detail10TensorInfoIKT_T1_EENS5_IS6_S8_EENS5_IT4_S8_EES8_T0_NS_15PhiloxCudaStateE
; %bb.0:
	s_clause 0x1
	s_load_b256 s[16:23], s[0:1], 0x4e0
	s_load_b32 s2, s[0:1], 0x508
	s_waitcnt lgkmcnt(0)
	v_dual_mov_b32 v1, s22 :: v_dual_mov_b32 v2, s23
	v_dual_mov_b32 v19, s20 :: v_dual_mov_b32 v20, s21
	s_bitcmp0_b32 s2, 0
	s_mov_b32 s2, 0
	s_cbranch_scc1 .LBB90_2
; %bb.1:
	v_dual_mov_b32 v1, s22 :: v_dual_mov_b32 v2, s23
	v_dual_mov_b32 v3, s20 :: v_dual_mov_b32 v4, s21
	s_load_b64 s[4:5], s[0:1], 0x500
	flat_load_b64 v[1:2], v[1:2]
	flat_load_b64 v[19:20], v[3:4]
	s_waitcnt vmcnt(1) lgkmcnt(0)
	v_add_co_u32 v1, vcc_lo, v1, s4
	v_add_co_ci_u32_e32 v2, vcc_lo, s5, v2, vcc_lo
.LBB90_2:
	s_clause 0x1
	s_load_b32 s3, s[0:1], 0x51c
	s_load_b32 s4, s[0:1], 0x510
	s_waitcnt lgkmcnt(0)
	s_and_b32 s5, s3, 0xffff
	s_add_u32 s6, s16, -1
	s_mul_i32 s30, s4, s5
	s_addc_u32 s3, s17, -1
	s_lshl_b32 s31, s30, 2
	s_cmp_lg_u64 s[2:3], 0
	s_cbranch_scc0 .LBB90_88
; %bb.3:
	v_cvt_f32_u32_e32 v3, s31
	s_sub_u32 s8, 0, s31
	s_subb_u32 s9, 0, 0
	s_delay_alu instid0(VALU_DEP_1) | instskip(NEXT) | instid1(VALU_DEP_1)
	v_fmamk_f32 v3, 0, 0x4f800000, v3
	v_rcp_f32_e32 v3, v3
	s_waitcnt_depctr 0xfff
	v_mul_f32_e32 v3, 0x5f7ffffc, v3
	s_delay_alu instid0(VALU_DEP_1) | instskip(NEXT) | instid1(VALU_DEP_1)
	v_mul_f32_e32 v4, 0x2f800000, v3
	v_trunc_f32_e32 v4, v4
	s_delay_alu instid0(VALU_DEP_1) | instskip(SKIP_1) | instid1(VALU_DEP_2)
	v_fmamk_f32 v3, v4, 0xcf800000, v3
	v_cvt_u32_f32_e32 v4, v4
	v_cvt_u32_f32_e32 v3, v3
	s_delay_alu instid0(VALU_DEP_2) | instskip(NEXT) | instid1(VALU_DEP_2)
	v_readfirstlane_b32 s2, v4
	v_readfirstlane_b32 s7, v3
	s_delay_alu instid0(VALU_DEP_2) | instskip(NEXT) | instid1(VALU_DEP_1)
	s_mul_i32 s10, s8, s2
	s_mul_hi_u32 s12, s8, s7
	s_mul_i32 s11, s9, s7
	s_add_i32 s10, s12, s10
	s_mul_i32 s13, s8, s7
	s_add_i32 s10, s10, s11
	s_mul_hi_u32 s12, s7, s13
	s_mul_hi_u32 s14, s2, s13
	s_mul_i32 s11, s2, s13
	s_mul_hi_u32 s13, s7, s10
	s_mul_i32 s7, s7, s10
	s_mul_hi_u32 s20, s2, s10
	s_add_u32 s7, s12, s7
	s_addc_u32 s12, 0, s13
	s_add_u32 s7, s7, s11
	s_mul_i32 s10, s2, s10
	s_addc_u32 s7, s12, s14
	s_addc_u32 s11, s20, 0
	s_add_u32 s7, s7, s10
	s_addc_u32 s10, 0, s11
	v_add_co_u32 v3, s7, v3, s7
	s_delay_alu instid0(VALU_DEP_1) | instskip(SKIP_1) | instid1(VALU_DEP_1)
	s_cmp_lg_u32 s7, 0
	s_addc_u32 s2, s2, s10
	v_readfirstlane_b32 s7, v3
	s_mul_i32 s10, s8, s2
	s_delay_alu instid0(VALU_DEP_1)
	s_mul_hi_u32 s11, s8, s7
	s_mul_i32 s9, s9, s7
	s_add_i32 s10, s11, s10
	s_mul_i32 s8, s8, s7
	s_add_i32 s10, s10, s9
	s_mul_hi_u32 s11, s2, s8
	s_mul_i32 s12, s2, s8
	s_mul_hi_u32 s8, s7, s8
	s_mul_hi_u32 s13, s7, s10
	s_mul_i32 s7, s7, s10
	s_mul_hi_u32 s9, s2, s10
	s_add_u32 s7, s8, s7
	s_addc_u32 s8, 0, s13
	s_add_u32 s7, s7, s12
	s_mul_i32 s10, s2, s10
	s_addc_u32 s7, s8, s11
	s_addc_u32 s8, s9, 0
	s_add_u32 s7, s7, s10
	s_addc_u32 s8, 0, s8
	v_add_co_u32 v3, s7, v3, s7
	s_delay_alu instid0(VALU_DEP_1) | instskip(SKIP_1) | instid1(VALU_DEP_1)
	s_cmp_lg_u32 s7, 0
	s_addc_u32 s2, s2, s8
	v_readfirstlane_b32 s7, v3
	s_mul_i32 s9, s6, s2
	s_mul_hi_u32 s8, s6, s2
	s_mul_hi_u32 s10, s3, s2
	s_mul_i32 s2, s3, s2
	s_mul_hi_u32 s11, s6, s7
	s_mul_hi_u32 s12, s3, s7
	s_mul_i32 s7, s3, s7
	s_add_u32 s9, s11, s9
	s_addc_u32 s8, 0, s8
	s_add_u32 s7, s9, s7
	s_addc_u32 s7, s8, s12
	s_addc_u32 s8, s10, 0
	s_add_u32 s2, s7, s2
	s_addc_u32 s8, 0, s8
	s_mul_i32 s9, s31, s2
	s_add_u32 s7, s2, 1
	v_sub_co_u32 v3, s9, s6, s9
	s_mul_hi_u32 s10, s31, s2
	s_addc_u32 s11, s8, 0
	s_mul_i32 s12, s31, s8
	s_delay_alu instid0(VALU_DEP_1)
	v_sub_co_u32 v4, s13, v3, s31
	s_add_u32 s14, s2, 2
	s_addc_u32 s20, s8, 0
	s_add_i32 s10, s10, s12
	s_cmp_lg_u32 s9, 0
	v_readfirstlane_b32 s9, v4
	s_subb_u32 s3, s3, s10
	s_cmp_lg_u32 s13, 0
	s_subb_u32 s10, s3, 0
	s_delay_alu instid0(VALU_DEP_1) | instskip(SKIP_4) | instid1(SALU_CYCLE_1)
	s_cmp_ge_u32 s9, s31
	s_cselect_b32 s9, -1, 0
	s_cmp_eq_u32 s10, 0
	v_readfirstlane_b32 s10, v3
	s_cselect_b32 s9, s9, -1
	s_cmp_lg_u32 s9, 0
	s_cselect_b32 s9, s14, s7
	s_cselect_b32 s11, s20, s11
	s_cmp_ge_u32 s10, s31
	s_cselect_b32 s7, -1, 0
	s_cmp_eq_u32 s3, 0
	s_cselect_b32 s3, s7, -1
	s_delay_alu instid0(SALU_CYCLE_1)
	s_cmp_lg_u32 s3, 0
	s_cselect_b32 s3, s11, s8
	s_cselect_b32 s2, s9, s2
	s_cbranch_execnz .LBB90_5
.LBB90_4:
	v_cvt_f32_u32_e32 v3, s31
	s_sub_i32 s3, 0, s31
	s_delay_alu instid0(VALU_DEP_1) | instskip(SKIP_2) | instid1(VALU_DEP_1)
	v_rcp_iflag_f32_e32 v3, v3
	s_waitcnt_depctr 0xfff
	v_mul_f32_e32 v3, 0x4f7ffffe, v3
	v_cvt_u32_f32_e32 v3, v3
	s_delay_alu instid0(VALU_DEP_1) | instskip(NEXT) | instid1(VALU_DEP_1)
	v_readfirstlane_b32 s2, v3
	s_mul_i32 s3, s3, s2
	s_delay_alu instid0(SALU_CYCLE_1) | instskip(NEXT) | instid1(SALU_CYCLE_1)
	s_mul_hi_u32 s3, s2, s3
	s_add_i32 s2, s2, s3
	s_delay_alu instid0(SALU_CYCLE_1) | instskip(NEXT) | instid1(SALU_CYCLE_1)
	s_mul_hi_u32 s2, s6, s2
	s_mul_i32 s3, s2, s31
	s_delay_alu instid0(SALU_CYCLE_1)
	s_sub_i32 s3, s6, s3
	s_add_i32 s6, s2, 1
	s_sub_i32 s7, s3, s31
	s_cmp_ge_u32 s3, s31
	s_cselect_b32 s2, s6, s2
	s_cselect_b32 s3, s7, s3
	s_add_i32 s6, s2, 1
	s_cmp_ge_u32 s3, s31
	s_mov_b32 s3, 0
	s_cselect_b32 s2, s6, s2
.LBB90_5:
	s_delay_alu instid0(SALU_CYCLE_1)
	s_add_u32 s2, s2, 1
	s_addc_u32 s3, s3, 0
	v_mov_b32_e32 v23, 0
	v_mad_u64_u32 v[21:22], null, s15, s5, v[0:1]
	s_mul_i32 s3, s30, s3
	s_mul_hi_u32 s6, s30, s2
	s_mul_hi_u32 s4, s4, s5
	s_add_i32 s3, s6, s3
	s_mul_i32 s4, s4, s2
	v_mov_b32_e32 v22, v23
	s_add_i32 s3, s3, s4
	s_mul_i32 s2, s30, s2
	s_delay_alu instid0(SALU_CYCLE_1)
	s_lshl_b64 s[6:7], s[2:3], 2
	s_mov_b32 s2, exec_lo
	v_cmpx_gt_u64_e64 s[6:7], v[21:22]
	s_cbranch_execz .LBB90_87
; %bb.6:
	v_div_scale_f64 v[3:4], null, s[18:19], s[18:19], 1.0
	v_div_scale_f64 v[9:10], vcc_lo, 1.0, s[18:19], 1.0
	v_alignbit_b32 v38, v2, v1, 2
	v_lshrrev_b32_e32 v39, 2, v2
	s_waitcnt vmcnt(0)
	v_add_co_u32 v41, null, 0x9e3779b9, v19
	v_dual_mov_b32 v26, v20 :: v_dual_add_nc_u32 v57, 0x96a522ad, v20
	v_mad_u64_u32 v[11:12], null, 0xd2511f53, v38, 0
	v_add_co_u32 v42, null, 0x3c6ef372, v19
	s_delay_alu instid0(VALU_DEP_3) | instskip(SKIP_1) | instid1(VALU_DEP_4)
	v_add_co_u32 v43, null, 0x76cf5d0a, v26
	v_add_co_u32 v40, null, 0xbb67ae85, v26
	v_xor_b32_e32 v2, v12, v20
	v_add_co_u32 v44, null, 0x32370b8f, v26
	v_add_co_u32 v45, null, 0xdaa66d2b, v19
	s_delay_alu instid0(VALU_DEP_3)
	v_mad_u64_u32 v[16:17], null, 0xcd9e8d57, v2, 0
	v_add_co_u32 v46, null, 0x78dde6e4, v19
	v_add_co_u32 v47, null, 0xed9eba14, v26
	;; [unrolled: 1-line block ×6, first 2 shown]
	s_clause 0x1
	s_load_b32 s22, s[0:1], 0x198
	s_load_b64 s[14:15], s[0:1], 0x270
	v_rcp_f64_e32 v[5:6], v[3:4]
	v_add_co_u32 v53, null, 0x1fd5c5a3, v26
	v_add_co_u32 v54, null, 0xdb3d7428, v26
	s_clause 0x1
	s_load_b64 s[8:9], s[0:1], 0x340
	s_load_b32 s24, s[0:1], 0x338
	v_add_co_u32 v52, null, 0x5384540f, v19
	v_add_co_u32 v55, null, 0xf1bbcdc8, v19
	s_add_u32 s25, s0, 0x1a0
	s_addc_u32 s26, s1, 0
	s_clause 0x2
	s_load_b64 s[10:11], s[0:1], 0x1a0
	s_load_b64 s[12:13], s[0:1], 0xd0
	;; [unrolled: 1-line block ×3, first 2 shown]
	s_mov_b32 s5, 0
	v_mov_b32_e32 v28, v22
	v_dual_mov_b32 v27, v21 :: v_dual_and_b32 v58, 3, v1
	s_waitcnt lgkmcnt(0)
	s_cmp_gt_i32 s22, 1
	v_mov_b32_e32 v22, 0
	s_cselect_b32 s33, -1, 0
	s_mul_i32 s37, s30, 3
	s_cmp_gt_i32 s24, 1
	s_cselect_b32 s34, -1, 0
	s_add_i32 s4, s22, -1
	s_lshl_b32 s35, s30, 1
	s_lshl_b64 s[2:3], s[4:5], 3
	s_add_i32 s36, s22, 1
	s_add_u32 s0, s2, s0
	s_addc_u32 s1, s3, s1
	s_add_u32 s22, s0, 8
	s_addc_u32 s23, s1, 0
	s_add_i32 s4, s24, -1
	s_add_i32 s38, s24, 1
	s_lshl_b64 s[0:1], s[4:5], 3
	s_delay_alu instid0(TRANS32_DEP_1) | instskip(SKIP_4) | instid1(VALU_DEP_1)
	v_fma_f64 v[7:8], -v[3:4], v[5:6], 1.0
	s_add_u32 s0, s0, s25
	s_addc_u32 s1, s1, s26
	s_add_u32 s24, s0, 8
	s_addc_u32 s25, s1, 0
	v_fma_f64 v[5:6], v[5:6], v[7:8], v[5:6]
	s_delay_alu instid0(VALU_DEP_1) | instskip(NEXT) | instid1(VALU_DEP_1)
	v_fma_f64 v[7:8], -v[3:4], v[5:6], 1.0
	v_fma_f64 v[5:6], v[5:6], v[7:8], v[5:6]
	v_mad_u64_u32 v[7:8], null, 0xcd9e8d57, v21, 0
	s_delay_alu instid0(VALU_DEP_1) | instskip(NEXT) | instid1(VALU_DEP_2)
	v_xor3_b32 v0, v19, v8, v39
	v_xor3_b32 v2, v17, v41, v7
	s_delay_alu instid0(VALU_DEP_2) | instskip(NEXT) | instid1(VALU_DEP_2)
	v_mad_u64_u32 v[12:13], null, 0xd2511f53, v0, 0
	v_mad_u64_u32 v[17:18], null, 0xd2511f53, v2, 0
	s_delay_alu instid0(VALU_DEP_2) | instskip(NEXT) | instid1(VALU_DEP_2)
	v_xor3_b32 v0, v40, v13, v11
	v_xor3_b32 v2, v18, v43, v12
	s_delay_alu instid0(VALU_DEP_2) | instskip(NEXT) | instid1(VALU_DEP_2)
	v_mad_u64_u32 v[7:8], null, 0xcd9e8d57, v0, 0
	v_mad_u64_u32 v[24:25], null, 0xcd9e8d57, v2, 0
	s_delay_alu instid0(VALU_DEP_2) | instskip(SKIP_1) | instid1(VALU_DEP_2)
	v_xor3_b32 v0, v42, v8, v16
	v_mul_f64 v[14:15], v[9:10], v[5:6]
	v_mad_u64_u32 v[11:12], null, 0xd2511f53, v0, 0
	s_delay_alu instid0(VALU_DEP_1) | instskip(NEXT) | instid1(VALU_DEP_3)
	v_xor3_b32 v0, v44, v12, v17
	v_fma_f64 v[2:3], -v[3:4], v[14:15], v[9:10]
	v_xor3_b32 v4, v25, v45, v7
	s_delay_alu instid0(VALU_DEP_3) | instskip(NEXT) | instid1(VALU_DEP_2)
	v_mad_u64_u32 v[7:8], null, 0xcd9e8d57, v0, 0
	v_mad_u64_u32 v[9:10], null, 0xd2511f53, v4, 0
	s_delay_alu instid0(VALU_DEP_2) | instskip(NEXT) | instid1(VALU_DEP_2)
	v_xor3_b32 v0, v46, v8, v24
	v_xor3_b32 v4, v10, v47, v11
	s_delay_alu instid0(VALU_DEP_2) | instskip(NEXT) | instid1(VALU_DEP_2)
	v_mad_u64_u32 v[10:11], null, 0xd2511f53, v0, 0
	v_mad_u64_u32 v[12:13], null, 0xcd9e8d57, v4, 0
	s_delay_alu instid0(VALU_DEP_2) | instskip(NEXT) | instid1(VALU_DEP_2)
	v_xor3_b32 v4, v49, v11, v9
	v_xor3_b32 v0, v13, v48, v7
	s_delay_alu instid0(VALU_DEP_2) | instskip(NEXT) | instid1(VALU_DEP_2)
	v_mad_u64_u32 v[16:17], null, 0xcd9e8d57, v4, 0
	v_mad_u64_u32 v[7:8], null, 0xd2511f53, v0, 0
	v_div_fmas_f64 v[2:3], v[2:3], v[5:6], v[14:15]
	s_delay_alu instid0(VALU_DEP_3) | instskip(NEXT) | instid1(VALU_DEP_3)
	v_xor3_b32 v6, v51, v17, v12
	v_xor3_b32 v0, v8, v50, v10
	s_delay_alu instid0(VALU_DEP_2) | instskip(NEXT) | instid1(VALU_DEP_2)
	v_mad_u64_u32 v[8:9], null, 0xd2511f53, v6, 0
	v_mad_u64_u32 v[4:5], null, 0xcd9e8d57, v0, 0
	s_delay_alu instid0(VALU_DEP_2) | instskip(NEXT) | instid1(VALU_DEP_2)
	v_xor3_b32 v7, v53, v9, v7
	v_xor3_b32 v0, v5, v52, v16
	s_delay_alu instid0(VALU_DEP_2) | instskip(NEXT) | instid1(VALU_DEP_2)
	v_mad_u64_u32 v[11:12], null, 0xcd9e8d57, v7, 0
	v_mad_u64_u32 v[5:6], null, 0xd2511f53, v0, 0
	s_delay_alu instid0(VALU_DEP_2) | instskip(NEXT) | instid1(VALU_DEP_2)
	v_xor3_b32 v4, v55, v12, v4
	v_xor3_b32 v0, v6, v54, v8
	s_delay_alu instid0(VALU_DEP_1) | instskip(SKIP_1) | instid1(VALU_DEP_4)
	v_mad_u64_u32 v[9:10], null, 0xcd9e8d57, v0, 0
	v_div_fixup_f64 v[25:26], v[2:3], s[18:19], 1.0
	v_mad_u64_u32 v[2:3], null, 0xd2511f53, v4, 0
	v_add_nc_u32_e32 v56, 0x8ff34781, v19
	s_delay_alu instid0(VALU_DEP_1) | instskip(NEXT) | instid1(VALU_DEP_3)
	v_xor3_b32 v8, v11, v10, v56
	v_mov_b32_e32 v11, v2
	s_delay_alu instid0(VALU_DEP_4)
	v_xor3_b32 v10, v3, v5, v57
                                        ; implicit-def: $vgpr0_vgpr1_vgpr2_vgpr3_vgpr4_vgpr5_vgpr6_vgpr7
	s_branch .LBB90_9
.LBB90_7:                               ;   in Loop: Header=BB90_9 Depth=1
	v_cvt_f32_u32_e32 v10, v11
	s_delay_alu instid0(VALU_DEP_3) | instskip(NEXT) | instid1(VALU_DEP_3)
	v_mad_u64_u32 v[17:18], null, s14, v15, v[8:9]
	v_mul_lo_u32 v8, s14, v16
	v_mul_lo_u32 v9, s15, v15
	s_delay_alu instid0(VALU_DEP_4) | instskip(NEXT) | instid1(VALU_DEP_4)
	v_fmaak_f32 v10, 0x2f800000, v10, 0x2f800000
	v_add_co_u32 v15, s0, s8, v17
	s_delay_alu instid0(VALU_DEP_2) | instskip(NEXT) | instid1(VALU_DEP_4)
	v_cvt_f64_f32_e32 v[10:11], v10
	v_add3_u32 v18, v9, v18, v8
	s_delay_alu instid0(VALU_DEP_1) | instskip(SKIP_1) | instid1(VALU_DEP_2)
	v_lshlrev_b64 v[8:9], 3, v[17:18]
	v_add_co_ci_u32_e64 v16, s0, s9, v18, s0
	v_add_co_u32 v8, s0, s10, v8
	s_delay_alu instid0(VALU_DEP_1) | instskip(SKIP_4) | instid1(VALU_DEP_2)
	v_add_co_ci_u32_e64 v9, s0, s11, v9, s0
	v_cmp_gt_f64_e32 vcc_lo, s[18:19], v[10:11]
	v_cndmask_b32_e64 v24, 0, 0x3ff00000, vcc_lo
	v_cndmask_b32_e64 v17, 0, 1, vcc_lo
	s_waitcnt vmcnt(0)
	v_mul_f64 v[10:11], v[6:7], v[23:24]
	s_delay_alu instid0(VALU_DEP_1)
	v_mul_f64 v[10:11], v[25:26], v[10:11]
	global_store_b64 v[8:9], v[10:11], off
	global_store_b8 v[15:16], v17, off
.LBB90_8:                               ;   in Loop: Header=BB90_9 Depth=1
	s_or_b32 exec_lo, exec_lo, s1
	v_add_co_u32 v27, vcc_lo, v27, s31
	v_add_co_ci_u32_e32 v28, vcc_lo, 0, v28, vcc_lo
	v_mov_b32_e32 v15, v29
	v_dual_mov_b32 v8, v12 :: v_dual_mov_b32 v9, v13
	s_delay_alu instid0(VALU_DEP_3) | instskip(NEXT) | instid1(VALU_DEP_3)
	v_cmp_le_u64_e32 vcc_lo, s[6:7], v[27:28]
	v_dual_mov_b32 v10, v14 :: v_dual_mov_b32 v11, v15
	s_waitcnt vmcnt(0)
	s_waitcnt_vscnt null, 0x0
	s_barrier
	buffer_gl0_inv
	s_or_b32 s5, vcc_lo, s5
	s_delay_alu instid0(SALU_CYCLE_1)
	s_and_not1_b32 exec_lo, exec_lo, s5
	s_cbranch_execz .LBB90_87
.LBB90_9:                               ; =>This Loop Header: Depth=1
                                        ;     Child Loop BB90_21 Depth 2
                                        ;     Child Loop BB90_30 Depth 2
	;; [unrolled: 1-line block ×8, first 2 shown]
	v_add_co_u32 v38, vcc_lo, v38, 1
	s_delay_alu instid0(VALU_DEP_1) | instskip(SKIP_2) | instid1(VALU_DEP_1)
	v_cndmask_b32_e64 v12, 0, 1, vcc_lo
	v_add_co_ci_u32_e32 v39, vcc_lo, 0, v39, vcc_lo
	s_mov_b32 s0, exec_lo
	v_cmp_eq_u32_e32 vcc_lo, 0, v39
	s_delay_alu instid0(VALU_DEP_3) | instskip(NEXT) | instid1(VALU_DEP_1)
	v_cndmask_b32_e32 v12, 0, v12, vcc_lo
	v_add_nc_u32_e32 v21, v12, v21
	s_delay_alu instid0(VALU_DEP_1) | instskip(SKIP_2) | instid1(VALU_DEP_2)
	v_cmp_eq_u32_e32 vcc_lo, 0, v21
	v_cndmask_b32_e32 v12, 0, v12, vcc_lo
	v_mad_u64_u32 v[14:15], null, 0xcd9e8d57, v21, 0
	v_add_nc_u32_e32 v22, v12, v22
	v_mad_u64_u32 v[12:13], null, 0xd2511f53, v38, 0
	s_delay_alu instid0(VALU_DEP_3) | instskip(NEXT) | instid1(VALU_DEP_2)
	v_xor3_b32 v17, v15, v19, v39
	v_xor_b32_e32 v13, v13, v20
	s_delay_alu instid0(VALU_DEP_2) | instskip(NEXT) | instid1(VALU_DEP_2)
	v_mad_u64_u32 v[15:16], null, 0xd2511f53, v17, 0
	v_xor_b32_e32 v13, v22, v13
	s_delay_alu instid0(VALU_DEP_2) | instskip(NEXT) | instid1(VALU_DEP_2)
	v_xor3_b32 v16, v40, v16, v12
	v_mad_u64_u32 v[17:18], null, 0xcd9e8d57, v13, 0
	s_delay_alu instid0(VALU_DEP_2) | instskip(NEXT) | instid1(VALU_DEP_2)
	v_mad_u64_u32 v[12:13], null, 0xcd9e8d57, v16, 0
	v_xor3_b32 v14, v41, v18, v14
	s_delay_alu instid0(VALU_DEP_2) | instskip(NEXT) | instid1(VALU_DEP_2)
	v_xor3_b32 v16, v42, v13, v17
	v_mad_u64_u32 v[29:30], null, 0xd2511f53, v14, 0
	s_delay_alu instid0(VALU_DEP_2) | instskip(NEXT) | instid1(VALU_DEP_2)
	v_mad_u64_u32 v[13:14], null, 0xd2511f53, v16, 0
	v_xor3_b32 v17, v43, v30, v15
	s_delay_alu instid0(VALU_DEP_2) | instskip(NEXT) | instid1(VALU_DEP_2)
	v_xor3_b32 v14, v44, v14, v29
	v_mad_u64_u32 v[15:16], null, 0xcd9e8d57, v17, 0
	s_delay_alu instid0(VALU_DEP_1) | instskip(NEXT) | instid1(VALU_DEP_3)
	v_xor3_b32 v12, v45, v16, v12
	v_mad_u64_u32 v[16:17], null, 0xcd9e8d57, v14, 0
	s_delay_alu instid0(VALU_DEP_2) | instskip(NEXT) | instid1(VALU_DEP_2)
	v_mad_u64_u32 v[29:30], null, 0xd2511f53, v12, 0
	v_xor3_b32 v14, v46, v17, v15
	s_delay_alu instid0(VALU_DEP_2) | instskip(NEXT) | instid1(VALU_DEP_2)
	v_xor3_b32 v17, v47, v30, v13
	v_mad_u64_u32 v[12:13], null, 0xd2511f53, v14, 0
	s_delay_alu instid0(VALU_DEP_2) | instskip(NEXT) | instid1(VALU_DEP_2)
	v_mad_u64_u32 v[14:15], null, 0xcd9e8d57, v17, 0
	v_xor3_b32 v13, v49, v13, v29
	s_delay_alu instid0(VALU_DEP_2) | instskip(NEXT) | instid1(VALU_DEP_2)
	;; [unrolled: 6-line block ×6, first 2 shown]
	v_xor3_b32 v12, v14, v15, v56
	v_mov_b32_e32 v14, v18
	v_cmpx_lt_i32_e32 1, v58
	s_xor_b32 s0, exec_lo, s0
	s_cbranch_execnz .LBB90_12
; %bb.10:                               ;   in Loop: Header=BB90_9 Depth=1
	s_and_not1_saveexec_b32 s0, s0
	s_cbranch_execnz .LBB90_17
.LBB90_11:                              ;   in Loop: Header=BB90_9 Depth=1
	s_or_b32 exec_lo, exec_lo, s0
	v_cmp_gt_u64_e64 s3, s[16:17], v[27:28]
	s_delay_alu instid0(VALU_DEP_1)
	s_and_saveexec_b32 s1, s3
	s_cbranch_execnz .LBB90_20
	s_branch .LBB90_28
.LBB90_12:                              ;   in Loop: Header=BB90_9 Depth=1
	s_mov_b32 s1, exec_lo
	v_cmpx_lt_i32_e32 2, v58
	s_xor_b32 s1, exec_lo, s1
; %bb.13:                               ;   in Loop: Header=BB90_9 Depth=1
	v_dual_mov_b32 v15, v11 :: v_dual_mov_b32 v16, v12
	v_mov_b32_e32 v17, v13
	s_delay_alu instid0(VALU_DEP_2) | instskip(NEXT) | instid1(VALU_DEP_2)
	v_dual_mov_b32 v8, v15 :: v_dual_mov_b32 v9, v16
	v_dual_mov_b32 v10, v17 :: v_dual_mov_b32 v11, v18
; %bb.14:                               ;   in Loop: Header=BB90_9 Depth=1
	s_and_not1_saveexec_b32 s1, s1
; %bb.15:                               ;   in Loop: Header=BB90_9 Depth=1
	s_delay_alu instid0(VALU_DEP_1)
	v_dual_mov_b32 v8, v10 :: v_dual_mov_b32 v9, v11
	v_dual_mov_b32 v10, v12 :: v_dual_mov_b32 v11, v13
; %bb.16:                               ;   in Loop: Header=BB90_9 Depth=1
	s_or_b32 exec_lo, exec_lo, s1
	s_and_not1_saveexec_b32 s0, s0
	s_cbranch_execz .LBB90_11
.LBB90_17:                              ;   in Loop: Header=BB90_9 Depth=1
	s_mov_b32 s1, exec_lo
	v_cmpx_eq_u32_e32 1, v58
; %bb.18:                               ;   in Loop: Header=BB90_9 Depth=1
	v_dual_mov_b32 v8, v9 :: v_dual_mov_b32 v9, v10
	v_dual_mov_b32 v10, v11 :: v_dual_mov_b32 v11, v12
; %bb.19:                               ;   in Loop: Header=BB90_9 Depth=1
	s_or_b32 exec_lo, exec_lo, s1
	s_delay_alu instid0(SALU_CYCLE_1) | instskip(SKIP_1) | instid1(VALU_DEP_1)
	s_or_b32 exec_lo, exec_lo, s0
	v_cmp_gt_u64_e64 s3, s[16:17], v[27:28]
	s_and_saveexec_b32 s1, s3
	s_cbranch_execz .LBB90_28
.LBB90_20:                              ;   in Loop: Header=BB90_9 Depth=1
	v_dual_mov_b32 v0, 0 :: v_dual_mov_b32 v15, v27
	v_dual_mov_b32 v1, 0 :: v_dual_mov_b32 v16, v28
	;; [unrolled: 1-line block ×3, first 2 shown]
	s_and_not1_b32 vcc_lo, exec_lo, s33
	s_mov_b64 s[26:27], s[22:23]
	s_mov_b32 s2, s36
	s_cbranch_vccnz .LBB90_27
.LBB90_21:                              ;   Parent Loop BB90_9 Depth=1
                                        ; =>  This Inner Loop Header: Depth=2
	s_load_b64 s[28:29], s[26:27], 0x0
                                        ; implicit-def: $vgpr17_vgpr18
	s_mov_b32 s0, exec_lo
	s_waitcnt lgkmcnt(0)
	v_or_b32_e32 v24, s29, v16
	s_delay_alu instid0(VALU_DEP_1)
	v_cmpx_ne_u64_e32 0, v[23:24]
	s_xor_b32 s4, exec_lo, s0
	s_cbranch_execz .LBB90_23
; %bb.22:                               ;   in Loop: Header=BB90_21 Depth=2
	v_cvt_f32_u32_e32 v17, s28
	v_cvt_f32_u32_e32 v18, s29
	s_sub_u32 s0, 0, s28
	s_subb_u32 s39, 0, s29
	s_delay_alu instid0(VALU_DEP_1) | instskip(NEXT) | instid1(VALU_DEP_1)
	v_fmac_f32_e32 v17, 0x4f800000, v18
	v_rcp_f32_e32 v17, v17
	s_waitcnt_depctr 0xfff
	v_mul_f32_e32 v17, 0x5f7ffffc, v17
	s_delay_alu instid0(VALU_DEP_1) | instskip(NEXT) | instid1(VALU_DEP_1)
	v_mul_f32_e32 v18, 0x2f800000, v17
	v_trunc_f32_e32 v18, v18
	s_delay_alu instid0(VALU_DEP_1) | instskip(SKIP_1) | instid1(VALU_DEP_2)
	v_fmac_f32_e32 v17, 0xcf800000, v18
	v_cvt_u32_f32_e32 v18, v18
	v_cvt_u32_f32_e32 v17, v17
	s_delay_alu instid0(VALU_DEP_2) | instskip(NEXT) | instid1(VALU_DEP_2)
	v_mul_lo_u32 v24, s0, v18
	v_mul_hi_u32 v30, s0, v17
	v_mul_lo_u32 v31, s39, v17
	s_delay_alu instid0(VALU_DEP_2) | instskip(SKIP_1) | instid1(VALU_DEP_2)
	v_add_nc_u32_e32 v24, v30, v24
	v_mul_lo_u32 v30, s0, v17
	v_add_nc_u32_e32 v24, v24, v31
	s_delay_alu instid0(VALU_DEP_2) | instskip(NEXT) | instid1(VALU_DEP_2)
	v_mul_hi_u32 v31, v17, v30
	v_mul_lo_u32 v32, v17, v24
	v_mul_hi_u32 v33, v17, v24
	v_mul_hi_u32 v34, v18, v30
	v_mul_lo_u32 v30, v18, v30
	v_mul_hi_u32 v35, v18, v24
	v_mul_lo_u32 v24, v18, v24
	v_add_co_u32 v31, vcc_lo, v31, v32
	v_add_co_ci_u32_e32 v32, vcc_lo, 0, v33, vcc_lo
	s_delay_alu instid0(VALU_DEP_2) | instskip(NEXT) | instid1(VALU_DEP_2)
	v_add_co_u32 v30, vcc_lo, v31, v30
	v_add_co_ci_u32_e32 v30, vcc_lo, v32, v34, vcc_lo
	v_add_co_ci_u32_e32 v31, vcc_lo, 0, v35, vcc_lo
	s_delay_alu instid0(VALU_DEP_2) | instskip(NEXT) | instid1(VALU_DEP_2)
	v_add_co_u32 v24, vcc_lo, v30, v24
	v_add_co_ci_u32_e32 v30, vcc_lo, 0, v31, vcc_lo
	s_delay_alu instid0(VALU_DEP_2) | instskip(NEXT) | instid1(VALU_DEP_2)
	v_add_co_u32 v17, vcc_lo, v17, v24
	v_add_co_ci_u32_e32 v18, vcc_lo, v18, v30, vcc_lo
	s_delay_alu instid0(VALU_DEP_2) | instskip(SKIP_1) | instid1(VALU_DEP_3)
	v_mul_hi_u32 v24, s0, v17
	v_mul_lo_u32 v31, s39, v17
	v_mul_lo_u32 v30, s0, v18
	s_delay_alu instid0(VALU_DEP_1) | instskip(SKIP_1) | instid1(VALU_DEP_2)
	v_add_nc_u32_e32 v24, v24, v30
	v_mul_lo_u32 v30, s0, v17
	v_add_nc_u32_e32 v24, v24, v31
	s_delay_alu instid0(VALU_DEP_2) | instskip(NEXT) | instid1(VALU_DEP_2)
	v_mul_hi_u32 v31, v17, v30
	v_mul_lo_u32 v32, v17, v24
	v_mul_hi_u32 v33, v17, v24
	v_mul_hi_u32 v34, v18, v30
	v_mul_lo_u32 v30, v18, v30
	v_mul_hi_u32 v35, v18, v24
	v_mul_lo_u32 v24, v18, v24
	v_add_co_u32 v31, vcc_lo, v31, v32
	v_add_co_ci_u32_e32 v32, vcc_lo, 0, v33, vcc_lo
	s_delay_alu instid0(VALU_DEP_2) | instskip(NEXT) | instid1(VALU_DEP_2)
	v_add_co_u32 v30, vcc_lo, v31, v30
	v_add_co_ci_u32_e32 v30, vcc_lo, v32, v34, vcc_lo
	v_add_co_ci_u32_e32 v31, vcc_lo, 0, v35, vcc_lo
	s_delay_alu instid0(VALU_DEP_2) | instskip(NEXT) | instid1(VALU_DEP_2)
	v_add_co_u32 v24, vcc_lo, v30, v24
	v_add_co_ci_u32_e32 v30, vcc_lo, 0, v31, vcc_lo
	s_delay_alu instid0(VALU_DEP_2) | instskip(NEXT) | instid1(VALU_DEP_2)
	v_add_co_u32 v24, vcc_lo, v17, v24
	v_add_co_ci_u32_e32 v34, vcc_lo, v18, v30, vcc_lo
	s_delay_alu instid0(VALU_DEP_2) | instskip(SKIP_1) | instid1(VALU_DEP_3)
	v_mul_hi_u32 v35, v15, v24
	v_mad_u64_u32 v[30:31], null, v16, v24, 0
	v_mad_u64_u32 v[17:18], null, v15, v34, 0
	;; [unrolled: 1-line block ×3, first 2 shown]
	s_delay_alu instid0(VALU_DEP_2) | instskip(NEXT) | instid1(VALU_DEP_3)
	v_add_co_u32 v17, vcc_lo, v35, v17
	v_add_co_ci_u32_e32 v18, vcc_lo, 0, v18, vcc_lo
	s_delay_alu instid0(VALU_DEP_2) | instskip(NEXT) | instid1(VALU_DEP_2)
	v_add_co_u32 v17, vcc_lo, v17, v30
	v_add_co_ci_u32_e32 v17, vcc_lo, v18, v31, vcc_lo
	v_add_co_ci_u32_e32 v18, vcc_lo, 0, v33, vcc_lo
	s_delay_alu instid0(VALU_DEP_2) | instskip(NEXT) | instid1(VALU_DEP_2)
	v_add_co_u32 v24, vcc_lo, v17, v32
	v_add_co_ci_u32_e32 v30, vcc_lo, 0, v18, vcc_lo
	s_delay_alu instid0(VALU_DEP_2) | instskip(SKIP_1) | instid1(VALU_DEP_3)
	v_mul_lo_u32 v31, s29, v24
	v_mad_u64_u32 v[17:18], null, s28, v24, 0
	v_mul_lo_u32 v32, s28, v30
	s_delay_alu instid0(VALU_DEP_2) | instskip(NEXT) | instid1(VALU_DEP_2)
	v_sub_co_u32 v17, vcc_lo, v15, v17
	v_add3_u32 v18, v18, v32, v31
	s_delay_alu instid0(VALU_DEP_1) | instskip(NEXT) | instid1(VALU_DEP_1)
	v_sub_nc_u32_e32 v31, v16, v18
	v_subrev_co_ci_u32_e64 v31, s0, s29, v31, vcc_lo
	v_add_co_u32 v32, s0, v24, 2
	s_delay_alu instid0(VALU_DEP_1) | instskip(SKIP_3) | instid1(VALU_DEP_3)
	v_add_co_ci_u32_e64 v33, s0, 0, v30, s0
	v_sub_co_u32 v34, s0, v17, s28
	v_sub_co_ci_u32_e32 v18, vcc_lo, v16, v18, vcc_lo
	v_subrev_co_ci_u32_e64 v31, s0, 0, v31, s0
	v_cmp_le_u32_e32 vcc_lo, s28, v34
	s_delay_alu instid0(VALU_DEP_3) | instskip(SKIP_1) | instid1(VALU_DEP_4)
	v_cmp_eq_u32_e64 s0, s29, v18
	v_cndmask_b32_e64 v34, 0, -1, vcc_lo
	v_cmp_le_u32_e32 vcc_lo, s29, v31
	v_cndmask_b32_e64 v35, 0, -1, vcc_lo
	v_cmp_le_u32_e32 vcc_lo, s28, v17
	;; [unrolled: 2-line block ×3, first 2 shown]
	v_cndmask_b32_e64 v36, 0, -1, vcc_lo
	v_cmp_eq_u32_e32 vcc_lo, s29, v31
	s_delay_alu instid0(VALU_DEP_2) | instskip(SKIP_3) | instid1(VALU_DEP_3)
	v_cndmask_b32_e64 v17, v36, v17, s0
	v_cndmask_b32_e32 v31, v35, v34, vcc_lo
	v_add_co_u32 v34, vcc_lo, v24, 1
	v_add_co_ci_u32_e32 v35, vcc_lo, 0, v30, vcc_lo
	v_cmp_ne_u32_e32 vcc_lo, 0, v31
	s_delay_alu instid0(VALU_DEP_2) | instskip(SKIP_1) | instid1(VALU_DEP_2)
	v_dual_cndmask_b32 v31, v34, v32 :: v_dual_cndmask_b32 v18, v35, v33
	v_cmp_ne_u32_e32 vcc_lo, 0, v17
	v_dual_cndmask_b32 v17, v24, v31 :: v_dual_cndmask_b32 v18, v30, v18
.LBB90_23:                              ;   in Loop: Header=BB90_21 Depth=2
	s_and_not1_saveexec_b32 s0, s4
	s_cbranch_execz .LBB90_25
; %bb.24:                               ;   in Loop: Header=BB90_21 Depth=2
	v_cvt_f32_u32_e32 v17, s28
	s_sub_i32 s4, 0, s28
	s_delay_alu instid0(VALU_DEP_1) | instskip(SKIP_2) | instid1(VALU_DEP_1)
	v_rcp_iflag_f32_e32 v17, v17
	s_waitcnt_depctr 0xfff
	v_mul_f32_e32 v17, 0x4f7ffffe, v17
	v_cvt_u32_f32_e32 v17, v17
	s_delay_alu instid0(VALU_DEP_1) | instskip(NEXT) | instid1(VALU_DEP_1)
	v_mul_lo_u32 v18, s4, v17
	v_mul_hi_u32 v18, v17, v18
	s_delay_alu instid0(VALU_DEP_1) | instskip(NEXT) | instid1(VALU_DEP_1)
	v_add_nc_u32_e32 v17, v17, v18
	v_mul_hi_u32 v17, v15, v17
	s_delay_alu instid0(VALU_DEP_1) | instskip(SKIP_1) | instid1(VALU_DEP_2)
	v_mul_lo_u32 v18, v17, s28
	v_add_nc_u32_e32 v24, 1, v17
	v_sub_nc_u32_e32 v18, v15, v18
	s_delay_alu instid0(VALU_DEP_1) | instskip(SKIP_1) | instid1(VALU_DEP_2)
	v_subrev_nc_u32_e32 v30, s28, v18
	v_cmp_le_u32_e32 vcc_lo, s28, v18
	v_dual_cndmask_b32 v18, v18, v30 :: v_dual_cndmask_b32 v17, v17, v24
	s_delay_alu instid0(VALU_DEP_1) | instskip(SKIP_1) | instid1(VALU_DEP_3)
	v_cmp_le_u32_e32 vcc_lo, s28, v18
	v_mov_b32_e32 v18, v23
	v_add_nc_u32_e32 v24, 1, v17
	s_delay_alu instid0(VALU_DEP_1)
	v_cndmask_b32_e32 v17, v17, v24, vcc_lo
.LBB90_25:                              ;   in Loop: Header=BB90_21 Depth=2
	s_or_b32 exec_lo, exec_lo, s0
	s_load_b64 s[40:41], s[26:27], 0xc8
	v_mul_lo_u32 v24, v18, s28
	s_delay_alu instid0(VALU_DEP_2)
	v_mul_lo_u32 v32, v17, s29
	v_mad_u64_u32 v[30:31], null, v17, s28, 0
	s_add_i32 s2, s2, -1
	s_add_u32 s26, s26, -8
	s_addc_u32 s27, s27, -1
	s_cmp_gt_u32 s2, 2
	s_delay_alu instid0(VALU_DEP_1) | instskip(NEXT) | instid1(VALU_DEP_2)
	v_add3_u32 v24, v31, v32, v24
	v_sub_co_u32 v30, vcc_lo, v15, v30
	s_delay_alu instid0(VALU_DEP_2) | instskip(SKIP_1) | instid1(VALU_DEP_2)
	v_sub_co_ci_u32_e32 v15, vcc_lo, v16, v24, vcc_lo
	s_waitcnt lgkmcnt(0)
	v_mul_lo_u32 v31, s41, v30
	s_delay_alu instid0(VALU_DEP_2) | instskip(SKIP_1) | instid1(VALU_DEP_1)
	v_mul_lo_u32 v24, s40, v15
	v_mad_u64_u32 v[15:16], null, s40, v30, v[0:1]
	v_add3_u32 v1, v31, v16, v24
	s_delay_alu instid0(VALU_DEP_2)
	v_mov_b32_e32 v0, v15
	s_cbranch_scc0 .LBB90_27
; %bb.26:                               ;   in Loop: Header=BB90_21 Depth=2
	v_dual_mov_b32 v15, v17 :: v_dual_mov_b32 v16, v18
	s_branch .LBB90_21
.LBB90_27:                              ;   in Loop: Header=BB90_9 Depth=1
	v_mul_lo_u32 v24, s13, v17
	v_mul_lo_u32 v18, s12, v18
	v_mad_u64_u32 v[15:16], null, s12, v17, 0
	v_lshlrev_b64 v[0:1], 3, v[0:1]
	s_delay_alu instid0(VALU_DEP_2) | instskip(NEXT) | instid1(VALU_DEP_1)
	v_add3_u32 v16, v16, v18, v24
	v_lshlrev_b64 v[15:16], 3, v[15:16]
	s_delay_alu instid0(VALU_DEP_1) | instskip(NEXT) | instid1(VALU_DEP_2)
	v_add_co_u32 v15, vcc_lo, s20, v15
	v_add_co_ci_u32_e32 v16, vcc_lo, s21, v16, vcc_lo
	s_delay_alu instid0(VALU_DEP_2) | instskip(NEXT) | instid1(VALU_DEP_2)
	v_add_co_u32 v0, vcc_lo, v15, v0
	v_add_co_ci_u32_e32 v1, vcc_lo, v16, v1, vcc_lo
	global_load_b64 v[0:1], v[0:1], off
.LBB90_28:                              ;   in Loop: Header=BB90_9 Depth=1
	s_or_b32 exec_lo, exec_lo, s1
	v_add_co_u32 v30, vcc_lo, v27, s30
	v_add_co_ci_u32_e32 v31, vcc_lo, 0, v28, vcc_lo
	s_delay_alu instid0(VALU_DEP_1) | instskip(NEXT) | instid1(VALU_DEP_1)
	v_cmp_gt_u64_e64 s2, s[16:17], v[30:31]
	s_and_saveexec_b32 s1, s2
	s_cbranch_execz .LBB90_37
; %bb.29:                               ;   in Loop: Header=BB90_9 Depth=1
	v_dual_mov_b32 v2, 0 :: v_dual_mov_b32 v15, v30
	v_dual_mov_b32 v3, 0 :: v_dual_mov_b32 v16, v31
	;; [unrolled: 1-line block ×3, first 2 shown]
	s_and_not1_b32 vcc_lo, exec_lo, s33
	s_mov_b64 s[26:27], s[22:23]
	s_mov_b32 s4, s36
	s_cbranch_vccnz .LBB90_36
.LBB90_30:                              ;   Parent Loop BB90_9 Depth=1
                                        ; =>  This Inner Loop Header: Depth=2
	s_load_b64 s[28:29], s[26:27], 0x0
                                        ; implicit-def: $vgpr17_vgpr18
	s_mov_b32 s0, exec_lo
	s_waitcnt lgkmcnt(0)
	v_or_b32_e32 v24, s29, v16
	s_delay_alu instid0(VALU_DEP_1)
	v_cmpx_ne_u64_e32 0, v[23:24]
	s_xor_b32 s39, exec_lo, s0
	s_cbranch_execz .LBB90_32
; %bb.31:                               ;   in Loop: Header=BB90_30 Depth=2
	v_cvt_f32_u32_e32 v17, s28
	v_cvt_f32_u32_e32 v18, s29
	s_sub_u32 s0, 0, s28
	s_subb_u32 s40, 0, s29
	s_delay_alu instid0(VALU_DEP_1) | instskip(NEXT) | instid1(VALU_DEP_1)
	v_fmac_f32_e32 v17, 0x4f800000, v18
	v_rcp_f32_e32 v17, v17
	s_waitcnt_depctr 0xfff
	v_mul_f32_e32 v17, 0x5f7ffffc, v17
	s_delay_alu instid0(VALU_DEP_1) | instskip(NEXT) | instid1(VALU_DEP_1)
	v_mul_f32_e32 v18, 0x2f800000, v17
	v_trunc_f32_e32 v18, v18
	s_delay_alu instid0(VALU_DEP_1) | instskip(SKIP_1) | instid1(VALU_DEP_2)
	v_fmac_f32_e32 v17, 0xcf800000, v18
	v_cvt_u32_f32_e32 v18, v18
	v_cvt_u32_f32_e32 v17, v17
	s_delay_alu instid0(VALU_DEP_2) | instskip(NEXT) | instid1(VALU_DEP_2)
	v_mul_lo_u32 v24, s0, v18
	v_mul_hi_u32 v32, s0, v17
	v_mul_lo_u32 v33, s40, v17
	s_delay_alu instid0(VALU_DEP_2) | instskip(SKIP_1) | instid1(VALU_DEP_2)
	v_add_nc_u32_e32 v24, v32, v24
	v_mul_lo_u32 v32, s0, v17
	v_add_nc_u32_e32 v24, v24, v33
	s_delay_alu instid0(VALU_DEP_2) | instskip(NEXT) | instid1(VALU_DEP_2)
	v_mul_hi_u32 v33, v17, v32
	v_mul_lo_u32 v34, v17, v24
	v_mul_hi_u32 v35, v17, v24
	v_mul_hi_u32 v36, v18, v32
	v_mul_lo_u32 v32, v18, v32
	v_mul_hi_u32 v37, v18, v24
	v_mul_lo_u32 v24, v18, v24
	v_add_co_u32 v33, vcc_lo, v33, v34
	v_add_co_ci_u32_e32 v34, vcc_lo, 0, v35, vcc_lo
	s_delay_alu instid0(VALU_DEP_2) | instskip(NEXT) | instid1(VALU_DEP_2)
	v_add_co_u32 v32, vcc_lo, v33, v32
	v_add_co_ci_u32_e32 v32, vcc_lo, v34, v36, vcc_lo
	v_add_co_ci_u32_e32 v33, vcc_lo, 0, v37, vcc_lo
	s_delay_alu instid0(VALU_DEP_2) | instskip(NEXT) | instid1(VALU_DEP_2)
	v_add_co_u32 v24, vcc_lo, v32, v24
	v_add_co_ci_u32_e32 v32, vcc_lo, 0, v33, vcc_lo
	s_delay_alu instid0(VALU_DEP_2) | instskip(NEXT) | instid1(VALU_DEP_2)
	v_add_co_u32 v17, vcc_lo, v17, v24
	v_add_co_ci_u32_e32 v18, vcc_lo, v18, v32, vcc_lo
	s_delay_alu instid0(VALU_DEP_2) | instskip(SKIP_1) | instid1(VALU_DEP_3)
	v_mul_hi_u32 v24, s0, v17
	v_mul_lo_u32 v33, s40, v17
	v_mul_lo_u32 v32, s0, v18
	s_delay_alu instid0(VALU_DEP_1) | instskip(SKIP_1) | instid1(VALU_DEP_2)
	v_add_nc_u32_e32 v24, v24, v32
	v_mul_lo_u32 v32, s0, v17
	v_add_nc_u32_e32 v24, v24, v33
	s_delay_alu instid0(VALU_DEP_2) | instskip(NEXT) | instid1(VALU_DEP_2)
	v_mul_hi_u32 v33, v17, v32
	v_mul_lo_u32 v34, v17, v24
	v_mul_hi_u32 v35, v17, v24
	v_mul_hi_u32 v36, v18, v32
	v_mul_lo_u32 v32, v18, v32
	v_mul_hi_u32 v37, v18, v24
	v_mul_lo_u32 v24, v18, v24
	v_add_co_u32 v33, vcc_lo, v33, v34
	v_add_co_ci_u32_e32 v34, vcc_lo, 0, v35, vcc_lo
	s_delay_alu instid0(VALU_DEP_2) | instskip(NEXT) | instid1(VALU_DEP_2)
	v_add_co_u32 v32, vcc_lo, v33, v32
	v_add_co_ci_u32_e32 v32, vcc_lo, v34, v36, vcc_lo
	v_add_co_ci_u32_e32 v33, vcc_lo, 0, v37, vcc_lo
	s_delay_alu instid0(VALU_DEP_2) | instskip(NEXT) | instid1(VALU_DEP_2)
	v_add_co_u32 v24, vcc_lo, v32, v24
	v_add_co_ci_u32_e32 v32, vcc_lo, 0, v33, vcc_lo
	s_delay_alu instid0(VALU_DEP_2) | instskip(NEXT) | instid1(VALU_DEP_2)
	v_add_co_u32 v24, vcc_lo, v17, v24
	v_add_co_ci_u32_e32 v36, vcc_lo, v18, v32, vcc_lo
	s_delay_alu instid0(VALU_DEP_2) | instskip(SKIP_1) | instid1(VALU_DEP_3)
	v_mul_hi_u32 v37, v15, v24
	v_mad_u64_u32 v[32:33], null, v16, v24, 0
	v_mad_u64_u32 v[17:18], null, v15, v36, 0
	;; [unrolled: 1-line block ×3, first 2 shown]
	s_delay_alu instid0(VALU_DEP_2) | instskip(NEXT) | instid1(VALU_DEP_3)
	v_add_co_u32 v17, vcc_lo, v37, v17
	v_add_co_ci_u32_e32 v18, vcc_lo, 0, v18, vcc_lo
	s_delay_alu instid0(VALU_DEP_2) | instskip(NEXT) | instid1(VALU_DEP_2)
	v_add_co_u32 v17, vcc_lo, v17, v32
	v_add_co_ci_u32_e32 v17, vcc_lo, v18, v33, vcc_lo
	v_add_co_ci_u32_e32 v18, vcc_lo, 0, v35, vcc_lo
	s_delay_alu instid0(VALU_DEP_2) | instskip(NEXT) | instid1(VALU_DEP_2)
	v_add_co_u32 v24, vcc_lo, v17, v34
	v_add_co_ci_u32_e32 v32, vcc_lo, 0, v18, vcc_lo
	s_delay_alu instid0(VALU_DEP_2) | instskip(SKIP_1) | instid1(VALU_DEP_3)
	v_mul_lo_u32 v33, s29, v24
	v_mad_u64_u32 v[17:18], null, s28, v24, 0
	v_mul_lo_u32 v34, s28, v32
	s_delay_alu instid0(VALU_DEP_2) | instskip(NEXT) | instid1(VALU_DEP_2)
	v_sub_co_u32 v17, vcc_lo, v15, v17
	v_add3_u32 v18, v18, v34, v33
	s_delay_alu instid0(VALU_DEP_1) | instskip(NEXT) | instid1(VALU_DEP_1)
	v_sub_nc_u32_e32 v33, v16, v18
	v_subrev_co_ci_u32_e64 v33, s0, s29, v33, vcc_lo
	v_add_co_u32 v34, s0, v24, 2
	s_delay_alu instid0(VALU_DEP_1) | instskip(SKIP_3) | instid1(VALU_DEP_3)
	v_add_co_ci_u32_e64 v35, s0, 0, v32, s0
	v_sub_co_u32 v36, s0, v17, s28
	v_sub_co_ci_u32_e32 v18, vcc_lo, v16, v18, vcc_lo
	v_subrev_co_ci_u32_e64 v33, s0, 0, v33, s0
	v_cmp_le_u32_e32 vcc_lo, s28, v36
	s_delay_alu instid0(VALU_DEP_3) | instskip(SKIP_1) | instid1(VALU_DEP_4)
	v_cmp_eq_u32_e64 s0, s29, v18
	v_cndmask_b32_e64 v36, 0, -1, vcc_lo
	v_cmp_le_u32_e32 vcc_lo, s29, v33
	v_cndmask_b32_e64 v37, 0, -1, vcc_lo
	v_cmp_le_u32_e32 vcc_lo, s28, v17
	;; [unrolled: 2-line block ×3, first 2 shown]
	v_cndmask_b32_e64 v59, 0, -1, vcc_lo
	v_cmp_eq_u32_e32 vcc_lo, s29, v33
	s_delay_alu instid0(VALU_DEP_2) | instskip(SKIP_3) | instid1(VALU_DEP_3)
	v_cndmask_b32_e64 v17, v59, v17, s0
	v_cndmask_b32_e32 v33, v37, v36, vcc_lo
	v_add_co_u32 v36, vcc_lo, v24, 1
	v_add_co_ci_u32_e32 v37, vcc_lo, 0, v32, vcc_lo
	v_cmp_ne_u32_e32 vcc_lo, 0, v33
	s_delay_alu instid0(VALU_DEP_2) | instskip(SKIP_1) | instid1(VALU_DEP_2)
	v_dual_cndmask_b32 v18, v37, v35 :: v_dual_cndmask_b32 v33, v36, v34
	v_cmp_ne_u32_e32 vcc_lo, 0, v17
	v_cndmask_b32_e32 v18, v32, v18, vcc_lo
	s_delay_alu instid0(VALU_DEP_3)
	v_cndmask_b32_e32 v17, v24, v33, vcc_lo
.LBB90_32:                              ;   in Loop: Header=BB90_30 Depth=2
	s_and_not1_saveexec_b32 s0, s39
	s_cbranch_execz .LBB90_34
; %bb.33:                               ;   in Loop: Header=BB90_30 Depth=2
	v_cvt_f32_u32_e32 v17, s28
	s_sub_i32 s39, 0, s28
	s_delay_alu instid0(VALU_DEP_1) | instskip(SKIP_2) | instid1(VALU_DEP_1)
	v_rcp_iflag_f32_e32 v17, v17
	s_waitcnt_depctr 0xfff
	v_mul_f32_e32 v17, 0x4f7ffffe, v17
	v_cvt_u32_f32_e32 v17, v17
	s_delay_alu instid0(VALU_DEP_1) | instskip(NEXT) | instid1(VALU_DEP_1)
	v_mul_lo_u32 v18, s39, v17
	v_mul_hi_u32 v18, v17, v18
	s_delay_alu instid0(VALU_DEP_1) | instskip(NEXT) | instid1(VALU_DEP_1)
	v_add_nc_u32_e32 v17, v17, v18
	v_mul_hi_u32 v17, v15, v17
	s_delay_alu instid0(VALU_DEP_1) | instskip(SKIP_1) | instid1(VALU_DEP_2)
	v_mul_lo_u32 v18, v17, s28
	v_add_nc_u32_e32 v24, 1, v17
	v_sub_nc_u32_e32 v18, v15, v18
	s_delay_alu instid0(VALU_DEP_1) | instskip(SKIP_1) | instid1(VALU_DEP_2)
	v_subrev_nc_u32_e32 v32, s28, v18
	v_cmp_le_u32_e32 vcc_lo, s28, v18
	v_cndmask_b32_e32 v18, v18, v32, vcc_lo
	v_cndmask_b32_e32 v17, v17, v24, vcc_lo
	s_delay_alu instid0(VALU_DEP_2) | instskip(SKIP_1) | instid1(VALU_DEP_3)
	v_cmp_le_u32_e32 vcc_lo, s28, v18
	v_mov_b32_e32 v18, v23
	v_add_nc_u32_e32 v24, 1, v17
	s_delay_alu instid0(VALU_DEP_1)
	v_cndmask_b32_e32 v17, v17, v24, vcc_lo
.LBB90_34:                              ;   in Loop: Header=BB90_30 Depth=2
	s_or_b32 exec_lo, exec_lo, s0
	s_load_b64 s[40:41], s[26:27], 0xc8
	v_mul_lo_u32 v24, v18, s28
	s_delay_alu instid0(VALU_DEP_2)
	v_mul_lo_u32 v34, v17, s29
	v_mad_u64_u32 v[32:33], null, v17, s28, 0
	s_add_i32 s4, s4, -1
	s_add_u32 s26, s26, -8
	s_addc_u32 s27, s27, -1
	s_cmp_gt_u32 s4, 2
	s_delay_alu instid0(VALU_DEP_1) | instskip(NEXT) | instid1(VALU_DEP_2)
	v_add3_u32 v24, v33, v34, v24
	v_sub_co_u32 v32, vcc_lo, v15, v32
	s_delay_alu instid0(VALU_DEP_2) | instskip(SKIP_1) | instid1(VALU_DEP_2)
	v_sub_co_ci_u32_e32 v15, vcc_lo, v16, v24, vcc_lo
	s_waitcnt lgkmcnt(0)
	v_mul_lo_u32 v33, s41, v32
	s_delay_alu instid0(VALU_DEP_2) | instskip(SKIP_1) | instid1(VALU_DEP_1)
	v_mul_lo_u32 v24, s40, v15
	v_mad_u64_u32 v[15:16], null, s40, v32, v[2:3]
	v_add3_u32 v3, v33, v16, v24
	s_delay_alu instid0(VALU_DEP_2)
	v_mov_b32_e32 v2, v15
	s_cbranch_scc0 .LBB90_36
; %bb.35:                               ;   in Loop: Header=BB90_30 Depth=2
	v_dual_mov_b32 v15, v17 :: v_dual_mov_b32 v16, v18
	s_branch .LBB90_30
.LBB90_36:                              ;   in Loop: Header=BB90_9 Depth=1
	v_mul_lo_u32 v24, s13, v17
	v_mul_lo_u32 v18, s12, v18
	v_mad_u64_u32 v[15:16], null, s12, v17, 0
	v_lshlrev_b64 v[2:3], 3, v[2:3]
	s_delay_alu instid0(VALU_DEP_2) | instskip(NEXT) | instid1(VALU_DEP_1)
	v_add3_u32 v16, v16, v18, v24
	v_lshlrev_b64 v[15:16], 3, v[15:16]
	s_delay_alu instid0(VALU_DEP_1) | instskip(NEXT) | instid1(VALU_DEP_2)
	v_add_co_u32 v15, vcc_lo, s20, v15
	v_add_co_ci_u32_e32 v16, vcc_lo, s21, v16, vcc_lo
	s_delay_alu instid0(VALU_DEP_2) | instskip(NEXT) | instid1(VALU_DEP_2)
	v_add_co_u32 v2, vcc_lo, v15, v2
	v_add_co_ci_u32_e32 v3, vcc_lo, v16, v3, vcc_lo
	global_load_b64 v[2:3], v[2:3], off
.LBB90_37:                              ;   in Loop: Header=BB90_9 Depth=1
	s_or_b32 exec_lo, exec_lo, s1
	v_add_co_u32 v17, vcc_lo, v27, s35
	v_add_co_ci_u32_e32 v18, vcc_lo, 0, v28, vcc_lo
	s_delay_alu instid0(VALU_DEP_1) | instskip(NEXT) | instid1(VALU_DEP_1)
	v_cmp_gt_u64_e64 s1, s[16:17], v[17:18]
	s_and_saveexec_b32 s4, s1
	s_cbranch_execz .LBB90_46
; %bb.38:                               ;   in Loop: Header=BB90_9 Depth=1
	v_dual_mov_b32 v4, 0 :: v_dual_mov_b32 v15, v17
	v_dual_mov_b32 v5, 0 :: v_dual_mov_b32 v16, v18
	;; [unrolled: 1-line block ×3, first 2 shown]
	s_and_not1_b32 vcc_lo, exec_lo, s33
	s_mov_b64 s[26:27], s[22:23]
	s_mov_b32 s39, s36
	s_cbranch_vccnz .LBB90_45
.LBB90_39:                              ;   Parent Loop BB90_9 Depth=1
                                        ; =>  This Inner Loop Header: Depth=2
	s_load_b64 s[28:29], s[26:27], 0x0
                                        ; implicit-def: $vgpr32_vgpr33
	s_mov_b32 s0, exec_lo
	s_waitcnt lgkmcnt(0)
	v_or_b32_e32 v24, s29, v16
	s_delay_alu instid0(VALU_DEP_1)
	v_cmpx_ne_u64_e32 0, v[23:24]
	s_xor_b32 s40, exec_lo, s0
	s_cbranch_execz .LBB90_41
; %bb.40:                               ;   in Loop: Header=BB90_39 Depth=2
	v_cvt_f32_u32_e32 v24, s28
	v_cvt_f32_u32_e32 v32, s29
	s_sub_u32 s0, 0, s28
	s_subb_u32 s41, 0, s29
	s_delay_alu instid0(VALU_DEP_1) | instskip(NEXT) | instid1(VALU_DEP_1)
	v_fmac_f32_e32 v24, 0x4f800000, v32
	v_rcp_f32_e32 v24, v24
	s_waitcnt_depctr 0xfff
	v_mul_f32_e32 v24, 0x5f7ffffc, v24
	s_delay_alu instid0(VALU_DEP_1) | instskip(NEXT) | instid1(VALU_DEP_1)
	v_mul_f32_e32 v32, 0x2f800000, v24
	v_trunc_f32_e32 v32, v32
	s_delay_alu instid0(VALU_DEP_1) | instskip(SKIP_1) | instid1(VALU_DEP_2)
	v_fmac_f32_e32 v24, 0xcf800000, v32
	v_cvt_u32_f32_e32 v32, v32
	v_cvt_u32_f32_e32 v24, v24
	s_delay_alu instid0(VALU_DEP_2) | instskip(NEXT) | instid1(VALU_DEP_2)
	v_mul_lo_u32 v33, s0, v32
	v_mul_hi_u32 v34, s0, v24
	v_mul_lo_u32 v35, s41, v24
	s_delay_alu instid0(VALU_DEP_2) | instskip(SKIP_1) | instid1(VALU_DEP_2)
	v_add_nc_u32_e32 v33, v34, v33
	v_mul_lo_u32 v34, s0, v24
	v_add_nc_u32_e32 v33, v33, v35
	s_delay_alu instid0(VALU_DEP_2) | instskip(NEXT) | instid1(VALU_DEP_2)
	v_mul_hi_u32 v35, v24, v34
	v_mul_lo_u32 v36, v24, v33
	v_mul_hi_u32 v37, v24, v33
	v_mul_hi_u32 v59, v32, v34
	v_mul_lo_u32 v34, v32, v34
	v_mul_hi_u32 v60, v32, v33
	v_mul_lo_u32 v33, v32, v33
	v_add_co_u32 v35, vcc_lo, v35, v36
	v_add_co_ci_u32_e32 v36, vcc_lo, 0, v37, vcc_lo
	s_delay_alu instid0(VALU_DEP_2) | instskip(NEXT) | instid1(VALU_DEP_2)
	v_add_co_u32 v34, vcc_lo, v35, v34
	v_add_co_ci_u32_e32 v34, vcc_lo, v36, v59, vcc_lo
	v_add_co_ci_u32_e32 v35, vcc_lo, 0, v60, vcc_lo
	s_delay_alu instid0(VALU_DEP_2) | instskip(NEXT) | instid1(VALU_DEP_2)
	v_add_co_u32 v33, vcc_lo, v34, v33
	v_add_co_ci_u32_e32 v34, vcc_lo, 0, v35, vcc_lo
	s_delay_alu instid0(VALU_DEP_2) | instskip(NEXT) | instid1(VALU_DEP_2)
	v_add_co_u32 v24, vcc_lo, v24, v33
	v_add_co_ci_u32_e32 v32, vcc_lo, v32, v34, vcc_lo
	s_delay_alu instid0(VALU_DEP_2) | instskip(SKIP_1) | instid1(VALU_DEP_3)
	v_mul_hi_u32 v33, s0, v24
	v_mul_lo_u32 v35, s41, v24
	v_mul_lo_u32 v34, s0, v32
	s_delay_alu instid0(VALU_DEP_1) | instskip(SKIP_1) | instid1(VALU_DEP_2)
	v_add_nc_u32_e32 v33, v33, v34
	v_mul_lo_u32 v34, s0, v24
	v_add_nc_u32_e32 v33, v33, v35
	s_delay_alu instid0(VALU_DEP_2) | instskip(NEXT) | instid1(VALU_DEP_2)
	v_mul_hi_u32 v35, v24, v34
	v_mul_lo_u32 v36, v24, v33
	v_mul_hi_u32 v37, v24, v33
	v_mul_hi_u32 v59, v32, v34
	v_mul_lo_u32 v34, v32, v34
	v_mul_hi_u32 v60, v32, v33
	v_mul_lo_u32 v33, v32, v33
	v_add_co_u32 v35, vcc_lo, v35, v36
	v_add_co_ci_u32_e32 v36, vcc_lo, 0, v37, vcc_lo
	s_delay_alu instid0(VALU_DEP_2) | instskip(NEXT) | instid1(VALU_DEP_2)
	v_add_co_u32 v34, vcc_lo, v35, v34
	v_add_co_ci_u32_e32 v34, vcc_lo, v36, v59, vcc_lo
	v_add_co_ci_u32_e32 v35, vcc_lo, 0, v60, vcc_lo
	s_delay_alu instid0(VALU_DEP_2) | instskip(NEXT) | instid1(VALU_DEP_2)
	v_add_co_u32 v33, vcc_lo, v34, v33
	v_add_co_ci_u32_e32 v34, vcc_lo, 0, v35, vcc_lo
	s_delay_alu instid0(VALU_DEP_2) | instskip(NEXT) | instid1(VALU_DEP_2)
	v_add_co_u32 v24, vcc_lo, v24, v33
	v_add_co_ci_u32_e32 v59, vcc_lo, v32, v34, vcc_lo
	s_delay_alu instid0(VALU_DEP_2) | instskip(SKIP_1) | instid1(VALU_DEP_3)
	v_mul_hi_u32 v60, v15, v24
	v_mad_u64_u32 v[34:35], null, v16, v24, 0
	v_mad_u64_u32 v[32:33], null, v15, v59, 0
	;; [unrolled: 1-line block ×3, first 2 shown]
	s_delay_alu instid0(VALU_DEP_2) | instskip(NEXT) | instid1(VALU_DEP_3)
	v_add_co_u32 v24, vcc_lo, v60, v32
	v_add_co_ci_u32_e32 v32, vcc_lo, 0, v33, vcc_lo
	s_delay_alu instid0(VALU_DEP_2) | instskip(NEXT) | instid1(VALU_DEP_2)
	v_add_co_u32 v24, vcc_lo, v24, v34
	v_add_co_ci_u32_e32 v24, vcc_lo, v32, v35, vcc_lo
	v_add_co_ci_u32_e32 v32, vcc_lo, 0, v37, vcc_lo
	s_delay_alu instid0(VALU_DEP_2) | instskip(NEXT) | instid1(VALU_DEP_2)
	v_add_co_u32 v24, vcc_lo, v24, v36
	v_add_co_ci_u32_e32 v34, vcc_lo, 0, v32, vcc_lo
	s_delay_alu instid0(VALU_DEP_2) | instskip(SKIP_1) | instid1(VALU_DEP_3)
	v_mul_lo_u32 v35, s29, v24
	v_mad_u64_u32 v[32:33], null, s28, v24, 0
	v_mul_lo_u32 v36, s28, v34
	s_delay_alu instid0(VALU_DEP_2) | instskip(NEXT) | instid1(VALU_DEP_2)
	v_sub_co_u32 v32, vcc_lo, v15, v32
	v_add3_u32 v33, v33, v36, v35
	s_delay_alu instid0(VALU_DEP_1) | instskip(NEXT) | instid1(VALU_DEP_1)
	v_sub_nc_u32_e32 v35, v16, v33
	v_subrev_co_ci_u32_e64 v35, s0, s29, v35, vcc_lo
	v_add_co_u32 v36, s0, v24, 2
	s_delay_alu instid0(VALU_DEP_1) | instskip(SKIP_3) | instid1(VALU_DEP_3)
	v_add_co_ci_u32_e64 v37, s0, 0, v34, s0
	v_sub_co_u32 v59, s0, v32, s28
	v_sub_co_ci_u32_e32 v33, vcc_lo, v16, v33, vcc_lo
	v_subrev_co_ci_u32_e64 v35, s0, 0, v35, s0
	v_cmp_le_u32_e32 vcc_lo, s28, v59
	s_delay_alu instid0(VALU_DEP_3) | instskip(SKIP_1) | instid1(VALU_DEP_4)
	v_cmp_eq_u32_e64 s0, s29, v33
	v_cndmask_b32_e64 v59, 0, -1, vcc_lo
	v_cmp_le_u32_e32 vcc_lo, s29, v35
	v_cndmask_b32_e64 v60, 0, -1, vcc_lo
	v_cmp_le_u32_e32 vcc_lo, s28, v32
	;; [unrolled: 2-line block ×3, first 2 shown]
	v_cndmask_b32_e64 v61, 0, -1, vcc_lo
	v_cmp_eq_u32_e32 vcc_lo, s29, v35
	s_delay_alu instid0(VALU_DEP_2) | instskip(SKIP_3) | instid1(VALU_DEP_3)
	v_cndmask_b32_e64 v32, v61, v32, s0
	v_cndmask_b32_e32 v35, v60, v59, vcc_lo
	v_add_co_u32 v59, vcc_lo, v24, 1
	v_add_co_ci_u32_e32 v60, vcc_lo, 0, v34, vcc_lo
	v_cmp_ne_u32_e32 vcc_lo, 0, v35
	s_delay_alu instid0(VALU_DEP_2) | instskip(NEXT) | instid1(VALU_DEP_4)
	v_cndmask_b32_e32 v33, v60, v37, vcc_lo
	v_cndmask_b32_e32 v35, v59, v36, vcc_lo
	v_cmp_ne_u32_e32 vcc_lo, 0, v32
	s_delay_alu instid0(VALU_DEP_2)
	v_dual_cndmask_b32 v33, v34, v33 :: v_dual_cndmask_b32 v32, v24, v35
.LBB90_41:                              ;   in Loop: Header=BB90_39 Depth=2
	s_and_not1_saveexec_b32 s0, s40
	s_cbranch_execz .LBB90_43
; %bb.42:                               ;   in Loop: Header=BB90_39 Depth=2
	v_cvt_f32_u32_e32 v24, s28
	s_sub_i32 s40, 0, s28
	s_delay_alu instid0(VALU_DEP_1) | instskip(SKIP_2) | instid1(VALU_DEP_1)
	v_rcp_iflag_f32_e32 v24, v24
	s_waitcnt_depctr 0xfff
	v_mul_f32_e32 v24, 0x4f7ffffe, v24
	v_cvt_u32_f32_e32 v24, v24
	s_delay_alu instid0(VALU_DEP_1) | instskip(NEXT) | instid1(VALU_DEP_1)
	v_mul_lo_u32 v32, s40, v24
	v_mul_hi_u32 v32, v24, v32
	s_delay_alu instid0(VALU_DEP_1) | instskip(NEXT) | instid1(VALU_DEP_1)
	v_add_nc_u32_e32 v24, v24, v32
	v_mul_hi_u32 v24, v15, v24
	s_delay_alu instid0(VALU_DEP_1) | instskip(NEXT) | instid1(VALU_DEP_1)
	v_mul_lo_u32 v32, v24, s28
	v_sub_nc_u32_e32 v32, v15, v32
	s_delay_alu instid0(VALU_DEP_1) | instskip(SKIP_1) | instid1(VALU_DEP_2)
	v_subrev_nc_u32_e32 v34, s28, v32
	v_cmp_le_u32_e32 vcc_lo, s28, v32
	v_dual_cndmask_b32 v32, v32, v34 :: v_dual_add_nc_u32 v33, 1, v24
	s_delay_alu instid0(VALU_DEP_1) | instskip(NEXT) | instid1(VALU_DEP_2)
	v_cndmask_b32_e32 v24, v24, v33, vcc_lo
	v_cmp_le_u32_e32 vcc_lo, s28, v32
	s_delay_alu instid0(VALU_DEP_2) | instskip(NEXT) | instid1(VALU_DEP_1)
	v_add_nc_u32_e32 v33, 1, v24
	v_dual_cndmask_b32 v32, v24, v33 :: v_dual_mov_b32 v33, v23
.LBB90_43:                              ;   in Loop: Header=BB90_39 Depth=2
	s_or_b32 exec_lo, exec_lo, s0
	s_load_b64 s[40:41], s[26:27], 0xc8
	s_delay_alu instid0(VALU_DEP_1) | instskip(NEXT) | instid1(VALU_DEP_2)
	v_mul_lo_u32 v24, v33, s28
	v_mul_lo_u32 v36, v32, s29
	v_mad_u64_u32 v[34:35], null, v32, s28, 0
	s_add_i32 s39, s39, -1
	s_add_u32 s26, s26, -8
	s_addc_u32 s27, s27, -1
	s_cmp_gt_u32 s39, 2
	s_delay_alu instid0(VALU_DEP_1) | instskip(NEXT) | instid1(VALU_DEP_2)
	v_add3_u32 v24, v35, v36, v24
	v_sub_co_u32 v34, vcc_lo, v15, v34
	s_delay_alu instid0(VALU_DEP_2) | instskip(SKIP_1) | instid1(VALU_DEP_2)
	v_sub_co_ci_u32_e32 v15, vcc_lo, v16, v24, vcc_lo
	s_waitcnt lgkmcnt(0)
	v_mul_lo_u32 v35, s41, v34
	s_delay_alu instid0(VALU_DEP_2) | instskip(SKIP_1) | instid1(VALU_DEP_1)
	v_mul_lo_u32 v24, s40, v15
	v_mad_u64_u32 v[15:16], null, s40, v34, v[4:5]
	v_add3_u32 v5, v35, v16, v24
	s_delay_alu instid0(VALU_DEP_2)
	v_mov_b32_e32 v4, v15
	s_cbranch_scc0 .LBB90_45
; %bb.44:                               ;   in Loop: Header=BB90_39 Depth=2
	v_dual_mov_b32 v15, v32 :: v_dual_mov_b32 v16, v33
	s_branch .LBB90_39
.LBB90_45:                              ;   in Loop: Header=BB90_9 Depth=1
	v_mul_lo_u32 v24, s13, v32
	v_mul_lo_u32 v33, s12, v33
	v_mad_u64_u32 v[15:16], null, s12, v32, 0
	v_lshlrev_b64 v[4:5], 3, v[4:5]
	s_delay_alu instid0(VALU_DEP_2) | instskip(NEXT) | instid1(VALU_DEP_1)
	v_add3_u32 v16, v16, v33, v24
	v_lshlrev_b64 v[15:16], 3, v[15:16]
	s_delay_alu instid0(VALU_DEP_1) | instskip(NEXT) | instid1(VALU_DEP_2)
	v_add_co_u32 v15, vcc_lo, s20, v15
	v_add_co_ci_u32_e32 v16, vcc_lo, s21, v16, vcc_lo
	s_delay_alu instid0(VALU_DEP_2) | instskip(NEXT) | instid1(VALU_DEP_2)
	v_add_co_u32 v4, vcc_lo, v15, v4
	v_add_co_ci_u32_e32 v5, vcc_lo, v16, v5, vcc_lo
	global_load_b64 v[4:5], v[4:5], off
.LBB90_46:                              ;   in Loop: Header=BB90_9 Depth=1
	s_or_b32 exec_lo, exec_lo, s4
	v_add_co_u32 v15, vcc_lo, v27, s37
	v_add_co_ci_u32_e32 v16, vcc_lo, 0, v28, vcc_lo
	s_delay_alu instid0(VALU_DEP_1) | instskip(NEXT) | instid1(VALU_DEP_1)
	v_cmp_gt_u64_e64 s0, s[16:17], v[15:16]
	s_and_saveexec_b32 s39, s0
	s_cbranch_execnz .LBB90_51
; %bb.47:                               ;   in Loop: Header=BB90_9 Depth=1
	s_or_b32 exec_lo, exec_lo, s39
	s_and_saveexec_b32 s4, s3
	s_cbranch_execnz .LBB90_59
.LBB90_48:                              ;   in Loop: Header=BB90_9 Depth=1
	s_or_b32 exec_lo, exec_lo, s4
	s_and_saveexec_b32 s3, s2
	s_cbranch_execnz .LBB90_67
.LBB90_49:                              ;   in Loop: Header=BB90_9 Depth=1
	s_or_b32 exec_lo, exec_lo, s3
	s_and_saveexec_b32 s4, s1
	s_cbranch_execnz .LBB90_69
.LBB90_50:                              ;   in Loop: Header=BB90_9 Depth=1
	s_or_b32 exec_lo, exec_lo, s4
	s_and_saveexec_b32 s1, s0
	s_cbranch_execz .LBB90_8
	s_branch .LBB90_71
.LBB90_51:                              ;   in Loop: Header=BB90_9 Depth=1
	v_dual_mov_b32 v6, 0 :: v_dual_mov_b32 v33, v16
	v_dual_mov_b32 v7, 0 :: v_dual_mov_b32 v32, v15
	;; [unrolled: 1-line block ×3, first 2 shown]
	s_and_not1_b32 vcc_lo, exec_lo, s33
	s_mov_b64 s[26:27], s[22:23]
	s_mov_b32 s40, s36
	s_cbranch_vccnz .LBB90_58
.LBB90_52:                              ;   Parent Loop BB90_9 Depth=1
                                        ; =>  This Inner Loop Header: Depth=2
	s_load_b64 s[28:29], s[26:27], 0x0
                                        ; implicit-def: $vgpr34_vgpr35
	s_mov_b32 s4, exec_lo
	s_waitcnt lgkmcnt(0)
	v_or_b32_e32 v24, s29, v33
	s_delay_alu instid0(VALU_DEP_1)
	v_cmpx_ne_u64_e32 0, v[23:24]
	s_xor_b32 s41, exec_lo, s4
	s_cbranch_execz .LBB90_54
; %bb.53:                               ;   in Loop: Header=BB90_52 Depth=2
	v_cvt_f32_u32_e32 v24, s28
	v_cvt_f32_u32_e32 v34, s29
	s_sub_u32 s4, 0, s28
	s_subb_u32 s42, 0, s29
	s_delay_alu instid0(VALU_DEP_1) | instskip(NEXT) | instid1(VALU_DEP_1)
	v_fmac_f32_e32 v24, 0x4f800000, v34
	v_rcp_f32_e32 v24, v24
	s_waitcnt_depctr 0xfff
	v_mul_f32_e32 v24, 0x5f7ffffc, v24
	s_delay_alu instid0(VALU_DEP_1) | instskip(NEXT) | instid1(VALU_DEP_1)
	v_mul_f32_e32 v34, 0x2f800000, v24
	v_trunc_f32_e32 v34, v34
	s_delay_alu instid0(VALU_DEP_1) | instskip(SKIP_1) | instid1(VALU_DEP_2)
	v_fmac_f32_e32 v24, 0xcf800000, v34
	v_cvt_u32_f32_e32 v34, v34
	v_cvt_u32_f32_e32 v24, v24
	s_delay_alu instid0(VALU_DEP_2) | instskip(NEXT) | instid1(VALU_DEP_2)
	v_mul_lo_u32 v35, s4, v34
	v_mul_hi_u32 v36, s4, v24
	v_mul_lo_u32 v37, s42, v24
	s_delay_alu instid0(VALU_DEP_2) | instskip(SKIP_1) | instid1(VALU_DEP_2)
	v_add_nc_u32_e32 v35, v36, v35
	v_mul_lo_u32 v36, s4, v24
	v_add_nc_u32_e32 v35, v35, v37
	s_delay_alu instid0(VALU_DEP_2) | instskip(NEXT) | instid1(VALU_DEP_2)
	v_mul_hi_u32 v37, v24, v36
	v_mul_lo_u32 v59, v24, v35
	v_mul_hi_u32 v60, v24, v35
	v_mul_hi_u32 v61, v34, v36
	v_mul_lo_u32 v36, v34, v36
	v_mul_hi_u32 v62, v34, v35
	v_mul_lo_u32 v35, v34, v35
	v_add_co_u32 v37, vcc_lo, v37, v59
	v_add_co_ci_u32_e32 v59, vcc_lo, 0, v60, vcc_lo
	s_delay_alu instid0(VALU_DEP_2) | instskip(NEXT) | instid1(VALU_DEP_2)
	v_add_co_u32 v36, vcc_lo, v37, v36
	v_add_co_ci_u32_e32 v36, vcc_lo, v59, v61, vcc_lo
	v_add_co_ci_u32_e32 v37, vcc_lo, 0, v62, vcc_lo
	s_delay_alu instid0(VALU_DEP_2) | instskip(NEXT) | instid1(VALU_DEP_2)
	v_add_co_u32 v35, vcc_lo, v36, v35
	v_add_co_ci_u32_e32 v36, vcc_lo, 0, v37, vcc_lo
	s_delay_alu instid0(VALU_DEP_2) | instskip(NEXT) | instid1(VALU_DEP_2)
	v_add_co_u32 v24, vcc_lo, v24, v35
	v_add_co_ci_u32_e32 v34, vcc_lo, v34, v36, vcc_lo
	s_delay_alu instid0(VALU_DEP_2) | instskip(SKIP_1) | instid1(VALU_DEP_3)
	v_mul_hi_u32 v35, s4, v24
	v_mul_lo_u32 v37, s42, v24
	v_mul_lo_u32 v36, s4, v34
	s_delay_alu instid0(VALU_DEP_1) | instskip(SKIP_1) | instid1(VALU_DEP_2)
	v_add_nc_u32_e32 v35, v35, v36
	v_mul_lo_u32 v36, s4, v24
	v_add_nc_u32_e32 v35, v35, v37
	s_delay_alu instid0(VALU_DEP_2) | instskip(NEXT) | instid1(VALU_DEP_2)
	v_mul_hi_u32 v37, v24, v36
	v_mul_lo_u32 v59, v24, v35
	v_mul_hi_u32 v60, v24, v35
	v_mul_hi_u32 v61, v34, v36
	v_mul_lo_u32 v36, v34, v36
	v_mul_hi_u32 v62, v34, v35
	v_mul_lo_u32 v35, v34, v35
	v_add_co_u32 v37, vcc_lo, v37, v59
	v_add_co_ci_u32_e32 v59, vcc_lo, 0, v60, vcc_lo
	s_delay_alu instid0(VALU_DEP_2) | instskip(NEXT) | instid1(VALU_DEP_2)
	v_add_co_u32 v36, vcc_lo, v37, v36
	v_add_co_ci_u32_e32 v36, vcc_lo, v59, v61, vcc_lo
	v_add_co_ci_u32_e32 v37, vcc_lo, 0, v62, vcc_lo
	s_delay_alu instid0(VALU_DEP_2) | instskip(NEXT) | instid1(VALU_DEP_2)
	v_add_co_u32 v35, vcc_lo, v36, v35
	v_add_co_ci_u32_e32 v36, vcc_lo, 0, v37, vcc_lo
	s_delay_alu instid0(VALU_DEP_2) | instskip(NEXT) | instid1(VALU_DEP_2)
	v_add_co_u32 v24, vcc_lo, v24, v35
	v_add_co_ci_u32_e32 v61, vcc_lo, v34, v36, vcc_lo
	s_delay_alu instid0(VALU_DEP_2) | instskip(SKIP_1) | instid1(VALU_DEP_3)
	v_mul_hi_u32 v62, v32, v24
	v_mad_u64_u32 v[36:37], null, v33, v24, 0
	v_mad_u64_u32 v[34:35], null, v32, v61, 0
	;; [unrolled: 1-line block ×3, first 2 shown]
	s_delay_alu instid0(VALU_DEP_2) | instskip(NEXT) | instid1(VALU_DEP_3)
	v_add_co_u32 v24, vcc_lo, v62, v34
	v_add_co_ci_u32_e32 v34, vcc_lo, 0, v35, vcc_lo
	s_delay_alu instid0(VALU_DEP_2) | instskip(NEXT) | instid1(VALU_DEP_2)
	v_add_co_u32 v24, vcc_lo, v24, v36
	v_add_co_ci_u32_e32 v24, vcc_lo, v34, v37, vcc_lo
	v_add_co_ci_u32_e32 v34, vcc_lo, 0, v60, vcc_lo
	s_delay_alu instid0(VALU_DEP_2) | instskip(NEXT) | instid1(VALU_DEP_2)
	v_add_co_u32 v24, vcc_lo, v24, v59
	v_add_co_ci_u32_e32 v36, vcc_lo, 0, v34, vcc_lo
	s_delay_alu instid0(VALU_DEP_2) | instskip(SKIP_1) | instid1(VALU_DEP_3)
	v_mul_lo_u32 v37, s29, v24
	v_mad_u64_u32 v[34:35], null, s28, v24, 0
	v_mul_lo_u32 v59, s28, v36
	s_delay_alu instid0(VALU_DEP_2) | instskip(NEXT) | instid1(VALU_DEP_2)
	v_sub_co_u32 v34, vcc_lo, v32, v34
	v_add3_u32 v35, v35, v59, v37
	s_delay_alu instid0(VALU_DEP_1) | instskip(NEXT) | instid1(VALU_DEP_1)
	v_sub_nc_u32_e32 v37, v33, v35
	v_subrev_co_ci_u32_e64 v37, s4, s29, v37, vcc_lo
	v_add_co_u32 v59, s4, v24, 2
	s_delay_alu instid0(VALU_DEP_1) | instskip(SKIP_3) | instid1(VALU_DEP_3)
	v_add_co_ci_u32_e64 v60, s4, 0, v36, s4
	v_sub_co_u32 v61, s4, v34, s28
	v_sub_co_ci_u32_e32 v35, vcc_lo, v33, v35, vcc_lo
	v_subrev_co_ci_u32_e64 v37, s4, 0, v37, s4
	v_cmp_le_u32_e32 vcc_lo, s28, v61
	s_delay_alu instid0(VALU_DEP_3) | instskip(SKIP_1) | instid1(VALU_DEP_4)
	v_cmp_eq_u32_e64 s4, s29, v35
	v_cndmask_b32_e64 v61, 0, -1, vcc_lo
	v_cmp_le_u32_e32 vcc_lo, s29, v37
	v_cndmask_b32_e64 v62, 0, -1, vcc_lo
	v_cmp_le_u32_e32 vcc_lo, s28, v34
	;; [unrolled: 2-line block ×3, first 2 shown]
	v_cndmask_b32_e64 v63, 0, -1, vcc_lo
	v_cmp_eq_u32_e32 vcc_lo, s29, v37
	s_delay_alu instid0(VALU_DEP_2) | instskip(SKIP_3) | instid1(VALU_DEP_3)
	v_cndmask_b32_e64 v34, v63, v34, s4
	v_cndmask_b32_e32 v37, v62, v61, vcc_lo
	v_add_co_u32 v61, vcc_lo, v24, 1
	v_add_co_ci_u32_e32 v62, vcc_lo, 0, v36, vcc_lo
	v_cmp_ne_u32_e32 vcc_lo, 0, v37
	s_delay_alu instid0(VALU_DEP_3) | instskip(NEXT) | instid1(VALU_DEP_3)
	v_cndmask_b32_e32 v37, v61, v59, vcc_lo
	v_cndmask_b32_e32 v35, v62, v60, vcc_lo
	v_cmp_ne_u32_e32 vcc_lo, 0, v34
	s_delay_alu instid0(VALU_DEP_3) | instskip(NEXT) | instid1(VALU_DEP_3)
	v_cndmask_b32_e32 v34, v24, v37, vcc_lo
	v_cndmask_b32_e32 v35, v36, v35, vcc_lo
.LBB90_54:                              ;   in Loop: Header=BB90_52 Depth=2
	s_and_not1_saveexec_b32 s4, s41
	s_cbranch_execz .LBB90_56
; %bb.55:                               ;   in Loop: Header=BB90_52 Depth=2
	v_cvt_f32_u32_e32 v24, s28
	s_sub_i32 s41, 0, s28
	s_delay_alu instid0(VALU_DEP_1) | instskip(SKIP_2) | instid1(VALU_DEP_1)
	v_rcp_iflag_f32_e32 v24, v24
	s_waitcnt_depctr 0xfff
	v_mul_f32_e32 v24, 0x4f7ffffe, v24
	v_cvt_u32_f32_e32 v24, v24
	s_delay_alu instid0(VALU_DEP_1) | instskip(NEXT) | instid1(VALU_DEP_1)
	v_mul_lo_u32 v34, s41, v24
	v_mul_hi_u32 v34, v24, v34
	s_delay_alu instid0(VALU_DEP_1) | instskip(NEXT) | instid1(VALU_DEP_1)
	v_add_nc_u32_e32 v24, v24, v34
	v_mul_hi_u32 v24, v32, v24
	s_delay_alu instid0(VALU_DEP_1) | instskip(SKIP_1) | instid1(VALU_DEP_2)
	v_mul_lo_u32 v34, v24, s28
	v_add_nc_u32_e32 v35, 1, v24
	v_sub_nc_u32_e32 v34, v32, v34
	s_delay_alu instid0(VALU_DEP_1) | instskip(SKIP_1) | instid1(VALU_DEP_2)
	v_subrev_nc_u32_e32 v36, s28, v34
	v_cmp_le_u32_e32 vcc_lo, s28, v34
	v_cndmask_b32_e32 v34, v34, v36, vcc_lo
	v_cndmask_b32_e32 v24, v24, v35, vcc_lo
	s_delay_alu instid0(VALU_DEP_2) | instskip(NEXT) | instid1(VALU_DEP_2)
	v_cmp_le_u32_e32 vcc_lo, s28, v34
	v_add_nc_u32_e32 v35, 1, v24
	s_delay_alu instid0(VALU_DEP_1)
	v_dual_cndmask_b32 v34, v24, v35 :: v_dual_mov_b32 v35, v23
.LBB90_56:                              ;   in Loop: Header=BB90_52 Depth=2
	s_or_b32 exec_lo, exec_lo, s4
	s_load_b64 s[42:43], s[26:27], 0xc8
	s_delay_alu instid0(VALU_DEP_1) | instskip(NEXT) | instid1(VALU_DEP_2)
	v_mul_lo_u32 v24, v35, s28
	v_mul_lo_u32 v59, v34, s29
	v_mad_u64_u32 v[36:37], null, v34, s28, 0
	s_add_i32 s40, s40, -1
	s_add_u32 s26, s26, -8
	s_addc_u32 s27, s27, -1
	s_cmp_gt_u32 s40, 2
	s_delay_alu instid0(VALU_DEP_1) | instskip(NEXT) | instid1(VALU_DEP_2)
	v_add3_u32 v24, v37, v59, v24
	v_sub_co_u32 v36, vcc_lo, v32, v36
	s_delay_alu instid0(VALU_DEP_2) | instskip(SKIP_1) | instid1(VALU_DEP_2)
	v_sub_co_ci_u32_e32 v24, vcc_lo, v33, v24, vcc_lo
	s_waitcnt lgkmcnt(0)
	v_mul_lo_u32 v37, s43, v36
	s_delay_alu instid0(VALU_DEP_2) | instskip(SKIP_1) | instid1(VALU_DEP_1)
	v_mul_lo_u32 v24, s42, v24
	v_mad_u64_u32 v[32:33], null, s42, v36, v[6:7]
	v_add3_u32 v7, v37, v33, v24
	s_delay_alu instid0(VALU_DEP_2)
	v_mov_b32_e32 v6, v32
	s_cbranch_scc0 .LBB90_58
; %bb.57:                               ;   in Loop: Header=BB90_52 Depth=2
	v_dual_mov_b32 v32, v34 :: v_dual_mov_b32 v33, v35
	s_branch .LBB90_52
.LBB90_58:                              ;   in Loop: Header=BB90_9 Depth=1
	v_mul_lo_u32 v24, s13, v34
	v_mul_lo_u32 v35, s12, v35
	v_mad_u64_u32 v[32:33], null, s12, v34, 0
	v_lshlrev_b64 v[6:7], 3, v[6:7]
	s_delay_alu instid0(VALU_DEP_2) | instskip(NEXT) | instid1(VALU_DEP_1)
	v_add3_u32 v33, v33, v35, v24
	v_lshlrev_b64 v[32:33], 3, v[32:33]
	s_delay_alu instid0(VALU_DEP_1) | instskip(NEXT) | instid1(VALU_DEP_2)
	v_add_co_u32 v24, vcc_lo, s20, v32
	v_add_co_ci_u32_e32 v32, vcc_lo, s21, v33, vcc_lo
	s_delay_alu instid0(VALU_DEP_2) | instskip(NEXT) | instid1(VALU_DEP_2)
	v_add_co_u32 v6, vcc_lo, v24, v6
	v_add_co_ci_u32_e32 v7, vcc_lo, v32, v7, vcc_lo
	global_load_b64 v[6:7], v[6:7], off
	s_or_b32 exec_lo, exec_lo, s39
	s_and_saveexec_b32 s4, s3
	s_cbranch_execz .LBB90_48
.LBB90_59:                              ;   in Loop: Header=BB90_9 Depth=1
	v_dual_mov_b32 v32, 0 :: v_dual_mov_b32 v35, v28
	v_dual_mov_b32 v33, 0 :: v_dual_mov_b32 v34, v27
	;; [unrolled: 1-line block ×3, first 2 shown]
	s_and_not1_b32 vcc_lo, exec_lo, s34
	s_mov_b64 s[26:27], s[24:25]
	s_mov_b32 s39, s38
	s_cbranch_vccnz .LBB90_66
.LBB90_60:                              ;   Parent Loop BB90_9 Depth=1
                                        ; =>  This Inner Loop Header: Depth=2
	s_load_b64 s[28:29], s[26:27], 0x0
                                        ; implicit-def: $vgpr36_vgpr37
	s_mov_b32 s3, exec_lo
	s_waitcnt lgkmcnt(0)
	v_or_b32_e32 v24, s29, v35
	s_delay_alu instid0(VALU_DEP_1)
	v_cmpx_ne_u64_e32 0, v[23:24]
	s_xor_b32 s40, exec_lo, s3
	s_cbranch_execz .LBB90_62
; %bb.61:                               ;   in Loop: Header=BB90_60 Depth=2
	v_cvt_f32_u32_e32 v24, s28
	v_cvt_f32_u32_e32 v36, s29
	s_sub_u32 s3, 0, s28
	s_subb_u32 s41, 0, s29
	s_delay_alu instid0(VALU_DEP_1) | instskip(NEXT) | instid1(VALU_DEP_1)
	v_fmac_f32_e32 v24, 0x4f800000, v36
	v_rcp_f32_e32 v24, v24
	s_waitcnt_depctr 0xfff
	v_mul_f32_e32 v24, 0x5f7ffffc, v24
	s_delay_alu instid0(VALU_DEP_1) | instskip(NEXT) | instid1(VALU_DEP_1)
	v_mul_f32_e32 v36, 0x2f800000, v24
	v_trunc_f32_e32 v36, v36
	s_delay_alu instid0(VALU_DEP_1) | instskip(SKIP_1) | instid1(VALU_DEP_2)
	v_fmac_f32_e32 v24, 0xcf800000, v36
	v_cvt_u32_f32_e32 v36, v36
	v_cvt_u32_f32_e32 v24, v24
	s_delay_alu instid0(VALU_DEP_2) | instskip(NEXT) | instid1(VALU_DEP_2)
	v_mul_lo_u32 v37, s3, v36
	v_mul_hi_u32 v59, s3, v24
	v_mul_lo_u32 v60, s41, v24
	s_delay_alu instid0(VALU_DEP_2) | instskip(SKIP_1) | instid1(VALU_DEP_2)
	v_add_nc_u32_e32 v37, v59, v37
	v_mul_lo_u32 v59, s3, v24
	v_add_nc_u32_e32 v37, v37, v60
	s_delay_alu instid0(VALU_DEP_2) | instskip(NEXT) | instid1(VALU_DEP_2)
	v_mul_hi_u32 v60, v24, v59
	v_mul_lo_u32 v61, v24, v37
	v_mul_hi_u32 v62, v24, v37
	v_mul_hi_u32 v63, v36, v59
	v_mul_lo_u32 v59, v36, v59
	v_mul_hi_u32 v64, v36, v37
	v_mul_lo_u32 v37, v36, v37
	v_add_co_u32 v60, vcc_lo, v60, v61
	v_add_co_ci_u32_e32 v61, vcc_lo, 0, v62, vcc_lo
	s_delay_alu instid0(VALU_DEP_2) | instskip(NEXT) | instid1(VALU_DEP_2)
	v_add_co_u32 v59, vcc_lo, v60, v59
	v_add_co_ci_u32_e32 v59, vcc_lo, v61, v63, vcc_lo
	v_add_co_ci_u32_e32 v60, vcc_lo, 0, v64, vcc_lo
	s_delay_alu instid0(VALU_DEP_2) | instskip(NEXT) | instid1(VALU_DEP_2)
	v_add_co_u32 v37, vcc_lo, v59, v37
	v_add_co_ci_u32_e32 v59, vcc_lo, 0, v60, vcc_lo
	s_delay_alu instid0(VALU_DEP_2) | instskip(NEXT) | instid1(VALU_DEP_2)
	v_add_co_u32 v24, vcc_lo, v24, v37
	v_add_co_ci_u32_e32 v36, vcc_lo, v36, v59, vcc_lo
	s_delay_alu instid0(VALU_DEP_2) | instskip(SKIP_1) | instid1(VALU_DEP_3)
	v_mul_hi_u32 v37, s3, v24
	v_mul_lo_u32 v60, s41, v24
	v_mul_lo_u32 v59, s3, v36
	s_delay_alu instid0(VALU_DEP_1) | instskip(SKIP_1) | instid1(VALU_DEP_2)
	v_add_nc_u32_e32 v37, v37, v59
	v_mul_lo_u32 v59, s3, v24
	v_add_nc_u32_e32 v37, v37, v60
	s_delay_alu instid0(VALU_DEP_2) | instskip(NEXT) | instid1(VALU_DEP_2)
	v_mul_hi_u32 v60, v24, v59
	v_mul_lo_u32 v61, v24, v37
	v_mul_hi_u32 v62, v24, v37
	v_mul_hi_u32 v63, v36, v59
	v_mul_lo_u32 v59, v36, v59
	v_mul_hi_u32 v64, v36, v37
	v_mul_lo_u32 v37, v36, v37
	v_add_co_u32 v60, vcc_lo, v60, v61
	v_add_co_ci_u32_e32 v61, vcc_lo, 0, v62, vcc_lo
	s_delay_alu instid0(VALU_DEP_2) | instskip(NEXT) | instid1(VALU_DEP_2)
	v_add_co_u32 v59, vcc_lo, v60, v59
	v_add_co_ci_u32_e32 v59, vcc_lo, v61, v63, vcc_lo
	v_add_co_ci_u32_e32 v60, vcc_lo, 0, v64, vcc_lo
	s_delay_alu instid0(VALU_DEP_2) | instskip(NEXT) | instid1(VALU_DEP_2)
	v_add_co_u32 v37, vcc_lo, v59, v37
	v_add_co_ci_u32_e32 v59, vcc_lo, 0, v60, vcc_lo
	s_delay_alu instid0(VALU_DEP_2) | instskip(NEXT) | instid1(VALU_DEP_2)
	v_add_co_u32 v24, vcc_lo, v24, v37
	v_add_co_ci_u32_e32 v63, vcc_lo, v36, v59, vcc_lo
	s_delay_alu instid0(VALU_DEP_2) | instskip(SKIP_1) | instid1(VALU_DEP_3)
	v_mul_hi_u32 v64, v34, v24
	v_mad_u64_u32 v[59:60], null, v35, v24, 0
	v_mad_u64_u32 v[36:37], null, v34, v63, 0
	v_mad_u64_u32 v[61:62], null, v35, v63, 0
	s_delay_alu instid0(VALU_DEP_2) | instskip(NEXT) | instid1(VALU_DEP_3)
	v_add_co_u32 v24, vcc_lo, v64, v36
	v_add_co_ci_u32_e32 v36, vcc_lo, 0, v37, vcc_lo
	s_delay_alu instid0(VALU_DEP_2) | instskip(NEXT) | instid1(VALU_DEP_2)
	v_add_co_u32 v24, vcc_lo, v24, v59
	v_add_co_ci_u32_e32 v24, vcc_lo, v36, v60, vcc_lo
	v_add_co_ci_u32_e32 v36, vcc_lo, 0, v62, vcc_lo
	s_delay_alu instid0(VALU_DEP_2) | instskip(NEXT) | instid1(VALU_DEP_2)
	v_add_co_u32 v24, vcc_lo, v24, v61
	v_add_co_ci_u32_e32 v59, vcc_lo, 0, v36, vcc_lo
	s_delay_alu instid0(VALU_DEP_2) | instskip(SKIP_1) | instid1(VALU_DEP_3)
	v_mul_lo_u32 v60, s29, v24
	v_mad_u64_u32 v[36:37], null, s28, v24, 0
	v_mul_lo_u32 v61, s28, v59
	s_delay_alu instid0(VALU_DEP_2) | instskip(NEXT) | instid1(VALU_DEP_2)
	v_sub_co_u32 v36, vcc_lo, v34, v36
	v_add3_u32 v37, v37, v61, v60
	s_delay_alu instid0(VALU_DEP_1) | instskip(NEXT) | instid1(VALU_DEP_1)
	v_sub_nc_u32_e32 v60, v35, v37
	v_subrev_co_ci_u32_e64 v60, s3, s29, v60, vcc_lo
	v_add_co_u32 v61, s3, v24, 2
	s_delay_alu instid0(VALU_DEP_1) | instskip(SKIP_3) | instid1(VALU_DEP_3)
	v_add_co_ci_u32_e64 v62, s3, 0, v59, s3
	v_sub_co_u32 v63, s3, v36, s28
	v_sub_co_ci_u32_e32 v37, vcc_lo, v35, v37, vcc_lo
	v_subrev_co_ci_u32_e64 v60, s3, 0, v60, s3
	v_cmp_le_u32_e32 vcc_lo, s28, v63
	s_delay_alu instid0(VALU_DEP_3) | instskip(SKIP_1) | instid1(VALU_DEP_4)
	v_cmp_eq_u32_e64 s3, s29, v37
	v_cndmask_b32_e64 v63, 0, -1, vcc_lo
	v_cmp_le_u32_e32 vcc_lo, s29, v60
	v_cndmask_b32_e64 v64, 0, -1, vcc_lo
	v_cmp_le_u32_e32 vcc_lo, s28, v36
	;; [unrolled: 2-line block ×3, first 2 shown]
	v_cndmask_b32_e64 v65, 0, -1, vcc_lo
	v_cmp_eq_u32_e32 vcc_lo, s29, v60
	s_delay_alu instid0(VALU_DEP_2) | instskip(SKIP_3) | instid1(VALU_DEP_3)
	v_cndmask_b32_e64 v36, v65, v36, s3
	v_cndmask_b32_e32 v60, v64, v63, vcc_lo
	v_add_co_u32 v63, vcc_lo, v24, 1
	v_add_co_ci_u32_e32 v64, vcc_lo, 0, v59, vcc_lo
	v_cmp_ne_u32_e32 vcc_lo, 0, v60
	s_delay_alu instid0(VALU_DEP_2) | instskip(SKIP_1) | instid1(VALU_DEP_2)
	v_dual_cndmask_b32 v60, v63, v61 :: v_dual_cndmask_b32 v37, v64, v62
	v_cmp_ne_u32_e32 vcc_lo, 0, v36
	v_dual_cndmask_b32 v37, v59, v37 :: v_dual_cndmask_b32 v36, v24, v60
.LBB90_62:                              ;   in Loop: Header=BB90_60 Depth=2
	s_and_not1_saveexec_b32 s3, s40
	s_cbranch_execz .LBB90_64
; %bb.63:                               ;   in Loop: Header=BB90_60 Depth=2
	v_cvt_f32_u32_e32 v24, s28
	s_sub_i32 s40, 0, s28
	s_delay_alu instid0(VALU_DEP_1) | instskip(SKIP_2) | instid1(VALU_DEP_1)
	v_rcp_iflag_f32_e32 v24, v24
	s_waitcnt_depctr 0xfff
	v_mul_f32_e32 v24, 0x4f7ffffe, v24
	v_cvt_u32_f32_e32 v24, v24
	s_delay_alu instid0(VALU_DEP_1) | instskip(NEXT) | instid1(VALU_DEP_1)
	v_mul_lo_u32 v36, s40, v24
	v_mul_hi_u32 v36, v24, v36
	s_delay_alu instid0(VALU_DEP_1) | instskip(NEXT) | instid1(VALU_DEP_1)
	v_add_nc_u32_e32 v24, v24, v36
	v_mul_hi_u32 v24, v34, v24
	s_delay_alu instid0(VALU_DEP_1) | instskip(NEXT) | instid1(VALU_DEP_1)
	v_mul_lo_u32 v36, v24, s28
	v_sub_nc_u32_e32 v36, v34, v36
	s_delay_alu instid0(VALU_DEP_1) | instskip(SKIP_1) | instid1(VALU_DEP_2)
	v_subrev_nc_u32_e32 v59, s28, v36
	v_cmp_le_u32_e32 vcc_lo, s28, v36
	v_dual_cndmask_b32 v36, v36, v59 :: v_dual_add_nc_u32 v37, 1, v24
	s_delay_alu instid0(VALU_DEP_1) | instskip(NEXT) | instid1(VALU_DEP_2)
	v_cndmask_b32_e32 v24, v24, v37, vcc_lo
	v_cmp_le_u32_e32 vcc_lo, s28, v36
	s_delay_alu instid0(VALU_DEP_2) | instskip(NEXT) | instid1(VALU_DEP_1)
	v_add_nc_u32_e32 v37, 1, v24
	v_dual_cndmask_b32 v36, v24, v37 :: v_dual_mov_b32 v37, v23
.LBB90_64:                              ;   in Loop: Header=BB90_60 Depth=2
	s_or_b32 exec_lo, exec_lo, s3
	s_load_b64 s[40:41], s[26:27], 0xc8
	s_delay_alu instid0(VALU_DEP_1) | instskip(NEXT) | instid1(VALU_DEP_2)
	v_mul_lo_u32 v24, v37, s28
	v_mul_lo_u32 v61, v36, s29
	v_mad_u64_u32 v[59:60], null, v36, s28, 0
	s_add_i32 s39, s39, -1
	s_add_u32 s26, s26, -8
	s_addc_u32 s27, s27, -1
	s_cmp_gt_u32 s39, 2
	s_delay_alu instid0(VALU_DEP_1) | instskip(NEXT) | instid1(VALU_DEP_2)
	v_add3_u32 v24, v60, v61, v24
	v_sub_co_u32 v59, vcc_lo, v34, v59
	s_delay_alu instid0(VALU_DEP_2) | instskip(SKIP_1) | instid1(VALU_DEP_2)
	v_sub_co_ci_u32_e32 v24, vcc_lo, v35, v24, vcc_lo
	s_waitcnt lgkmcnt(0)
	v_mul_lo_u32 v60, s41, v59
	s_delay_alu instid0(VALU_DEP_2) | instskip(SKIP_1) | instid1(VALU_DEP_1)
	v_mul_lo_u32 v24, s40, v24
	v_mad_u64_u32 v[34:35], null, s40, v59, v[32:33]
	v_add3_u32 v33, v60, v35, v24
	s_delay_alu instid0(VALU_DEP_2)
	v_mov_b32_e32 v32, v34
	s_cbranch_scc0 .LBB90_66
; %bb.65:                               ;   in Loop: Header=BB90_60 Depth=2
	v_dual_mov_b32 v34, v36 :: v_dual_mov_b32 v35, v37
	s_branch .LBB90_60
.LBB90_66:                              ;   in Loop: Header=BB90_9 Depth=1
	v_cvt_f32_u32_e32 v8, v8
	s_delay_alu instid0(VALU_DEP_2) | instskip(NEXT) | instid1(VALU_DEP_2)
	v_mad_u64_u32 v[59:60], null, s14, v36, v[32:33]
	v_fmaak_f32 v8, 0x2f800000, v8, 0x2f800000
	s_delay_alu instid0(VALU_DEP_1) | instskip(SKIP_1) | instid1(VALU_DEP_2)
	v_cvt_f64_f32_e32 v[34:35], v8
	v_mul_lo_u32 v8, s14, v37
	v_cmp_gt_f64_e32 vcc_lo, s[18:19], v[34:35]
	v_cndmask_b32_e64 v24, 0, 0x3ff00000, vcc_lo
	s_waitcnt vmcnt(0)
	s_delay_alu instid0(VALU_DEP_1) | instskip(SKIP_2) | instid1(VALU_DEP_2)
	v_mul_f64 v[34:35], v[0:1], v[23:24]
	v_mul_lo_u32 v24, s15, v36
	v_add_co_u32 v36, s3, s8, v59
	v_add3_u32 v60, v24, v60, v8
	v_cndmask_b32_e64 v8, 0, 1, vcc_lo
	s_delay_alu instid0(VALU_DEP_2) | instskip(SKIP_1) | instid1(VALU_DEP_2)
	v_lshlrev_b64 v[32:33], 3, v[59:60]
	v_add_co_ci_u32_e64 v37, s3, s9, v60, s3
	v_add_co_u32 v32, s3, s10, v32
	s_delay_alu instid0(VALU_DEP_1)
	v_add_co_ci_u32_e64 v33, s3, s11, v33, s3
	v_mul_f64 v[34:35], v[25:26], v[34:35]
	global_store_b64 v[32:33], v[34:35], off
	global_store_b8 v[36:37], v8, off
	s_or_b32 exec_lo, exec_lo, s4
	s_and_saveexec_b32 s3, s2
	s_cbranch_execz .LBB90_49
.LBB90_67:                              ;   in Loop: Header=BB90_9 Depth=1
	v_mov_b32_e32 v32, 0
	v_mov_b32_e32 v33, 0
	s_and_not1_b32 vcc_lo, exec_lo, s34
	s_mov_b64 s[26:27], s[24:25]
	s_mov_b32 s4, s38
	s_cbranch_vccz .LBB90_73
.LBB90_68:                              ;   in Loop: Header=BB90_9 Depth=1
	v_cvt_f32_u32_e32 v8, v9
	s_delay_alu instid0(VALU_DEP_2) | instskip(SKIP_1) | instid1(VALU_DEP_3)
	v_mad_u64_u32 v[34:35], null, s14, v30, v[32:33]
	v_mul_lo_u32 v30, s15, v30
	v_fmaak_f32 v8, 0x2f800000, v8, 0x2f800000
	s_delay_alu instid0(VALU_DEP_3) | instskip(NEXT) | instid1(VALU_DEP_2)
	v_add_co_u32 v32, s2, s8, v34
	v_cvt_f64_f32_e32 v[8:9], v8
	s_delay_alu instid0(VALU_DEP_1) | instskip(SKIP_2) | instid1(VALU_DEP_1)
	v_cmp_gt_f64_e32 vcc_lo, s[18:19], v[8:9]
	v_cndmask_b32_e64 v24, 0, 0x3ff00000, vcc_lo
	s_waitcnt vmcnt(0)
	v_mul_f64 v[8:9], v[2:3], v[23:24]
	v_mul_lo_u32 v24, s14, v31
	s_delay_alu instid0(VALU_DEP_1) | instskip(SKIP_1) | instid1(VALU_DEP_2)
	v_add3_u32 v35, v30, v35, v24
	v_cndmask_b32_e64 v24, 0, 1, vcc_lo
	v_lshlrev_b64 v[30:31], 3, v[34:35]
	v_add_co_ci_u32_e64 v33, s2, s9, v35, s2
	s_delay_alu instid0(VALU_DEP_2) | instskip(NEXT) | instid1(VALU_DEP_1)
	v_add_co_u32 v30, s2, s10, v30
	v_add_co_ci_u32_e64 v31, s2, s11, v31, s2
	v_mul_f64 v[8:9], v[25:26], v[8:9]
	global_store_b64 v[30:31], v[8:9], off
	global_store_b8 v[32:33], v24, off
	s_or_b32 exec_lo, exec_lo, s3
	s_and_saveexec_b32 s4, s1
	s_cbranch_execz .LBB90_50
.LBB90_69:                              ;   in Loop: Header=BB90_9 Depth=1
	v_mov_b32_e32 v8, 0
	v_mov_b32_e32 v9, 0
	s_and_not1_b32 vcc_lo, exec_lo, s34
	s_mov_b64 s[2:3], s[24:25]
	s_mov_b32 s28, s38
	s_cbranch_vccz .LBB90_78
.LBB90_70:                              ;   in Loop: Header=BB90_9 Depth=1
	v_cvt_f32_u32_e32 v10, v10
	s_delay_alu instid0(VALU_DEP_3) | instskip(NEXT) | instid1(VALU_DEP_3)
	v_mad_u64_u32 v[32:33], null, s14, v17, v[8:9]
	v_mul_lo_u32 v8, s14, v18
	v_mul_lo_u32 v9, s15, v17
	s_delay_alu instid0(VALU_DEP_4) | instskip(NEXT) | instid1(VALU_DEP_4)
	v_fmaak_f32 v10, 0x2f800000, v10, 0x2f800000
	v_add_co_u32 v17, s1, s8, v32
	s_delay_alu instid0(VALU_DEP_2) | instskip(NEXT) | instid1(VALU_DEP_4)
	v_cvt_f64_f32_e32 v[30:31], v10
	v_add3_u32 v33, v9, v33, v8
	s_delay_alu instid0(VALU_DEP_1) | instskip(SKIP_1) | instid1(VALU_DEP_2)
	v_lshlrev_b64 v[8:9], 3, v[32:33]
	v_add_co_ci_u32_e64 v18, s1, s9, v33, s1
	v_add_co_u32 v8, s1, s10, v8
	s_delay_alu instid0(VALU_DEP_1) | instskip(SKIP_4) | instid1(VALU_DEP_2)
	v_add_co_ci_u32_e64 v9, s1, s11, v9, s1
	v_cmp_gt_f64_e32 vcc_lo, s[18:19], v[30:31]
	v_cndmask_b32_e64 v24, 0, 0x3ff00000, vcc_lo
	v_cndmask_b32_e64 v10, 0, 1, vcc_lo
	s_waitcnt vmcnt(0)
	v_mul_f64 v[30:31], v[4:5], v[23:24]
	s_delay_alu instid0(VALU_DEP_1)
	v_mul_f64 v[30:31], v[25:26], v[30:31]
	global_store_b64 v[8:9], v[30:31], off
	global_store_b8 v[17:18], v10, off
	s_or_b32 exec_lo, exec_lo, s4
	s_and_saveexec_b32 s1, s0
	s_cbranch_execz .LBB90_8
.LBB90_71:                              ;   in Loop: Header=BB90_9 Depth=1
	v_mov_b32_e32 v8, 0
	v_mov_b32_e32 v9, 0
	s_and_not1_b32 vcc_lo, exec_lo, s34
	s_mov_b64 s[2:3], s[24:25]
	s_mov_b32 s4, s38
	s_cbranch_vccz .LBB90_83
	s_branch .LBB90_7
.LBB90_72:                              ;   in Loop: Header=BB90_73 Depth=2
	s_or_b32 exec_lo, exec_lo, s2
	s_load_b64 s[40:41], s[26:27], 0xc8
	v_mul_lo_u32 v8, v35, s28
	v_mul_lo_u32 v24, v34, s29
	v_mad_u64_u32 v[36:37], null, v34, s28, 0
	s_add_i32 s4, s4, -1
	s_add_u32 s26, s26, -8
	s_addc_u32 s27, s27, -1
	s_cmp_gt_u32 s4, 2
	s_delay_alu instid0(VALU_DEP_1) | instskip(NEXT) | instid1(VALU_DEP_2)
	v_add3_u32 v8, v37, v24, v8
	v_sub_co_u32 v24, vcc_lo, v30, v36
	s_delay_alu instid0(VALU_DEP_2) | instskip(SKIP_1) | instid1(VALU_DEP_2)
	v_sub_co_ci_u32_e32 v8, vcc_lo, v31, v8, vcc_lo
	s_waitcnt lgkmcnt(0)
	v_mul_lo_u32 v36, s41, v24
	s_delay_alu instid0(VALU_DEP_2) | instskip(SKIP_1) | instid1(VALU_DEP_1)
	v_mul_lo_u32 v8, s40, v8
	v_mad_u64_u32 v[30:31], null, s40, v24, v[32:33]
	v_add3_u32 v33, v36, v31, v8
	s_delay_alu instid0(VALU_DEP_2)
	v_mov_b32_e32 v32, v30
	v_dual_mov_b32 v30, v34 :: v_dual_mov_b32 v31, v35
	s_cbranch_scc0 .LBB90_68
.LBB90_73:                              ;   Parent Loop BB90_9 Depth=1
                                        ; =>  This Inner Loop Header: Depth=2
	s_load_b64 s[28:29], s[26:27], 0x0
                                        ; implicit-def: $vgpr34_vgpr35
	s_mov_b32 s2, exec_lo
	s_waitcnt lgkmcnt(0)
	v_or_b32_e32 v24, s29, v31
	s_delay_alu instid0(VALU_DEP_1)
	v_cmpx_ne_u64_e32 0, v[23:24]
	s_xor_b32 s39, exec_lo, s2
	s_cbranch_execz .LBB90_75
; %bb.74:                               ;   in Loop: Header=BB90_73 Depth=2
	v_cvt_f32_u32_e32 v8, s28
	v_cvt_f32_u32_e32 v24, s29
	s_sub_u32 s2, 0, s28
	s_subb_u32 s40, 0, s29
	s_delay_alu instid0(VALU_DEP_1) | instskip(NEXT) | instid1(VALU_DEP_1)
	v_fmac_f32_e32 v8, 0x4f800000, v24
	v_rcp_f32_e32 v8, v8
	s_waitcnt_depctr 0xfff
	v_mul_f32_e32 v8, 0x5f7ffffc, v8
	s_delay_alu instid0(VALU_DEP_1) | instskip(NEXT) | instid1(VALU_DEP_1)
	v_mul_f32_e32 v24, 0x2f800000, v8
	v_trunc_f32_e32 v24, v24
	s_delay_alu instid0(VALU_DEP_1) | instskip(SKIP_1) | instid1(VALU_DEP_2)
	v_fmac_f32_e32 v8, 0xcf800000, v24
	v_cvt_u32_f32_e32 v24, v24
	v_cvt_u32_f32_e32 v8, v8
	s_delay_alu instid0(VALU_DEP_2) | instskip(NEXT) | instid1(VALU_DEP_2)
	v_mul_lo_u32 v34, s2, v24
	v_mul_hi_u32 v35, s2, v8
	v_mul_lo_u32 v36, s40, v8
	s_delay_alu instid0(VALU_DEP_2) | instskip(SKIP_1) | instid1(VALU_DEP_2)
	v_add_nc_u32_e32 v34, v35, v34
	v_mul_lo_u32 v35, s2, v8
	v_add_nc_u32_e32 v34, v34, v36
	s_delay_alu instid0(VALU_DEP_2) | instskip(NEXT) | instid1(VALU_DEP_2)
	v_mul_hi_u32 v36, v8, v35
	v_mul_lo_u32 v37, v8, v34
	v_mul_hi_u32 v59, v8, v34
	v_mul_hi_u32 v60, v24, v35
	v_mul_lo_u32 v35, v24, v35
	v_mul_hi_u32 v61, v24, v34
	v_mul_lo_u32 v34, v24, v34
	v_add_co_u32 v36, vcc_lo, v36, v37
	v_add_co_ci_u32_e32 v37, vcc_lo, 0, v59, vcc_lo
	s_delay_alu instid0(VALU_DEP_2) | instskip(NEXT) | instid1(VALU_DEP_2)
	v_add_co_u32 v35, vcc_lo, v36, v35
	v_add_co_ci_u32_e32 v35, vcc_lo, v37, v60, vcc_lo
	v_add_co_ci_u32_e32 v36, vcc_lo, 0, v61, vcc_lo
	s_delay_alu instid0(VALU_DEP_2) | instskip(NEXT) | instid1(VALU_DEP_2)
	v_add_co_u32 v34, vcc_lo, v35, v34
	v_add_co_ci_u32_e32 v35, vcc_lo, 0, v36, vcc_lo
	s_delay_alu instid0(VALU_DEP_2) | instskip(NEXT) | instid1(VALU_DEP_2)
	v_add_co_u32 v8, vcc_lo, v8, v34
	v_add_co_ci_u32_e32 v24, vcc_lo, v24, v35, vcc_lo
	s_delay_alu instid0(VALU_DEP_2) | instskip(SKIP_1) | instid1(VALU_DEP_3)
	v_mul_hi_u32 v34, s2, v8
	v_mul_lo_u32 v36, s40, v8
	v_mul_lo_u32 v35, s2, v24
	s_delay_alu instid0(VALU_DEP_1) | instskip(SKIP_1) | instid1(VALU_DEP_2)
	v_add_nc_u32_e32 v34, v34, v35
	v_mul_lo_u32 v35, s2, v8
	v_add_nc_u32_e32 v34, v34, v36
	s_delay_alu instid0(VALU_DEP_2) | instskip(NEXT) | instid1(VALU_DEP_2)
	v_mul_hi_u32 v36, v8, v35
	v_mul_lo_u32 v37, v8, v34
	v_mul_hi_u32 v59, v8, v34
	v_mul_hi_u32 v60, v24, v35
	v_mul_lo_u32 v35, v24, v35
	v_mul_hi_u32 v61, v24, v34
	v_mul_lo_u32 v34, v24, v34
	v_add_co_u32 v36, vcc_lo, v36, v37
	v_add_co_ci_u32_e32 v37, vcc_lo, 0, v59, vcc_lo
	s_delay_alu instid0(VALU_DEP_2) | instskip(NEXT) | instid1(VALU_DEP_2)
	v_add_co_u32 v35, vcc_lo, v36, v35
	v_add_co_ci_u32_e32 v35, vcc_lo, v37, v60, vcc_lo
	v_add_co_ci_u32_e32 v36, vcc_lo, 0, v61, vcc_lo
	s_delay_alu instid0(VALU_DEP_2) | instskip(NEXT) | instid1(VALU_DEP_2)
	v_add_co_u32 v34, vcc_lo, v35, v34
	v_add_co_ci_u32_e32 v35, vcc_lo, 0, v36, vcc_lo
	s_delay_alu instid0(VALU_DEP_2) | instskip(NEXT) | instid1(VALU_DEP_2)
	v_add_co_u32 v8, vcc_lo, v8, v34
	v_add_co_ci_u32_e32 v24, vcc_lo, v24, v35, vcc_lo
	s_delay_alu instid0(VALU_DEP_2) | instskip(SKIP_1) | instid1(VALU_DEP_3)
	v_mul_hi_u32 v61, v30, v8
	v_mad_u64_u32 v[36:37], null, v31, v8, 0
	v_mad_u64_u32 v[34:35], null, v30, v24, 0
	;; [unrolled: 1-line block ×3, first 2 shown]
	s_delay_alu instid0(VALU_DEP_2) | instskip(NEXT) | instid1(VALU_DEP_3)
	v_add_co_u32 v8, vcc_lo, v61, v34
	v_add_co_ci_u32_e32 v24, vcc_lo, 0, v35, vcc_lo
	s_delay_alu instid0(VALU_DEP_2) | instskip(NEXT) | instid1(VALU_DEP_2)
	v_add_co_u32 v8, vcc_lo, v8, v36
	v_add_co_ci_u32_e32 v8, vcc_lo, v24, v37, vcc_lo
	v_add_co_ci_u32_e32 v24, vcc_lo, 0, v60, vcc_lo
	s_delay_alu instid0(VALU_DEP_2) | instskip(NEXT) | instid1(VALU_DEP_2)
	v_add_co_u32 v8, vcc_lo, v8, v59
	v_add_co_ci_u32_e32 v24, vcc_lo, 0, v24, vcc_lo
	s_delay_alu instid0(VALU_DEP_2) | instskip(SKIP_1) | instid1(VALU_DEP_3)
	v_mul_lo_u32 v36, s29, v8
	v_mad_u64_u32 v[34:35], null, s28, v8, 0
	v_mul_lo_u32 v37, s28, v24
	s_delay_alu instid0(VALU_DEP_2) | instskip(NEXT) | instid1(VALU_DEP_2)
	v_sub_co_u32 v34, vcc_lo, v30, v34
	v_add3_u32 v35, v35, v37, v36
	s_delay_alu instid0(VALU_DEP_1) | instskip(NEXT) | instid1(VALU_DEP_1)
	v_sub_nc_u32_e32 v36, v31, v35
	v_subrev_co_ci_u32_e64 v36, s2, s29, v36, vcc_lo
	v_add_co_u32 v37, s2, v8, 2
	s_delay_alu instid0(VALU_DEP_1) | instskip(SKIP_3) | instid1(VALU_DEP_3)
	v_add_co_ci_u32_e64 v59, s2, 0, v24, s2
	v_sub_co_u32 v60, s2, v34, s28
	v_sub_co_ci_u32_e32 v35, vcc_lo, v31, v35, vcc_lo
	v_subrev_co_ci_u32_e64 v36, s2, 0, v36, s2
	v_cmp_le_u32_e32 vcc_lo, s28, v60
	s_delay_alu instid0(VALU_DEP_3) | instskip(SKIP_1) | instid1(VALU_DEP_4)
	v_cmp_eq_u32_e64 s2, s29, v35
	v_cndmask_b32_e64 v60, 0, -1, vcc_lo
	v_cmp_le_u32_e32 vcc_lo, s29, v36
	v_cndmask_b32_e64 v61, 0, -1, vcc_lo
	v_cmp_le_u32_e32 vcc_lo, s28, v34
	;; [unrolled: 2-line block ×3, first 2 shown]
	v_cndmask_b32_e64 v62, 0, -1, vcc_lo
	v_cmp_eq_u32_e32 vcc_lo, s29, v36
	s_delay_alu instid0(VALU_DEP_2) | instskip(SKIP_3) | instid1(VALU_DEP_3)
	v_cndmask_b32_e64 v34, v62, v34, s2
	v_cndmask_b32_e32 v36, v61, v60, vcc_lo
	v_add_co_u32 v60, vcc_lo, v8, 1
	v_add_co_ci_u32_e32 v61, vcc_lo, 0, v24, vcc_lo
	v_cmp_ne_u32_e32 vcc_lo, 0, v36
	s_delay_alu instid0(VALU_DEP_2) | instskip(SKIP_1) | instid1(VALU_DEP_2)
	v_dual_cndmask_b32 v35, v61, v59 :: v_dual_cndmask_b32 v36, v60, v37
	v_cmp_ne_u32_e32 vcc_lo, 0, v34
	v_cndmask_b32_e32 v35, v24, v35, vcc_lo
	s_delay_alu instid0(VALU_DEP_3)
	v_cndmask_b32_e32 v34, v8, v36, vcc_lo
.LBB90_75:                              ;   in Loop: Header=BB90_73 Depth=2
	s_and_not1_saveexec_b32 s2, s39
	s_cbranch_execz .LBB90_72
; %bb.76:                               ;   in Loop: Header=BB90_73 Depth=2
	v_cvt_f32_u32_e32 v8, s28
	s_sub_i32 s39, 0, s28
	s_delay_alu instid0(VALU_DEP_1) | instskip(SKIP_2) | instid1(VALU_DEP_1)
	v_rcp_iflag_f32_e32 v8, v8
	s_waitcnt_depctr 0xfff
	v_mul_f32_e32 v8, 0x4f7ffffe, v8
	v_cvt_u32_f32_e32 v8, v8
	s_delay_alu instid0(VALU_DEP_1) | instskip(NEXT) | instid1(VALU_DEP_1)
	v_mul_lo_u32 v24, s39, v8
	v_mul_hi_u32 v24, v8, v24
	s_delay_alu instid0(VALU_DEP_1) | instskip(NEXT) | instid1(VALU_DEP_1)
	v_add_nc_u32_e32 v8, v8, v24
	v_mul_hi_u32 v8, v30, v8
	s_delay_alu instid0(VALU_DEP_1) | instskip(SKIP_1) | instid1(VALU_DEP_2)
	v_mul_lo_u32 v24, v8, s28
	v_add_nc_u32_e32 v34, 1, v8
	v_sub_nc_u32_e32 v24, v30, v24
	s_delay_alu instid0(VALU_DEP_1) | instskip(SKIP_1) | instid1(VALU_DEP_2)
	v_subrev_nc_u32_e32 v35, s28, v24
	v_cmp_le_u32_e32 vcc_lo, s28, v24
	v_dual_cndmask_b32 v24, v24, v35 :: v_dual_mov_b32 v35, v23
	v_cndmask_b32_e32 v8, v8, v34, vcc_lo
	s_delay_alu instid0(VALU_DEP_2) | instskip(NEXT) | instid1(VALU_DEP_2)
	v_cmp_le_u32_e32 vcc_lo, s28, v24
	v_add_nc_u32_e32 v34, 1, v8
	s_delay_alu instid0(VALU_DEP_1)
	v_cndmask_b32_e32 v34, v8, v34, vcc_lo
	s_branch .LBB90_72
.LBB90_77:                              ;   in Loop: Header=BB90_78 Depth=2
	s_or_b32 exec_lo, exec_lo, s1
	s_load_b64 s[40:41], s[2:3], 0xc8
	s_delay_alu instid0(VALU_DEP_1)
	v_mul_lo_u32 v24, v31, s26
	v_mul_lo_u32 v34, v30, s27
	v_mad_u64_u32 v[32:33], null, v30, s26, 0
	s_add_i32 s28, s28, -1
	s_add_u32 s2, s2, -8
	s_addc_u32 s3, s3, -1
	s_cmp_gt_u32 s28, 2
	s_delay_alu instid0(VALU_DEP_1) | instskip(NEXT) | instid1(VALU_DEP_2)
	v_add3_u32 v24, v33, v34, v24
	v_sub_co_u32 v32, vcc_lo, v17, v32
	s_delay_alu instid0(VALU_DEP_2) | instskip(SKIP_1) | instid1(VALU_DEP_2)
	v_sub_co_ci_u32_e32 v17, vcc_lo, v18, v24, vcc_lo
	s_waitcnt lgkmcnt(0)
	v_mul_lo_u32 v33, s41, v32
	s_delay_alu instid0(VALU_DEP_2) | instskip(SKIP_1) | instid1(VALU_DEP_1)
	v_mul_lo_u32 v24, s40, v17
	v_mad_u64_u32 v[17:18], null, s40, v32, v[8:9]
	v_add3_u32 v9, v33, v18, v24
	s_delay_alu instid0(VALU_DEP_2)
	v_dual_mov_b32 v8, v17 :: v_dual_mov_b32 v17, v30
	v_mov_b32_e32 v18, v31
	s_cbranch_scc0 .LBB90_70
.LBB90_78:                              ;   Parent Loop BB90_9 Depth=1
                                        ; =>  This Inner Loop Header: Depth=2
	s_load_b64 s[26:27], s[2:3], 0x0
                                        ; implicit-def: $vgpr30_vgpr31
	s_mov_b32 s1, exec_lo
	s_waitcnt lgkmcnt(0)
	v_or_b32_e32 v24, s27, v18
	s_delay_alu instid0(VALU_DEP_1)
	v_cmpx_ne_u64_e32 0, v[23:24]
	s_xor_b32 s29, exec_lo, s1
	s_cbranch_execz .LBB90_80
; %bb.79:                               ;   in Loop: Header=BB90_78 Depth=2
	v_cvt_f32_u32_e32 v24, s26
	v_cvt_f32_u32_e32 v30, s27
	s_sub_u32 s1, 0, s26
	s_subb_u32 s39, 0, s27
	s_delay_alu instid0(VALU_DEP_1) | instskip(NEXT) | instid1(VALU_DEP_1)
	v_fmac_f32_e32 v24, 0x4f800000, v30
	v_rcp_f32_e32 v24, v24
	s_waitcnt_depctr 0xfff
	v_mul_f32_e32 v24, 0x5f7ffffc, v24
	s_delay_alu instid0(VALU_DEP_1) | instskip(NEXT) | instid1(VALU_DEP_1)
	v_mul_f32_e32 v30, 0x2f800000, v24
	v_trunc_f32_e32 v30, v30
	s_delay_alu instid0(VALU_DEP_1) | instskip(SKIP_1) | instid1(VALU_DEP_2)
	v_fmac_f32_e32 v24, 0xcf800000, v30
	v_cvt_u32_f32_e32 v30, v30
	v_cvt_u32_f32_e32 v24, v24
	s_delay_alu instid0(VALU_DEP_2) | instskip(NEXT) | instid1(VALU_DEP_2)
	v_mul_lo_u32 v31, s1, v30
	v_mul_hi_u32 v32, s1, v24
	v_mul_lo_u32 v33, s39, v24
	s_delay_alu instid0(VALU_DEP_2) | instskip(SKIP_1) | instid1(VALU_DEP_2)
	v_add_nc_u32_e32 v31, v32, v31
	v_mul_lo_u32 v32, s1, v24
	v_add_nc_u32_e32 v31, v31, v33
	s_delay_alu instid0(VALU_DEP_2) | instskip(NEXT) | instid1(VALU_DEP_2)
	v_mul_hi_u32 v33, v24, v32
	v_mul_lo_u32 v34, v24, v31
	v_mul_hi_u32 v35, v24, v31
	v_mul_hi_u32 v36, v30, v32
	v_mul_lo_u32 v32, v30, v32
	v_mul_hi_u32 v37, v30, v31
	v_mul_lo_u32 v31, v30, v31
	v_add_co_u32 v33, vcc_lo, v33, v34
	v_add_co_ci_u32_e32 v34, vcc_lo, 0, v35, vcc_lo
	s_delay_alu instid0(VALU_DEP_2) | instskip(NEXT) | instid1(VALU_DEP_2)
	v_add_co_u32 v32, vcc_lo, v33, v32
	v_add_co_ci_u32_e32 v32, vcc_lo, v34, v36, vcc_lo
	v_add_co_ci_u32_e32 v33, vcc_lo, 0, v37, vcc_lo
	s_delay_alu instid0(VALU_DEP_2) | instskip(NEXT) | instid1(VALU_DEP_2)
	v_add_co_u32 v31, vcc_lo, v32, v31
	v_add_co_ci_u32_e32 v32, vcc_lo, 0, v33, vcc_lo
	s_delay_alu instid0(VALU_DEP_2) | instskip(NEXT) | instid1(VALU_DEP_2)
	v_add_co_u32 v24, vcc_lo, v24, v31
	v_add_co_ci_u32_e32 v30, vcc_lo, v30, v32, vcc_lo
	s_delay_alu instid0(VALU_DEP_2) | instskip(SKIP_1) | instid1(VALU_DEP_3)
	v_mul_hi_u32 v31, s1, v24
	v_mul_lo_u32 v33, s39, v24
	v_mul_lo_u32 v32, s1, v30
	s_delay_alu instid0(VALU_DEP_1) | instskip(SKIP_1) | instid1(VALU_DEP_2)
	v_add_nc_u32_e32 v31, v31, v32
	v_mul_lo_u32 v32, s1, v24
	v_add_nc_u32_e32 v31, v31, v33
	s_delay_alu instid0(VALU_DEP_2) | instskip(NEXT) | instid1(VALU_DEP_2)
	v_mul_hi_u32 v33, v24, v32
	v_mul_lo_u32 v34, v24, v31
	v_mul_hi_u32 v35, v24, v31
	v_mul_hi_u32 v36, v30, v32
	v_mul_lo_u32 v32, v30, v32
	v_mul_hi_u32 v37, v30, v31
	v_mul_lo_u32 v31, v30, v31
	v_add_co_u32 v33, vcc_lo, v33, v34
	v_add_co_ci_u32_e32 v34, vcc_lo, 0, v35, vcc_lo
	s_delay_alu instid0(VALU_DEP_2) | instskip(NEXT) | instid1(VALU_DEP_2)
	v_add_co_u32 v32, vcc_lo, v33, v32
	v_add_co_ci_u32_e32 v32, vcc_lo, v34, v36, vcc_lo
	v_add_co_ci_u32_e32 v33, vcc_lo, 0, v37, vcc_lo
	s_delay_alu instid0(VALU_DEP_2) | instskip(NEXT) | instid1(VALU_DEP_2)
	v_add_co_u32 v31, vcc_lo, v32, v31
	v_add_co_ci_u32_e32 v32, vcc_lo, 0, v33, vcc_lo
	s_delay_alu instid0(VALU_DEP_2) | instskip(NEXT) | instid1(VALU_DEP_2)
	v_add_co_u32 v24, vcc_lo, v24, v31
	v_add_co_ci_u32_e32 v36, vcc_lo, v30, v32, vcc_lo
	s_delay_alu instid0(VALU_DEP_2) | instskip(SKIP_1) | instid1(VALU_DEP_3)
	v_mul_hi_u32 v37, v17, v24
	v_mad_u64_u32 v[32:33], null, v18, v24, 0
	v_mad_u64_u32 v[30:31], null, v17, v36, 0
	;; [unrolled: 1-line block ×3, first 2 shown]
	s_delay_alu instid0(VALU_DEP_2) | instskip(NEXT) | instid1(VALU_DEP_3)
	v_add_co_u32 v24, vcc_lo, v37, v30
	v_add_co_ci_u32_e32 v30, vcc_lo, 0, v31, vcc_lo
	s_delay_alu instid0(VALU_DEP_2) | instskip(NEXT) | instid1(VALU_DEP_2)
	v_add_co_u32 v24, vcc_lo, v24, v32
	v_add_co_ci_u32_e32 v24, vcc_lo, v30, v33, vcc_lo
	v_add_co_ci_u32_e32 v30, vcc_lo, 0, v35, vcc_lo
	s_delay_alu instid0(VALU_DEP_2) | instskip(NEXT) | instid1(VALU_DEP_2)
	v_add_co_u32 v24, vcc_lo, v24, v34
	v_add_co_ci_u32_e32 v32, vcc_lo, 0, v30, vcc_lo
	s_delay_alu instid0(VALU_DEP_2) | instskip(SKIP_1) | instid1(VALU_DEP_3)
	v_mul_lo_u32 v33, s27, v24
	v_mad_u64_u32 v[30:31], null, s26, v24, 0
	v_mul_lo_u32 v34, s26, v32
	s_delay_alu instid0(VALU_DEP_2) | instskip(NEXT) | instid1(VALU_DEP_2)
	v_sub_co_u32 v30, vcc_lo, v17, v30
	v_add3_u32 v31, v31, v34, v33
	s_delay_alu instid0(VALU_DEP_1) | instskip(NEXT) | instid1(VALU_DEP_1)
	v_sub_nc_u32_e32 v33, v18, v31
	v_subrev_co_ci_u32_e64 v33, s1, s27, v33, vcc_lo
	v_add_co_u32 v34, s1, v24, 2
	s_delay_alu instid0(VALU_DEP_1) | instskip(SKIP_3) | instid1(VALU_DEP_3)
	v_add_co_ci_u32_e64 v35, s1, 0, v32, s1
	v_sub_co_u32 v36, s1, v30, s26
	v_sub_co_ci_u32_e32 v31, vcc_lo, v18, v31, vcc_lo
	v_subrev_co_ci_u32_e64 v33, s1, 0, v33, s1
	v_cmp_le_u32_e32 vcc_lo, s26, v36
	s_delay_alu instid0(VALU_DEP_3) | instskip(SKIP_1) | instid1(VALU_DEP_4)
	v_cmp_eq_u32_e64 s1, s27, v31
	v_cndmask_b32_e64 v36, 0, -1, vcc_lo
	v_cmp_le_u32_e32 vcc_lo, s27, v33
	v_cndmask_b32_e64 v37, 0, -1, vcc_lo
	v_cmp_le_u32_e32 vcc_lo, s26, v30
	;; [unrolled: 2-line block ×3, first 2 shown]
	v_cndmask_b32_e64 v59, 0, -1, vcc_lo
	v_cmp_eq_u32_e32 vcc_lo, s27, v33
	s_delay_alu instid0(VALU_DEP_2) | instskip(SKIP_3) | instid1(VALU_DEP_3)
	v_cndmask_b32_e64 v30, v59, v30, s1
	v_cndmask_b32_e32 v33, v37, v36, vcc_lo
	v_add_co_u32 v36, vcc_lo, v24, 1
	v_add_co_ci_u32_e32 v37, vcc_lo, 0, v32, vcc_lo
	v_cmp_ne_u32_e32 vcc_lo, 0, v33
	s_delay_alu instid0(VALU_DEP_3) | instskip(NEXT) | instid1(VALU_DEP_3)
	v_cndmask_b32_e32 v33, v36, v34, vcc_lo
	v_cndmask_b32_e32 v31, v37, v35, vcc_lo
	v_cmp_ne_u32_e32 vcc_lo, 0, v30
	s_delay_alu instid0(VALU_DEP_3) | instskip(NEXT) | instid1(VALU_DEP_3)
	v_cndmask_b32_e32 v30, v24, v33, vcc_lo
	v_cndmask_b32_e32 v31, v32, v31, vcc_lo
.LBB90_80:                              ;   in Loop: Header=BB90_78 Depth=2
	s_and_not1_saveexec_b32 s1, s29
	s_cbranch_execz .LBB90_77
; %bb.81:                               ;   in Loop: Header=BB90_78 Depth=2
	v_cvt_f32_u32_e32 v24, s26
	s_sub_i32 s29, 0, s26
	s_delay_alu instid0(VALU_DEP_1) | instskip(SKIP_2) | instid1(VALU_DEP_1)
	v_rcp_iflag_f32_e32 v24, v24
	s_waitcnt_depctr 0xfff
	v_mul_f32_e32 v24, 0x4f7ffffe, v24
	v_cvt_u32_f32_e32 v24, v24
	s_delay_alu instid0(VALU_DEP_1) | instskip(NEXT) | instid1(VALU_DEP_1)
	v_mul_lo_u32 v30, s29, v24
	v_mul_hi_u32 v30, v24, v30
	s_delay_alu instid0(VALU_DEP_1) | instskip(NEXT) | instid1(VALU_DEP_1)
	v_add_nc_u32_e32 v24, v24, v30
	v_mul_hi_u32 v24, v17, v24
	s_delay_alu instid0(VALU_DEP_1) | instskip(SKIP_1) | instid1(VALU_DEP_2)
	v_mul_lo_u32 v30, v24, s26
	v_add_nc_u32_e32 v31, 1, v24
	v_sub_nc_u32_e32 v30, v17, v30
	s_delay_alu instid0(VALU_DEP_1) | instskip(SKIP_1) | instid1(VALU_DEP_2)
	v_subrev_nc_u32_e32 v32, s26, v30
	v_cmp_le_u32_e32 vcc_lo, s26, v30
	v_cndmask_b32_e32 v30, v30, v32, vcc_lo
	v_cndmask_b32_e32 v24, v24, v31, vcc_lo
	s_delay_alu instid0(VALU_DEP_2) | instskip(NEXT) | instid1(VALU_DEP_2)
	v_cmp_le_u32_e32 vcc_lo, s26, v30
	v_add_nc_u32_e32 v31, 1, v24
	s_delay_alu instid0(VALU_DEP_1)
	v_dual_cndmask_b32 v30, v24, v31 :: v_dual_mov_b32 v31, v23
	s_branch .LBB90_77
.LBB90_82:                              ;   in Loop: Header=BB90_83 Depth=2
	s_or_b32 exec_lo, exec_lo, s0
	s_load_b64 s[28:29], s[2:3], 0xc8
	s_delay_alu instid0(VALU_DEP_1)
	v_mul_lo_u32 v10, v18, s26
	v_mul_lo_u32 v24, v17, s27
	v_mad_u64_u32 v[30:31], null, v17, s26, 0
	s_add_i32 s4, s4, -1
	s_add_u32 s2, s2, -8
	s_addc_u32 s3, s3, -1
	s_cmp_gt_u32 s4, 2
	s_delay_alu instid0(VALU_DEP_1) | instskip(NEXT) | instid1(VALU_DEP_2)
	v_add3_u32 v10, v31, v24, v10
	v_sub_co_u32 v24, vcc_lo, v15, v30
	s_delay_alu instid0(VALU_DEP_2) | instskip(SKIP_1) | instid1(VALU_DEP_2)
	v_sub_co_ci_u32_e32 v10, vcc_lo, v16, v10, vcc_lo
	s_waitcnt lgkmcnt(0)
	v_mul_lo_u32 v30, s29, v24
	s_delay_alu instid0(VALU_DEP_2) | instskip(SKIP_1) | instid1(VALU_DEP_1)
	v_mul_lo_u32 v10, s28, v10
	v_mad_u64_u32 v[15:16], null, s28, v24, v[8:9]
	v_add3_u32 v9, v30, v16, v10
	s_delay_alu instid0(VALU_DEP_2)
	v_dual_mov_b32 v8, v15 :: v_dual_mov_b32 v15, v17
	v_mov_b32_e32 v16, v18
	s_cbranch_scc0 .LBB90_7
.LBB90_83:                              ;   Parent Loop BB90_9 Depth=1
                                        ; =>  This Inner Loop Header: Depth=2
	s_load_b64 s[26:27], s[2:3], 0x0
                                        ; implicit-def: $vgpr17_vgpr18
	s_mov_b32 s0, exec_lo
	s_waitcnt lgkmcnt(0)
	v_or_b32_e32 v24, s27, v16
	s_delay_alu instid0(VALU_DEP_1)
	v_cmpx_ne_u64_e32 0, v[23:24]
	s_xor_b32 s28, exec_lo, s0
	s_cbranch_execz .LBB90_85
; %bb.84:                               ;   in Loop: Header=BB90_83 Depth=2
	v_cvt_f32_u32_e32 v10, s26
	v_cvt_f32_u32_e32 v17, s27
	s_sub_u32 s0, 0, s26
	s_subb_u32 s29, 0, s27
	s_delay_alu instid0(VALU_DEP_1) | instskip(NEXT) | instid1(VALU_DEP_1)
	v_fmac_f32_e32 v10, 0x4f800000, v17
	v_rcp_f32_e32 v10, v10
	s_waitcnt_depctr 0xfff
	v_mul_f32_e32 v10, 0x5f7ffffc, v10
	s_delay_alu instid0(VALU_DEP_1) | instskip(NEXT) | instid1(VALU_DEP_1)
	v_mul_f32_e32 v17, 0x2f800000, v10
	v_trunc_f32_e32 v17, v17
	s_delay_alu instid0(VALU_DEP_1) | instskip(SKIP_1) | instid1(VALU_DEP_2)
	v_fmac_f32_e32 v10, 0xcf800000, v17
	v_cvt_u32_f32_e32 v17, v17
	v_cvt_u32_f32_e32 v10, v10
	s_delay_alu instid0(VALU_DEP_2) | instskip(NEXT) | instid1(VALU_DEP_2)
	v_mul_lo_u32 v18, s0, v17
	v_mul_hi_u32 v24, s0, v10
	v_mul_lo_u32 v30, s29, v10
	s_delay_alu instid0(VALU_DEP_2) | instskip(SKIP_1) | instid1(VALU_DEP_2)
	v_add_nc_u32_e32 v18, v24, v18
	v_mul_lo_u32 v24, s0, v10
	v_add_nc_u32_e32 v18, v18, v30
	s_delay_alu instid0(VALU_DEP_2) | instskip(NEXT) | instid1(VALU_DEP_2)
	v_mul_hi_u32 v30, v10, v24
	v_mul_lo_u32 v31, v10, v18
	v_mul_hi_u32 v32, v10, v18
	v_mul_hi_u32 v33, v17, v24
	v_mul_lo_u32 v24, v17, v24
	v_mul_hi_u32 v34, v17, v18
	v_mul_lo_u32 v18, v17, v18
	v_add_co_u32 v30, vcc_lo, v30, v31
	v_add_co_ci_u32_e32 v31, vcc_lo, 0, v32, vcc_lo
	s_delay_alu instid0(VALU_DEP_2) | instskip(NEXT) | instid1(VALU_DEP_2)
	v_add_co_u32 v24, vcc_lo, v30, v24
	v_add_co_ci_u32_e32 v24, vcc_lo, v31, v33, vcc_lo
	v_add_co_ci_u32_e32 v30, vcc_lo, 0, v34, vcc_lo
	s_delay_alu instid0(VALU_DEP_2) | instskip(NEXT) | instid1(VALU_DEP_2)
	v_add_co_u32 v18, vcc_lo, v24, v18
	v_add_co_ci_u32_e32 v24, vcc_lo, 0, v30, vcc_lo
	s_delay_alu instid0(VALU_DEP_2) | instskip(NEXT) | instid1(VALU_DEP_2)
	v_add_co_u32 v10, vcc_lo, v10, v18
	v_add_co_ci_u32_e32 v17, vcc_lo, v17, v24, vcc_lo
	s_delay_alu instid0(VALU_DEP_2) | instskip(SKIP_1) | instid1(VALU_DEP_3)
	v_mul_hi_u32 v18, s0, v10
	v_mul_lo_u32 v30, s29, v10
	v_mul_lo_u32 v24, s0, v17
	s_delay_alu instid0(VALU_DEP_1) | instskip(SKIP_1) | instid1(VALU_DEP_2)
	v_add_nc_u32_e32 v18, v18, v24
	v_mul_lo_u32 v24, s0, v10
	v_add_nc_u32_e32 v18, v18, v30
	s_delay_alu instid0(VALU_DEP_2) | instskip(NEXT) | instid1(VALU_DEP_2)
	v_mul_hi_u32 v30, v10, v24
	v_mul_lo_u32 v31, v10, v18
	v_mul_hi_u32 v32, v10, v18
	v_mul_hi_u32 v33, v17, v24
	v_mul_lo_u32 v24, v17, v24
	v_mul_hi_u32 v34, v17, v18
	v_mul_lo_u32 v18, v17, v18
	v_add_co_u32 v30, vcc_lo, v30, v31
	v_add_co_ci_u32_e32 v31, vcc_lo, 0, v32, vcc_lo
	s_delay_alu instid0(VALU_DEP_2) | instskip(NEXT) | instid1(VALU_DEP_2)
	v_add_co_u32 v24, vcc_lo, v30, v24
	v_add_co_ci_u32_e32 v24, vcc_lo, v31, v33, vcc_lo
	v_add_co_ci_u32_e32 v30, vcc_lo, 0, v34, vcc_lo
	s_delay_alu instid0(VALU_DEP_2) | instskip(NEXT) | instid1(VALU_DEP_2)
	v_add_co_u32 v18, vcc_lo, v24, v18
	v_add_co_ci_u32_e32 v24, vcc_lo, 0, v30, vcc_lo
	s_delay_alu instid0(VALU_DEP_2) | instskip(NEXT) | instid1(VALU_DEP_2)
	v_add_co_u32 v10, vcc_lo, v10, v18
	v_add_co_ci_u32_e32 v24, vcc_lo, v17, v24, vcc_lo
	s_delay_alu instid0(VALU_DEP_2) | instskip(SKIP_1) | instid1(VALU_DEP_3)
	v_mul_hi_u32 v34, v15, v10
	v_mad_u64_u32 v[30:31], null, v16, v10, 0
	v_mad_u64_u32 v[17:18], null, v15, v24, 0
	;; [unrolled: 1-line block ×3, first 2 shown]
	s_delay_alu instid0(VALU_DEP_2) | instskip(NEXT) | instid1(VALU_DEP_3)
	v_add_co_u32 v10, vcc_lo, v34, v17
	v_add_co_ci_u32_e32 v17, vcc_lo, 0, v18, vcc_lo
	s_delay_alu instid0(VALU_DEP_2) | instskip(NEXT) | instid1(VALU_DEP_2)
	v_add_co_u32 v10, vcc_lo, v10, v30
	v_add_co_ci_u32_e32 v10, vcc_lo, v17, v31, vcc_lo
	v_add_co_ci_u32_e32 v17, vcc_lo, 0, v33, vcc_lo
	s_delay_alu instid0(VALU_DEP_2) | instskip(NEXT) | instid1(VALU_DEP_2)
	v_add_co_u32 v10, vcc_lo, v10, v32
	v_add_co_ci_u32_e32 v24, vcc_lo, 0, v17, vcc_lo
	s_delay_alu instid0(VALU_DEP_2) | instskip(SKIP_1) | instid1(VALU_DEP_3)
	v_mul_lo_u32 v30, s27, v10
	v_mad_u64_u32 v[17:18], null, s26, v10, 0
	v_mul_lo_u32 v31, s26, v24
	s_delay_alu instid0(VALU_DEP_2) | instskip(NEXT) | instid1(VALU_DEP_2)
	v_sub_co_u32 v17, vcc_lo, v15, v17
	v_add3_u32 v18, v18, v31, v30
	s_delay_alu instid0(VALU_DEP_1) | instskip(NEXT) | instid1(VALU_DEP_1)
	v_sub_nc_u32_e32 v30, v16, v18
	v_subrev_co_ci_u32_e64 v30, s0, s27, v30, vcc_lo
	v_add_co_u32 v31, s0, v10, 2
	s_delay_alu instid0(VALU_DEP_1) | instskip(SKIP_3) | instid1(VALU_DEP_3)
	v_add_co_ci_u32_e64 v32, s0, 0, v24, s0
	v_sub_co_u32 v33, s0, v17, s26
	v_sub_co_ci_u32_e32 v18, vcc_lo, v16, v18, vcc_lo
	v_subrev_co_ci_u32_e64 v30, s0, 0, v30, s0
	v_cmp_le_u32_e32 vcc_lo, s26, v33
	s_delay_alu instid0(VALU_DEP_3) | instskip(SKIP_1) | instid1(VALU_DEP_4)
	v_cmp_eq_u32_e64 s0, s27, v18
	v_cndmask_b32_e64 v33, 0, -1, vcc_lo
	v_cmp_le_u32_e32 vcc_lo, s27, v30
	v_cndmask_b32_e64 v34, 0, -1, vcc_lo
	v_cmp_le_u32_e32 vcc_lo, s26, v17
	;; [unrolled: 2-line block ×3, first 2 shown]
	v_cndmask_b32_e64 v35, 0, -1, vcc_lo
	v_cmp_eq_u32_e32 vcc_lo, s27, v30
	s_delay_alu instid0(VALU_DEP_2) | instskip(SKIP_3) | instid1(VALU_DEP_3)
	v_cndmask_b32_e64 v17, v35, v17, s0
	v_cndmask_b32_e32 v30, v34, v33, vcc_lo
	v_add_co_u32 v33, vcc_lo, v10, 1
	v_add_co_ci_u32_e32 v34, vcc_lo, 0, v24, vcc_lo
	v_cmp_ne_u32_e32 vcc_lo, 0, v30
	s_delay_alu instid0(VALU_DEP_2) | instskip(NEXT) | instid1(VALU_DEP_4)
	v_cndmask_b32_e32 v18, v34, v32, vcc_lo
	v_cndmask_b32_e32 v30, v33, v31, vcc_lo
	v_cmp_ne_u32_e32 vcc_lo, 0, v17
	s_delay_alu instid0(VALU_DEP_3) | instskip(NEXT) | instid1(VALU_DEP_3)
	v_cndmask_b32_e32 v18, v24, v18, vcc_lo
	v_cndmask_b32_e32 v17, v10, v30, vcc_lo
.LBB90_85:                              ;   in Loop: Header=BB90_83 Depth=2
	s_and_not1_saveexec_b32 s0, s28
	s_cbranch_execz .LBB90_82
; %bb.86:                               ;   in Loop: Header=BB90_83 Depth=2
	v_cvt_f32_u32_e32 v10, s26
	s_sub_i32 s28, 0, s26
	s_delay_alu instid0(VALU_DEP_1) | instskip(SKIP_2) | instid1(VALU_DEP_1)
	v_rcp_iflag_f32_e32 v10, v10
	s_waitcnt_depctr 0xfff
	v_mul_f32_e32 v10, 0x4f7ffffe, v10
	v_cvt_u32_f32_e32 v10, v10
	s_delay_alu instid0(VALU_DEP_1) | instskip(NEXT) | instid1(VALU_DEP_1)
	v_mul_lo_u32 v17, s28, v10
	v_mul_hi_u32 v17, v10, v17
	s_delay_alu instid0(VALU_DEP_1) | instskip(NEXT) | instid1(VALU_DEP_1)
	v_add_nc_u32_e32 v10, v10, v17
	v_mul_hi_u32 v10, v15, v10
	s_delay_alu instid0(VALU_DEP_1) | instskip(SKIP_1) | instid1(VALU_DEP_2)
	v_mul_lo_u32 v17, v10, s26
	v_add_nc_u32_e32 v18, 1, v10
	v_sub_nc_u32_e32 v17, v15, v17
	s_delay_alu instid0(VALU_DEP_1) | instskip(SKIP_1) | instid1(VALU_DEP_2)
	v_subrev_nc_u32_e32 v24, s26, v17
	v_cmp_le_u32_e32 vcc_lo, s26, v17
	v_dual_cndmask_b32 v17, v17, v24 :: v_dual_cndmask_b32 v10, v10, v18
	s_delay_alu instid0(VALU_DEP_1) | instskip(NEXT) | instid1(VALU_DEP_2)
	v_cmp_le_u32_e32 vcc_lo, s26, v17
	v_add_nc_u32_e32 v18, 1, v10
	s_delay_alu instid0(VALU_DEP_1)
	v_dual_cndmask_b32 v17, v10, v18 :: v_dual_mov_b32 v18, v23
	s_branch .LBB90_82
.LBB90_87:
	s_endpgm
.LBB90_88:
                                        ; implicit-def: $sgpr2_sgpr3
	s_branch .LBB90_4
	.section	.rodata,"a",@progbits
	.p2align	6, 0x0
	.amdhsa_kernel _ZN2at6native12_GLOBAL__N_120fused_dropout_kernelIddmLin1ELin1EhEEvNS_4cuda6detail10TensorInfoIKT_T1_EENS5_IS6_S8_EENS5_IT4_S8_EES8_T0_NS_15PhiloxCudaStateE
		.amdhsa_group_segment_fixed_size 0
		.amdhsa_private_segment_fixed_size 0
		.amdhsa_kernarg_size 1552
		.amdhsa_user_sgpr_count 15
		.amdhsa_user_sgpr_dispatch_ptr 0
		.amdhsa_user_sgpr_queue_ptr 0
		.amdhsa_user_sgpr_kernarg_segment_ptr 1
		.amdhsa_user_sgpr_dispatch_id 0
		.amdhsa_user_sgpr_private_segment_size 0
		.amdhsa_wavefront_size32 1
		.amdhsa_uses_dynamic_stack 0
		.amdhsa_enable_private_segment 0
		.amdhsa_system_sgpr_workgroup_id_x 1
		.amdhsa_system_sgpr_workgroup_id_y 0
		.amdhsa_system_sgpr_workgroup_id_z 0
		.amdhsa_system_sgpr_workgroup_info 0
		.amdhsa_system_vgpr_workitem_id 0
		.amdhsa_next_free_vgpr 66
		.amdhsa_next_free_sgpr 44
		.amdhsa_reserve_vcc 1
		.amdhsa_float_round_mode_32 0
		.amdhsa_float_round_mode_16_64 0
		.amdhsa_float_denorm_mode_32 3
		.amdhsa_float_denorm_mode_16_64 3
		.amdhsa_dx10_clamp 1
		.amdhsa_ieee_mode 1
		.amdhsa_fp16_overflow 0
		.amdhsa_workgroup_processor_mode 1
		.amdhsa_memory_ordered 1
		.amdhsa_forward_progress 0
		.amdhsa_shared_vgpr_count 0
		.amdhsa_exception_fp_ieee_invalid_op 0
		.amdhsa_exception_fp_denorm_src 0
		.amdhsa_exception_fp_ieee_div_zero 0
		.amdhsa_exception_fp_ieee_overflow 0
		.amdhsa_exception_fp_ieee_underflow 0
		.amdhsa_exception_fp_ieee_inexact 0
		.amdhsa_exception_int_div_zero 0
	.end_amdhsa_kernel
	.section	.text._ZN2at6native12_GLOBAL__N_120fused_dropout_kernelIddmLin1ELin1EhEEvNS_4cuda6detail10TensorInfoIKT_T1_EENS5_IS6_S8_EENS5_IT4_S8_EES8_T0_NS_15PhiloxCudaStateE,"axG",@progbits,_ZN2at6native12_GLOBAL__N_120fused_dropout_kernelIddmLin1ELin1EhEEvNS_4cuda6detail10TensorInfoIKT_T1_EENS5_IS6_S8_EENS5_IT4_S8_EES8_T0_NS_15PhiloxCudaStateE,comdat
.Lfunc_end90:
	.size	_ZN2at6native12_GLOBAL__N_120fused_dropout_kernelIddmLin1ELin1EhEEvNS_4cuda6detail10TensorInfoIKT_T1_EENS5_IS6_S8_EENS5_IT4_S8_EES8_T0_NS_15PhiloxCudaStateE, .Lfunc_end90-_ZN2at6native12_GLOBAL__N_120fused_dropout_kernelIddmLin1ELin1EhEEvNS_4cuda6detail10TensorInfoIKT_T1_EENS5_IS6_S8_EENS5_IT4_S8_EES8_T0_NS_15PhiloxCudaStateE
                                        ; -- End function
	.section	.AMDGPU.csdata,"",@progbits
; Kernel info:
; codeLenInByte = 12696
; NumSgprs: 46
; NumVgprs: 66
; ScratchSize: 0
; MemoryBound: 0
; FloatMode: 240
; IeeeMode: 1
; LDSByteSize: 0 bytes/workgroup (compile time only)
; SGPRBlocks: 5
; VGPRBlocks: 8
; NumSGPRsForWavesPerEU: 46
; NumVGPRsForWavesPerEU: 66
; Occupancy: 16
; WaveLimiterHint : 1
; COMPUTE_PGM_RSRC2:SCRATCH_EN: 0
; COMPUTE_PGM_RSRC2:USER_SGPR: 15
; COMPUTE_PGM_RSRC2:TRAP_HANDLER: 0
; COMPUTE_PGM_RSRC2:TGID_X_EN: 1
; COMPUTE_PGM_RSRC2:TGID_Y_EN: 0
; COMPUTE_PGM_RSRC2:TGID_Z_EN: 0
; COMPUTE_PGM_RSRC2:TIDIG_COMP_CNT: 0
	.section	.text._ZN2at6native12_GLOBAL__N_124fused_dropout_kernel_vecIffmLi1ELi16EhEEvNS_4cuda6detail10TensorInfoIKT_T1_EENS5_IS6_S8_EENS5_IT4_S8_EES8_T0_NS_15PhiloxCudaStateE,"axG",@progbits,_ZN2at6native12_GLOBAL__N_124fused_dropout_kernel_vecIffmLi1ELi16EhEEvNS_4cuda6detail10TensorInfoIKT_T1_EENS5_IS6_S8_EENS5_IT4_S8_EES8_T0_NS_15PhiloxCudaStateE,comdat
	.globl	_ZN2at6native12_GLOBAL__N_124fused_dropout_kernel_vecIffmLi1ELi16EhEEvNS_4cuda6detail10TensorInfoIKT_T1_EENS5_IS6_S8_EENS5_IT4_S8_EES8_T0_NS_15PhiloxCudaStateE ; -- Begin function _ZN2at6native12_GLOBAL__N_124fused_dropout_kernel_vecIffmLi1ELi16EhEEvNS_4cuda6detail10TensorInfoIKT_T1_EENS5_IS6_S8_EENS5_IT4_S8_EES8_T0_NS_15PhiloxCudaStateE
	.p2align	8
	.type	_ZN2at6native12_GLOBAL__N_124fused_dropout_kernel_vecIffmLi1ELi16EhEEvNS_4cuda6detail10TensorInfoIKT_T1_EENS5_IS6_S8_EENS5_IT4_S8_EES8_T0_NS_15PhiloxCudaStateE,@function
_ZN2at6native12_GLOBAL__N_124fused_dropout_kernel_vecIffmLi1ELi16EhEEvNS_4cuda6detail10TensorInfoIKT_T1_EENS5_IS6_S8_EENS5_IT4_S8_EES8_T0_NS_15PhiloxCudaStateE: ; @_ZN2at6native12_GLOBAL__N_124fused_dropout_kernel_vecIffmLi1ELi16EhEEvNS_4cuda6detail10TensorInfoIKT_T1_EENS5_IS6_S8_EENS5_IT4_S8_EES8_T0_NS_15PhiloxCudaStateE
; %bb.0:
	s_clause 0x1
	s_load_b128 s[4:7], s[0:1], 0x4f0
	s_load_b32 s2, s[0:1], 0x508
	s_waitcnt lgkmcnt(0)
	v_dual_mov_b32 v1, s6 :: v_dual_mov_b32 v2, s7
	v_dual_mov_b32 v11, s5 :: v_dual_mov_b32 v10, s4
	s_bitcmp0_b32 s2, 0
	s_cbranch_scc1 .LBB91_2
; %bb.1:
	v_dual_mov_b32 v1, s6 :: v_dual_mov_b32 v2, s7
	v_dual_mov_b32 v3, s4 :: v_dual_mov_b32 v4, s5
	s_load_b64 s[2:3], s[0:1], 0x500
	flat_load_b64 v[1:2], v[1:2]
	flat_load_b64 v[10:11], v[3:4]
	s_waitcnt vmcnt(1) lgkmcnt(0)
	v_add_co_u32 v1, vcc_lo, v1, s2
	v_add_co_ci_u32_e32 v2, vcc_lo, s3, v2, vcc_lo
.LBB91_2:
	s_clause 0x1
	s_load_b32 s4, s[0:1], 0x51c
	s_load_b64 s[16:17], s[0:1], 0x4e0
	s_add_u32 s2, s0, 0x510
	s_addc_u32 s3, s1, 0
	s_mov_b32 s5, exec_lo
	s_waitcnt lgkmcnt(0)
	s_and_b32 s4, s4, 0xffff
	s_delay_alu instid0(SALU_CYCLE_1) | instskip(SKIP_1) | instid1(VALU_DEP_1)
	v_mad_u64_u32 v[8:9], null, s15, s4, v[0:1]
	v_mov_b32_e32 v9, 0
	v_lshlrev_b64 v[12:13], 4, v[8:9]
	s_delay_alu instid0(VALU_DEP_1)
	v_cmpx_gt_u64_e64 s[16:17], v[12:13]
	s_cbranch_execz .LBB91_45
; %bb.3:
	v_alignbit_b32 v21, v2, v1, 2
	v_mad_u64_u32 v[3:4], null, 0xcd9e8d57, v8, 0
	v_lshrrev_b32_e32 v42, 2, v2
	s_waitcnt vmcnt(0)
	v_mov_b32_e32 v18, v11
	v_mad_u64_u32 v[5:6], null, 0xd2511f53, v21, 0
	v_add_co_u32 v23, null, 0x9e3779b9, v10
	v_xor3_b32 v0, v10, v4, v42
	s_delay_alu instid0(VALU_DEP_4) | instskip(SKIP_2) | instid1(VALU_DEP_4)
	v_add_co_u32 v22, null, 0xbb67ae85, v18
	v_add_co_u32 v24, null, 0x3c6ef372, v10
	v_xor_b32_e32 v2, v6, v11
	v_mad_u64_u32 v[6:7], null, 0xd2511f53, v0, 0
	v_add_co_u32 v25, null, 0x76cf5d0a, v18
	s_delay_alu instid0(VALU_DEP_3) | instskip(SKIP_1) | instid1(VALU_DEP_4)
	v_mad_u64_u32 v[14:15], null, 0xcd9e8d57, v2, 0
	v_add_co_u32 v26, null, 0x32370b8f, v18
	v_xor3_b32 v0, v22, v7, v5
	v_add_co_u32 v27, null, 0xdaa66d2b, v10
	s_load_b32 s28, s[0:1], 0x4e8
	s_delay_alu instid0(VALU_DEP_4) | instskip(NEXT) | instid1(VALU_DEP_3)
	v_xor3_b32 v7, v15, v23, v3
	v_mad_u64_u32 v[2:3], null, 0xcd9e8d57, v0, 0
	v_add_co_u32 v28, null, 0x78dde6e4, v10
	s_delay_alu instid0(VALU_DEP_3) | instskip(SKIP_1) | instid1(VALU_DEP_4)
	v_mad_u64_u32 v[4:5], null, 0xd2511f53, v7, 0
	v_add_co_u32 v29, null, 0xed9eba14, v18
	v_xor3_b32 v0, v24, v3, v14
	v_add_co_u32 v30, null, 0xa9066899, v18
	v_add_co_u32 v31, null, 0x1715609d, v10
	v_xor3_b32 v3, v5, v25, v6
	s_delay_alu instid0(VALU_DEP_4) | instskip(SKIP_1) | instid1(VALU_DEP_3)
	v_mad_u64_u32 v[5:6], null, 0xd2511f53, v0, 0
	v_add_co_u32 v32, null, 0xb54cda56, v10
	v_mad_u64_u32 v[14:15], null, 0xcd9e8d57, v3, 0
	v_add_co_u32 v33, null, 0x5384540f, v10
	s_delay_alu instid0(VALU_DEP_4)
	v_xor3_b32 v0, v26, v6, v4
	s_waitcnt lgkmcnt(0)
	v_div_scale_f32 v20, vcc_lo, 1.0, s28, 1.0
	s_clause 0x2
	s_load_b64 s[18:19], s[0:1], 0x0
	s_load_b64 s[20:21], s[0:1], 0x1a0
	;; [unrolled: 1-line block ×3, first 2 shown]
	v_xor3_b32 v4, v15, v27, v2
	v_mad_u64_u32 v[2:3], null, 0xcd9e8d57, v0, 0
	s_load_b32 s0, s[2:3], 0x0
	v_add_co_u32 v36, null, 0xf1bbcdc8, v10
	s_delay_alu instid0(VALU_DEP_3) | instskip(SKIP_1) | instid1(VALU_DEP_4)
	v_mad_u64_u32 v[6:7], null, 0xd2511f53, v4, 0
	v_add_nc_u32_e32 v39, 0x8ff34781, v10
	v_xor3_b32 v0, v28, v3, v14
	s_mov_b32 s25, 0
	v_and_b32_e32 v38, 3, v1
	s_delay_alu instid0(VALU_DEP_4) | instskip(NEXT) | instid1(VALU_DEP_3)
	v_xor3_b32 v5, v7, v29, v5
	v_mad_u64_u32 v[3:4], null, 0xd2511f53, v0, 0
	v_div_scale_f32 v0, null, s28, s28, 1.0
	s_delay_alu instid0(VALU_DEP_3) | instskip(NEXT) | instid1(VALU_DEP_2)
	v_mad_u64_u32 v[14:15], null, 0xcd9e8d57, v5, 0
	v_rcp_f32_e32 v19, v0
	s_delay_alu instid0(VALU_DEP_3) | instskip(SKIP_2) | instid1(SALU_CYCLE_1)
	v_xor3_b32 v6, v30, v4, v6
	s_waitcnt lgkmcnt(0)
	s_mul_i32 s0, s0, s4
	s_lshl_b32 s24, s0, 4
	s_delay_alu instid0(VALU_DEP_2) | instskip(SKIP_2) | instid1(VALU_DEP_2)
	v_xor3_b32 v2, v15, v31, v2
	v_mad_u64_u32 v[4:5], null, 0xcd9e8d57, v6, 0
	s_lshl_b64 s[26:27], s[24:25], 2
	v_mad_u64_u32 v[6:7], null, 0xd2511f53, v2, 0
	s_waitcnt_depctr 0xfff
	v_fma_f32 v2, -v0, v19, 1.0
	v_xor3_b32 v5, v32, v5, v14
	s_delay_alu instid0(VALU_DEP_2) | instskip(SKIP_3) | instid1(VALU_DEP_3)
	v_fmac_f32_e32 v19, v2, v19
	v_add_co_u32 v34, null, 0x646e171e, v18
	v_add_co_u32 v35, null, 0x1fd5c5a3, v18
	;; [unrolled: 1-line block ×3, first 2 shown]
	v_xor3_b32 v7, v7, v34, v3
	v_mad_u64_u32 v[2:3], null, 0xd2511f53, v5, 0
	s_delay_alu instid0(VALU_DEP_2) | instskip(SKIP_1) | instid1(VALU_DEP_3)
	v_mad_u64_u32 v[14:15], null, 0xcd9e8d57, v7, 0
	v_mul_f32_e32 v7, v20, v19
	v_xor3_b32 v5, v35, v3, v6
	s_delay_alu instid0(VALU_DEP_3) | instskip(NEXT) | instid1(VALU_DEP_2)
	v_xor3_b32 v6, v15, v33, v4
	v_mad_u64_u32 v[3:4], null, 0xcd9e8d57, v5, 0
	s_delay_alu instid0(VALU_DEP_4) | instskip(NEXT) | instid1(VALU_DEP_3)
	v_fma_f32 v15, -v0, v7, v20
	v_mad_u64_u32 v[16:17], null, 0xd2511f53, v6, 0
	s_delay_alu instid0(VALU_DEP_2) | instskip(NEXT) | instid1(VALU_DEP_4)
	v_fmac_f32_e32 v7, v15, v19
	v_xor3_b32 v4, v36, v4, v14
	s_delay_alu instid0(VALU_DEP_3) | instskip(NEXT) | instid1(VALU_DEP_3)
	v_xor3_b32 v2, v17, v37, v2
	v_fma_f32 v14, -v0, v7, v20
	s_delay_alu instid0(VALU_DEP_3) | instskip(SKIP_1) | instid1(VALU_DEP_4)
	v_mad_u64_u32 v[0:1], null, 0xd2511f53, v4, 0
	v_add_nc_u32_e32 v40, 0x96a522ad, v11
	v_mad_u64_u32 v[5:6], null, 0xcd9e8d57, v2, 0
	s_delay_alu instid0(VALU_DEP_4) | instskip(SKIP_2) | instid1(VALU_DEP_3)
	v_div_fmas_f32 v2, v14, v19, v7
	v_lshlrev_b64 v[14:15], 6, v[8:9]
	v_mov_b32_e32 v7, v0
	v_div_fixup_f32 v41, v2, s28, 1.0
	v_xor3_b32 v4, v3, v6, v39
	v_xor3_b32 v6, v1, v16, v40
	s_branch .LBB91_6
.LBB91_4:                               ;   in Loop: Header=BB91_6 Depth=1
	s_or_b32 exec_lo, exec_lo, s1
	s_delay_alu instid0(VALU_DEP_1)
	v_mov_b32_e32 v18, v50
.LBB91_5:                               ;   in Loop: Header=BB91_6 Depth=1
	s_or_b32 exec_lo, exec_lo, s0
	v_add_co_u32 v49, vcc_lo, s18, v14
	v_add_co_ci_u32_e32 v50, vcc_lo, s19, v15, vcc_lo
	v_cvt_f32_u32_e32 v43, v43
	v_cvt_f32_u32_e32 v0, v0
	v_cvt_f32_u32_e32 v48, v48
	s_clause 0x3
	global_load_b128 v[53:56], v[49:50], off
	global_load_b128 v[57:60], v[49:50], off offset:16
	global_load_b128 v[61:64], v[49:50], off offset:32
	global_load_b128 v[65:68], v[49:50], off offset:48
	v_mov_b32_e32 v7, v19
	v_cvt_f32_u32_e32 v19, v45
	v_cvt_f32_u32_e32 v45, v52
	v_fmaak_f32 v48, 0x2f800000, v48, 0x2f800000
	v_cvt_f32_u32_e32 v20, v20
	v_dual_fmaak_f32 v43, 0x2f800000, v43, 0x2f800000 :: v_dual_fmaak_f32 v0, 0x2f800000, v0, 0x2f800000
	v_cvt_f32_u32_e32 v17, v17
	v_cvt_f32_u32_e32 v46, v46
	;; [unrolled: 1-line block ×6, first 2 shown]
	v_dual_fmaak_f32 v45, 0x2f800000, v45, 0x2f800000 :: v_dual_fmaak_f32 v20, 0x2f800000, v20, 0x2f800000
	v_cmp_gt_f32_e64 s0, s28, v0
	v_cvt_f32_u32_e32 v47, v47
	v_cvt_f32_u32_e32 v16, v16
	;; [unrolled: 1-line block ×4, first 2 shown]
	v_dual_fmaak_f32 v17, 0x2f800000, v17, 0x2f800000 :: v_dual_fmaak_f32 v46, 0x2f800000, v46, 0x2f800000
	s_delay_alu instid0(VALU_DEP_3) | instskip(NEXT) | instid1(VALU_DEP_3)
	v_dual_fmaak_f32 v19, 0x2f800000, v19, 0x2f800000 :: v_dual_fmaak_f32 v44, 0x2f800000, v44, 0x2f800000
	v_dual_fmaak_f32 v1, 0x2f800000, v1, 0x2f800000 :: v_dual_fmaak_f32 v2, 0x2f800000, v2, 0x2f800000
	;; [unrolled: 1-line block ×3, first 2 shown]
	v_cndmask_b32_e64 v0, 0, 1.0, s0
	v_fmaak_f32 v49, 0x2f800000, v49, 0x2f800000
	v_cmp_gt_f32_e64 s9, s28, v48
	v_cmp_gt_f32_e64 s13, s28, v45
	v_cmp_gt_f32_e64 s15, s28, v20
	v_dual_fmaak_f32 v47, 0x2f800000, v47, 0x2f800000 :: v_dual_fmaak_f32 v16, 0x2f800000, v16, 0x2f800000
	v_cmp_gt_f32_e64 s1, s28, v1
	v_cmp_gt_f32_e64 s3, s28, v3
	;; [unrolled: 1-line block ×7, first 2 shown]
	v_cndmask_b32_e64 v79, 0, 1, s9
	v_cndmask_b32_e64 v81, 0, 1, s13
	;; [unrolled: 1-line block ×3, first 2 shown]
	v_cmp_gt_f32_e64 s2, s28, v2
	v_cmp_gt_f32_e64 s4, s28, v16
	;; [unrolled: 1-line block ×3, first 2 shown]
	v_cndmask_b32_e64 v2, 0, 1, s1
	v_cndmask_b32_e64 v73, 0, 1, s3
	;; [unrolled: 1-line block ×4, first 2 shown]
	v_cmp_gt_f32_e64 s6, s28, v44
	v_cndmask_b32_e64 v77, 0, 1, s7
	v_add_co_u32 v69, vcc_lo, s20, v14
	v_cndmask_b32_e64 v78, 0, 1, s8
	v_cndmask_b32_e64 v84, 0, 1, s12
	v_lshlrev_b16 v81, 8, v81
	v_lshlrev_b16 v82, 8, v82
	;; [unrolled: 1-line block ×3, first 2 shown]
	v_add_co_ci_u32_e32 v70, vcc_lo, s21, v15, vcc_lo
	v_cndmask_b32_e64 v1, 0, 1, s0
	v_cndmask_b32_e64 v3, 0, 1, s2
	;; [unrolled: 1-line block ×4, first 2 shown]
	v_lshlrev_b16 v83, 8, v83
	v_lshlrev_b16 v75, 8, v75
	;; [unrolled: 1-line block ×4, first 2 shown]
	v_add_co_u32 v71, vcc_lo, s22, v12
	v_cndmask_b32_e64 v76, 0, 1, s6
	v_lshlrev_b16 v77, 8, v77
	v_add_co_ci_u32_e32 v72, vcc_lo, s23, v13, vcc_lo
	v_add_co_u32 v12, vcc_lo, v12, s24
	v_cndmask_b32_e64 v50, 0, 1.0, s1
	v_cndmask_b32_e64 v51, 0, 1.0, s2
	;; [unrolled: 1-line block ×3, first 2 shown]
	v_or_b32_e32 v81, v84, v81
	v_or_b32_e32 v78, v78, v79
	v_cndmask_b32_e64 v16, 0, 1.0, s4
	v_cndmask_b32_e64 v19, 0, 1.0, s5
	;; [unrolled: 1-line block ×4, first 2 shown]
	v_or_b32_e32 v79, v80, v83
	v_or_b32_e32 v74, v74, v75
	;; [unrolled: 1-line block ×4, first 2 shown]
	v_add_co_ci_u32_e32 v13, vcc_lo, 0, v13, vcc_lo
	v_cndmask_b32_e64 v17, 0, 1.0, s8
	v_cndmask_b32_e64 v48, 0, 1.0, s9
	;; [unrolled: 1-line block ×7, first 2 shown]
	v_or_b32_e32 v75, v76, v77
	v_and_b32_e32 v3, 0xffff, v81
	v_and_b32_e32 v76, 0xffff, v78
	v_lshlrev_b32_e32 v77, 16, v79
	v_and_b32_e32 v74, 0xffff, v74
	v_and_b32_e32 v78, 0xffff, v1
	v_lshlrev_b32_e32 v79, 16, v2
	v_cmp_le_u64_e32 vcc_lo, s[16:17], v[12:13]
	v_lshlrev_b32_e32 v75, 16, v75
	s_add_u32 s18, s18, s26
	s_addc_u32 s19, s19, s27
	s_add_u32 s20, s20, s26
	s_addc_u32 s21, s21, s27
	s_or_b32 s25, vcc_lo, s25
	s_waitcnt vmcnt(3)
	v_mul_f32_e32 v0, v53, v0
	v_cmp_gt_f32_e64 s14, s28, v49
	v_dual_mul_f32 v50, v54, v50 :: v_dual_mul_f32 v51, v55, v51
	s_waitcnt vmcnt(2)
	v_dual_mul_f32 v53, v57, v16 :: v_dual_mul_f32 v54, v58, v19
	s_delay_alu instid0(VALU_DEP_3)
	v_cndmask_b32_e64 v85, 0, 1, s14
	v_cndmask_b32_e64 v49, 0, 1.0, s14
	v_mul_f32_e32 v55, v59, v44
	s_waitcnt vmcnt(1)
	v_mul_f32_e32 v48, v62, v48
	v_dual_mul_f32 v58, v63, v47 :: v_dual_mul_f32 v59, v64, v46
	v_or_b32_e32 v82, v85, v82
	s_waitcnt vmcnt(0)
	v_mul_f32_e32 v62, v67, v49
	v_mul_f32_e32 v16, v41, v0
	;; [unrolled: 1-line block ×3, first 2 shown]
	v_dual_mul_f32 v56, v60, v43 :: v_dual_mul_f32 v57, v61, v17
	v_lshlrev_b32_e32 v73, 16, v82
	v_dual_mul_f32 v60, v65, v18 :: v_dual_mul_f32 v61, v66, v45
	v_dual_mul_f32 v20, v68, v20 :: v_dual_mul_f32 v17, v41, v50
	v_mul_f32_e32 v18, v41, v51
	v_mul_f32_e32 v19, v41, v52
	;; [unrolled: 1-line block ×14, first 2 shown]
	v_or_b32_e32 v3, v3, v73
	v_or_b32_e32 v2, v76, v77
	;; [unrolled: 1-line block ×4, first 2 shown]
	s_clause 0x3
	global_store_b128 v[69:70], v[16:19], off
	global_store_b128 v[69:70], v[43:46], off offset:16
	global_store_b128 v[69:70], v[47:50], off offset:32
	global_store_b128 v[69:70], v[51:54], off offset:48
	global_store_b128 v[71:72], v[0:3], off
	s_waitcnt_vscnt null, 0x0
	s_barrier
	buffer_gl0_inv
	s_and_not1_b32 exec_lo, exec_lo, s25
	s_cbranch_execz .LBB91_45
.LBB91_6:                               ; =>This Inner Loop Header: Depth=1
	v_add_co_u32 v2, vcc_lo, v21, 1
	s_delay_alu instid0(VALU_DEP_1) | instskip(SKIP_2) | instid1(VALU_DEP_1)
	v_cndmask_b32_e64 v0, 0, 1, vcc_lo
	v_add_co_ci_u32_e32 v18, vcc_lo, 0, v42, vcc_lo
	s_mov_b32 s0, exec_lo
	v_cmp_eq_u32_e32 vcc_lo, 0, v18
	s_delay_alu instid0(VALU_DEP_3) | instskip(SKIP_1) | instid1(VALU_DEP_2)
	v_cndmask_b32_e32 v3, 0, v0, vcc_lo
	v_mad_u64_u32 v[0:1], null, 0xd2511f53, v2, 0
	v_add_nc_u32_e32 v20, v3, v8
	s_delay_alu instid0(VALU_DEP_2) | instskip(NEXT) | instid1(VALU_DEP_2)
	v_xor_b32_e32 v8, v1, v11
	v_cmp_eq_u32_e32 vcc_lo, 0, v20
	v_cndmask_b32_e32 v3, 0, v3, vcc_lo
	v_mad_u64_u32 v[1:2], null, 0xcd9e8d57, v20, 0
	s_delay_alu instid0(VALU_DEP_2) | instskip(NEXT) | instid1(VALU_DEP_2)
	v_add_nc_u32_e32 v42, v3, v9
	v_xor3_b32 v16, v2, v10, v18
	s_delay_alu instid0(VALU_DEP_2) | instskip(NEXT) | instid1(VALU_DEP_1)
	v_xor_b32_e32 v8, v42, v8
	v_mad_u64_u32 v[2:3], null, 0xcd9e8d57, v8, 0
	s_delay_alu instid0(VALU_DEP_3) | instskip(NEXT) | instid1(VALU_DEP_2)
	v_mad_u64_u32 v[8:9], null, 0xd2511f53, v16, 0
	v_xor3_b32 v3, v23, v3, v1
	s_delay_alu instid0(VALU_DEP_2) | instskip(NEXT) | instid1(VALU_DEP_2)
	v_xor3_b32 v9, v22, v9, v0
	v_mad_u64_u32 v[0:1], null, 0xd2511f53, v3, 0
	s_delay_alu instid0(VALU_DEP_2) | instskip(NEXT) | instid1(VALU_DEP_2)
	v_mad_u64_u32 v[16:17], null, 0xcd9e8d57, v9, 0
	v_xor3_b32 v3, v25, v1, v8
	s_delay_alu instid0(VALU_DEP_2) | instskip(NEXT) | instid1(VALU_DEP_2)
	v_xor3_b32 v17, v24, v17, v2
	v_mad_u64_u32 v[1:2], null, 0xcd9e8d57, v3, 0
	s_delay_alu instid0(VALU_DEP_2) | instskip(NEXT) | instid1(VALU_DEP_2)
	;; [unrolled: 6-line block ×8, first 2 shown]
	v_mad_u64_u32 v[16:17], null, 0xd2511f53, v2, 0
	v_xor3_b32 v19, v9, v43, v39
	s_delay_alu instid0(VALU_DEP_2)
	v_xor3_b32 v9, v17, v0, v40
                                        ; implicit-def: $vgpr0_vgpr1_vgpr2_vgpr3
	v_cmpx_lt_i32_e32 1, v38
	s_xor_b32 s0, exec_lo, s0
	s_cbranch_execz .LBB91_12
; %bb.7:                                ;   in Loop: Header=BB91_6 Depth=1
	s_mov_b32 s1, exec_lo
                                        ; implicit-def: $vgpr0_vgpr1_vgpr2_vgpr3
	v_cmpx_lt_i32_e32 2, v38
	s_xor_b32 s1, exec_lo, s1
; %bb.8:                                ;   in Loop: Header=BB91_6 Depth=1
	v_mov_b32_e32 v6, v7
	v_mov_b32_e32 v7, v19
	s_delay_alu instid0(VALU_DEP_1)
	v_dual_mov_b32 v0, v6 :: v_dual_mov_b32 v1, v7
	v_dual_mov_b32 v2, v8 :: v_dual_mov_b32 v3, v9
                                        ; implicit-def: $vgpr4_vgpr5_vgpr6_vgpr7
; %bb.9:                                ;   in Loop: Header=BB91_6 Depth=1
	s_and_not1_saveexec_b32 s1, s1
; %bb.10:                               ;   in Loop: Header=BB91_6 Depth=1
	v_dual_mov_b32 v0, v6 :: v_dual_mov_b32 v1, v7
	v_dual_mov_b32 v2, v19 :: v_dual_mov_b32 v3, v8
; %bb.11:                               ;   in Loop: Header=BB91_6 Depth=1
	s_or_b32 exec_lo, exec_lo, s1
                                        ; implicit-def: $vgpr4_vgpr5_vgpr6_vgpr7
.LBB91_12:                              ;   in Loop: Header=BB91_6 Depth=1
	s_and_not1_saveexec_b32 s0, s0
	s_cbranch_execz .LBB91_16
; %bb.13:                               ;   in Loop: Header=BB91_6 Depth=1
	s_mov_b32 s1, exec_lo
	v_cmpx_eq_u32_e32 1, v38
; %bb.14:                               ;   in Loop: Header=BB91_6 Depth=1
	v_dual_mov_b32 v4, v5 :: v_dual_mov_b32 v5, v6
	v_mov_b32_e32 v6, v7
	v_mov_b32_e32 v7, v19
; %bb.15:                               ;   in Loop: Header=BB91_6 Depth=1
	s_or_b32 exec_lo, exec_lo, s1
	s_delay_alu instid0(VALU_DEP_3) | instskip(NEXT) | instid1(VALU_DEP_2)
	v_dual_mov_b32 v0, v4 :: v_dual_mov_b32 v1, v5
	v_dual_mov_b32 v2, v6 :: v_dual_mov_b32 v3, v7
.LBB91_16:                              ;   in Loop: Header=BB91_6 Depth=1
	s_or_b32 exec_lo, exec_lo, s0
	v_add_nc_u32_e32 v6, 2, v21
	s_mov_b32 s0, exec_lo
	s_delay_alu instid0(VALU_DEP_1) | instskip(SKIP_2) | instid1(VALU_DEP_1)
	v_cmp_eq_u32_e32 vcc_lo, 0, v6
	v_cndmask_b32_e64 v4, 0, 1, vcc_lo
	v_add_co_ci_u32_e32 v7, vcc_lo, 0, v18, vcc_lo
	v_cmp_eq_u32_e32 vcc_lo, 0, v7
	s_delay_alu instid0(VALU_DEP_3) | instskip(SKIP_1) | instid1(VALU_DEP_2)
	v_cndmask_b32_e32 v17, 0, v4, vcc_lo
	v_mad_u64_u32 v[4:5], null, 0xd2511f53, v6, 0
	v_add_nc_u32_e32 v20, v17, v20
	s_delay_alu instid0(VALU_DEP_2) | instskip(NEXT) | instid1(VALU_DEP_2)
	v_xor_b32_e32 v5, v5, v11
	v_cmp_eq_u32_e32 vcc_lo, 0, v20
	v_cndmask_b32_e32 v6, 0, v17, vcc_lo
	v_mad_u64_u32 v[17:18], null, 0xcd9e8d57, v20, 0
	s_delay_alu instid0(VALU_DEP_2) | instskip(NEXT) | instid1(VALU_DEP_2)
	v_add_nc_u32_e32 v42, v6, v42
	v_xor3_b32 v18, v18, v10, v7
	s_delay_alu instid0(VALU_DEP_2) | instskip(NEXT) | instid1(VALU_DEP_2)
	v_xor_b32_e32 v45, v42, v5
	v_mad_u64_u32 v[5:6], null, 0xd2511f53, v18, 0
	s_delay_alu instid0(VALU_DEP_2) | instskip(NEXT) | instid1(VALU_DEP_2)
	v_mad_u64_u32 v[43:44], null, 0xcd9e8d57, v45, 0
	v_xor3_b32 v4, v22, v6, v4
	s_delay_alu instid0(VALU_DEP_2) | instskip(NEXT) | instid1(VALU_DEP_2)
	v_xor3_b32 v6, v23, v44, v17
	v_mad_u64_u32 v[17:18], null, 0xcd9e8d57, v4, 0
	s_delay_alu instid0(VALU_DEP_2) | instskip(NEXT) | instid1(VALU_DEP_2)
	v_mad_u64_u32 v[44:45], null, 0xd2511f53, v6, 0
	v_xor3_b32 v6, v24, v18, v43
	s_delay_alu instid0(VALU_DEP_2) | instskip(NEXT) | instid1(VALU_DEP_2)
	v_xor3_b32 v18, v25, v45, v5
	v_mad_u64_u32 v[4:5], null, 0xd2511f53, v6, 0
	s_delay_alu instid0(VALU_DEP_2) | instskip(NEXT) | instid1(VALU_DEP_2)
	v_mad_u64_u32 v[45:46], null, 0xcd9e8d57, v18, 0
	v_xor3_b32 v18, v26, v5, v44
	s_delay_alu instid0(VALU_DEP_2) | instskip(NEXT) | instid1(VALU_DEP_2)
	v_xor3_b32 v43, v27, v46, v17
	v_mad_u64_u32 v[5:6], null, 0xcd9e8d57, v18, 0
	s_delay_alu instid0(VALU_DEP_2) | instskip(NEXT) | instid1(VALU_DEP_2)
	v_mad_u64_u32 v[17:18], null, 0xd2511f53, v43, 0
	v_xor3_b32 v6, v28, v6, v45
	s_delay_alu instid0(VALU_DEP_2) | instskip(NEXT) | instid1(VALU_DEP_2)
	v_xor3_b32 v4, v29, v18, v4
	v_mad_u64_u32 v[43:44], null, 0xd2511f53, v6, 0
	s_delay_alu instid0(VALU_DEP_2) | instskip(NEXT) | instid1(VALU_DEP_2)
	v_mad_u64_u32 v[45:46], null, 0xcd9e8d57, v4, 0
	v_xor3_b32 v6, v30, v44, v17
	s_delay_alu instid0(VALU_DEP_2) | instskip(NEXT) | instid1(VALU_DEP_2)
	v_xor3_b32 v44, v31, v46, v5
	v_mad_u64_u32 v[4:5], null, 0xcd9e8d57, v6, 0
	s_delay_alu instid0(VALU_DEP_2) | instskip(NEXT) | instid1(VALU_DEP_2)
	v_mad_u64_u32 v[17:18], null, 0xd2511f53, v44, 0
	v_xor3_b32 v44, v32, v5, v45
	s_delay_alu instid0(VALU_DEP_2) | instskip(NEXT) | instid1(VALU_DEP_2)
	v_xor3_b32 v18, v34, v18, v43
	v_mad_u64_u32 v[5:6], null, 0xd2511f53, v44, 0
	s_delay_alu instid0(VALU_DEP_2) | instskip(NEXT) | instid1(VALU_DEP_2)
	v_mad_u64_u32 v[43:44], null, 0xcd9e8d57, v18, 0
	v_xor3_b32 v6, v35, v6, v17
	s_delay_alu instid0(VALU_DEP_2) | instskip(NEXT) | instid1(VALU_DEP_2)
	v_xor3_b32 v4, v33, v44, v4
	v_mad_u64_u32 v[44:45], null, 0xcd9e8d57, v6, 0
	s_delay_alu instid0(VALU_DEP_2) | instskip(NEXT) | instid1(VALU_DEP_2)
	v_mad_u64_u32 v[46:47], null, 0xd2511f53, v4, 0
	v_xor3_b32 v4, v36, v45, v43
                                        ; implicit-def: $vgpr43
                                        ; implicit-def: $vgpr45
	s_delay_alu instid0(VALU_DEP_2) | instskip(NEXT) | instid1(VALU_DEP_2)
	v_xor3_b32 v6, v37, v47, v5
	v_mad_u64_u32 v[17:18], null, 0xd2511f53, v4, 0
	s_delay_alu instid0(VALU_DEP_2) | instskip(NEXT) | instid1(VALU_DEP_2)
	v_mad_u64_u32 v[4:5], null, 0xcd9e8d57, v6, 0
	v_xor3_b32 v6, v18, v46, v40
	s_delay_alu instid0(VALU_DEP_2)
	v_xor3_b32 v5, v5, v44, v39
                                        ; implicit-def: $vgpr44
	v_cmpx_lt_i32_e32 1, v38
	s_xor_b32 s0, exec_lo, s0
	s_cbranch_execz .LBB91_22
; %bb.17:                               ;   in Loop: Header=BB91_6 Depth=1
	s_mov_b32 s1, exec_lo
	v_cmpx_lt_i32_e32 2, v38
	s_xor_b32 s1, exec_lo, s1
; %bb.18:                               ;   in Loop: Header=BB91_6 Depth=1
                                        ; implicit-def: $vgpr9
; %bb.19:                               ;   in Loop: Header=BB91_6 Depth=1
	s_delay_alu instid0(SALU_CYCLE_1)
	s_or_saveexec_b32 s1, s1
	v_dual_mov_b32 v43, v6 :: v_dual_mov_b32 v44, v4
	v_mov_b32_e32 v45, v5
	s_xor_b32 exec_lo, exec_lo, s1
; %bb.20:                               ;   in Loop: Header=BB91_6 Depth=1
	v_dual_mov_b32 v43, v4 :: v_dual_mov_b32 v44, v5
	v_dual_mov_b32 v45, v16 :: v_dual_mov_b32 v16, v9
; %bb.21:                               ;   in Loop: Header=BB91_6 Depth=1
	s_or_b32 exec_lo, exec_lo, s1
                                        ; implicit-def: $vgpr9
                                        ; implicit-def: $vgpr19
.LBB91_22:                              ;   in Loop: Header=BB91_6 Depth=1
	s_and_not1_saveexec_b32 s0, s0
	s_cbranch_execz .LBB91_26
; %bb.23:                               ;   in Loop: Header=BB91_6 Depth=1
	s_delay_alu instid0(VALU_DEP_1)
	v_dual_mov_b32 v43, v16 :: v_dual_mov_b32 v44, v9
	v_mov_b32_e32 v45, v8
	s_mov_b32 s1, exec_lo
	v_cmpx_eq_u32_e32 1, v38
; %bb.24:                               ;   in Loop: Header=BB91_6 Depth=1
	v_dual_mov_b32 v43, v5 :: v_dual_mov_b32 v44, v16
	v_mov_b32_e32 v45, v9
	v_mov_b32_e32 v19, v8
; %bb.25:                               ;   in Loop: Header=BB91_6 Depth=1
	s_or_b32 exec_lo, exec_lo, s1
	s_delay_alu instid0(VALU_DEP_1)
	v_mov_b32_e32 v16, v19
.LBB91_26:                              ;   in Loop: Header=BB91_6 Depth=1
	s_or_b32 exec_lo, exec_lo, s0
	v_add_nc_u32_e32 v18, 3, v21
	s_mov_b32 s0, exec_lo
	s_delay_alu instid0(VALU_DEP_1) | instskip(SKIP_2) | instid1(VALU_DEP_1)
	v_cmp_eq_u32_e32 vcc_lo, 0, v18
	v_cndmask_b32_e64 v8, 0, 1, vcc_lo
	v_add_co_ci_u32_e32 v9, vcc_lo, 0, v7, vcc_lo
	v_cmp_eq_u32_e32 vcc_lo, 0, v9
	s_delay_alu instid0(VALU_DEP_3) | instskip(SKIP_1) | instid1(VALU_DEP_2)
	v_cndmask_b32_e32 v19, 0, v8, vcc_lo
	v_mad_u64_u32 v[7:8], null, 0xd2511f53, v18, 0
	v_add_nc_u32_e32 v20, v19, v20
	s_delay_alu instid0(VALU_DEP_2) | instskip(NEXT) | instid1(VALU_DEP_2)
	v_xor_b32_e32 v8, v8, v11
	v_cmp_eq_u32_e32 vcc_lo, 0, v20
	v_cndmask_b32_e32 v46, 0, v19, vcc_lo
	v_mad_u64_u32 v[18:19], null, 0xcd9e8d57, v20, 0
	s_delay_alu instid0(VALU_DEP_2) | instskip(NEXT) | instid1(VALU_DEP_2)
	v_add_nc_u32_e32 v51, v46, v42
	v_xor3_b32 v19, v19, v10, v9
	s_delay_alu instid0(VALU_DEP_2) | instskip(NEXT) | instid1(VALU_DEP_2)
	v_xor_b32_e32 v8, v51, v8
	v_mad_u64_u32 v[46:47], null, 0xd2511f53, v19, 0
	s_delay_alu instid0(VALU_DEP_2) | instskip(NEXT) | instid1(VALU_DEP_2)
	v_mad_u64_u32 v[48:49], null, 0xcd9e8d57, v8, 0
	v_xor3_b32 v19, v22, v47, v7
	s_delay_alu instid0(VALU_DEP_2) | instskip(NEXT) | instid1(VALU_DEP_2)
	v_xor3_b32 v42, v23, v49, v18
	v_mad_u64_u32 v[7:8], null, 0xcd9e8d57, v19, 0
	s_delay_alu instid0(VALU_DEP_2) | instskip(NEXT) | instid1(VALU_DEP_2)
	v_mad_u64_u32 v[18:19], null, 0xd2511f53, v42, 0
	v_xor3_b32 v8, v24, v8, v48
	s_delay_alu instid0(VALU_DEP_2) | instskip(NEXT) | instid1(VALU_DEP_2)
	v_xor3_b32 v19, v25, v19, v46
	;; [unrolled: 6-line block ×6, first 2 shown]
	v_mad_u64_u32 v[46:47], null, 0xd2511f53, v8, 0
	s_delay_alu instid0(VALU_DEP_2) | instskip(NEXT) | instid1(VALU_DEP_2)
	v_mad_u64_u32 v[48:49], null, 0xcd9e8d57, v19, 0
	v_xor3_b32 v8, v35, v47, v18
                                        ; implicit-def: $vgpr47
	s_delay_alu instid0(VALU_DEP_2) | instskip(NEXT) | instid1(VALU_DEP_2)
	v_xor3_b32 v7, v33, v49, v7
	v_mad_u64_u32 v[52:53], null, 0xcd9e8d57, v8, 0
	s_delay_alu instid0(VALU_DEP_2) | instskip(NEXT) | instid1(VALU_DEP_2)
	v_mad_u64_u32 v[49:50], null, 0xd2511f53, v7, 0
	v_xor3_b32 v7, v36, v53, v48
                                        ; implicit-def: $vgpr48
	s_delay_alu instid0(VALU_DEP_2) | instskip(NEXT) | instid1(VALU_DEP_2)
	v_xor3_b32 v42, v37, v50, v46
                                        ; implicit-def: $vgpr46
	v_mad_u64_u32 v[18:19], null, 0xd2511f53, v7, 0
	s_delay_alu instid0(VALU_DEP_2) | instskip(NEXT) | instid1(VALU_DEP_2)
	v_mad_u64_u32 v[7:8], null, 0xcd9e8d57, v42, 0
	v_xor3_b32 v49, v19, v49, v40
	s_delay_alu instid0(VALU_DEP_2)
	v_xor3_b32 v50, v8, v52, v39
	v_cmpx_lt_i32_e32 1, v38
	s_xor_b32 s0, exec_lo, s0
	s_cbranch_execz .LBB91_32
; %bb.27:                               ;   in Loop: Header=BB91_6 Depth=1
	s_mov_b32 s1, exec_lo
	v_cmpx_lt_i32_e32 2, v38
	s_xor_b32 s1, exec_lo, s1
; %bb.28:                               ;   in Loop: Header=BB91_6 Depth=1
                                        ; implicit-def: $vgpr6
; %bb.29:                               ;   in Loop: Header=BB91_6 Depth=1
	s_delay_alu instid0(SALU_CYCLE_1)
	s_or_saveexec_b32 s1, s1
	v_dual_mov_b32 v46, v49 :: v_dual_mov_b32 v47, v7
	v_mov_b32_e32 v48, v50
	s_xor_b32 exec_lo, exec_lo, s1
; %bb.30:                               ;   in Loop: Header=BB91_6 Depth=1
	v_dual_mov_b32 v46, v7 :: v_dual_mov_b32 v47, v50
	v_dual_mov_b32 v48, v17 :: v_dual_mov_b32 v17, v6
; %bb.31:                               ;   in Loop: Header=BB91_6 Depth=1
	s_or_b32 exec_lo, exec_lo, s1
                                        ; implicit-def: $vgpr6
                                        ; implicit-def: $vgpr4
                                        ; implicit-def: $vgpr5
.LBB91_32:                              ;   in Loop: Header=BB91_6 Depth=1
	s_and_not1_saveexec_b32 s0, s0
	s_cbranch_execz .LBB91_36
; %bb.33:                               ;   in Loop: Header=BB91_6 Depth=1
	s_delay_alu instid0(VALU_DEP_1)
	v_dual_mov_b32 v46, v17 :: v_dual_mov_b32 v47, v6
	v_mov_b32_e32 v48, v4
	s_mov_b32 s1, exec_lo
	v_cmpx_eq_u32_e32 1, v38
; %bb.34:                               ;   in Loop: Header=BB91_6 Depth=1
	v_dual_mov_b32 v46, v50 :: v_dual_mov_b32 v47, v17
	v_dual_mov_b32 v48, v6 :: v_dual_mov_b32 v5, v4
; %bb.35:                               ;   in Loop: Header=BB91_6 Depth=1
	s_or_b32 exec_lo, exec_lo, s1
	s_delay_alu instid0(VALU_DEP_1)
	v_mov_b32_e32 v17, v5
.LBB91_36:                              ;   in Loop: Header=BB91_6 Depth=1
	s_or_b32 exec_lo, exec_lo, s0
	v_add_nc_u32_e32 v21, 4, v21
	s_mov_b32 s0, exec_lo
	s_delay_alu instid0(VALU_DEP_1) | instskip(SKIP_2) | instid1(VALU_DEP_1)
	v_cmp_eq_u32_e32 vcc_lo, 0, v21
	v_cndmask_b32_e64 v4, 0, 1, vcc_lo
	v_add_co_ci_u32_e32 v42, vcc_lo, 0, v9, vcc_lo
	v_cmp_eq_u32_e32 vcc_lo, 0, v42
	s_delay_alu instid0(VALU_DEP_3) | instskip(NEXT) | instid1(VALU_DEP_1)
	v_cndmask_b32_e32 v4, 0, v4, vcc_lo
	v_add_nc_u32_e32 v8, v4, v20
	s_delay_alu instid0(VALU_DEP_1) | instskip(SKIP_2) | instid1(VALU_DEP_2)
	v_cmp_eq_u32_e32 vcc_lo, 0, v8
	v_mad_u64_u32 v[19:20], null, 0xcd9e8d57, v8, 0
	v_cndmask_b32_e32 v4, 0, v4, vcc_lo
	v_xor3_b32 v20, v20, v10, v42
	s_delay_alu instid0(VALU_DEP_2) | instskip(SKIP_1) | instid1(VALU_DEP_1)
	v_add_nc_u32_e32 v9, v4, v51
	v_mad_u64_u32 v[4:5], null, 0xd2511f53, v21, 0
	v_xor_b32_e32 v5, v5, v11
	s_delay_alu instid0(VALU_DEP_1) | instskip(NEXT) | instid1(VALU_DEP_1)
	v_xor_b32_e32 v51, v9, v5
	v_mad_u64_u32 v[5:6], null, 0xcd9e8d57, v51, 0
	v_mad_u64_u32 v[51:52], null, 0xd2511f53, v20, 0
	s_delay_alu instid0(VALU_DEP_2) | instskip(NEXT) | instid1(VALU_DEP_2)
	v_xor3_b32 v6, v23, v6, v19
	v_xor3_b32 v4, v22, v52, v4
	s_delay_alu instid0(VALU_DEP_2) | instskip(NEXT) | instid1(VALU_DEP_2)
	v_mad_u64_u32 v[19:20], null, 0xd2511f53, v6, 0
	v_mad_u64_u32 v[52:53], null, 0xcd9e8d57, v4, 0
	s_delay_alu instid0(VALU_DEP_2) | instskip(NEXT) | instid1(VALU_DEP_2)
	v_xor3_b32 v6, v25, v20, v51
	v_xor3_b32 v20, v24, v53, v5
	s_delay_alu instid0(VALU_DEP_2) | instskip(NEXT) | instid1(VALU_DEP_2)
	;; [unrolled: 6-line block ×8, first 2 shown]
	v_mad_u64_u32 v[5:6], null, 0xcd9e8d57, v4, 0
	v_mad_u64_u32 v[19:20], null, 0xd2511f53, v51, 0
                                        ; implicit-def: $vgpr51
	s_delay_alu instid0(VALU_DEP_2) | instskip(NEXT) | instid1(VALU_DEP_2)
	v_xor3_b32 v4, v6, v54, v39
	v_xor3_b32 v6, v20, v52, v40
                                        ; implicit-def: $vgpr20
                                        ; implicit-def: $vgpr52
	v_cmpx_lt_i32_e32 1, v38
	s_xor_b32 s0, exec_lo, s0
	s_cbranch_execz .LBB91_42
; %bb.37:                               ;   in Loop: Header=BB91_6 Depth=1
	s_mov_b32 s1, exec_lo
	v_cmpx_lt_i32_e32 2, v38
	s_xor_b32 s1, exec_lo, s1
; %bb.38:                               ;   in Loop: Header=BB91_6 Depth=1
                                        ; implicit-def: $vgpr49
; %bb.39:                               ;   in Loop: Header=BB91_6 Depth=1
	s_delay_alu instid0(SALU_CYCLE_1)
	s_or_saveexec_b32 s1, s1
	v_dual_mov_b32 v20, v6 :: v_dual_mov_b32 v51, v5
	v_mov_b32_e32 v52, v4
	s_xor_b32 exec_lo, exec_lo, s1
; %bb.40:                               ;   in Loop: Header=BB91_6 Depth=1
	v_dual_mov_b32 v20, v5 :: v_dual_mov_b32 v51, v4
	v_mov_b32_e32 v52, v18
	v_mov_b32_e32 v18, v49
; %bb.41:                               ;   in Loop: Header=BB91_6 Depth=1
	s_or_b32 exec_lo, exec_lo, s1
                                        ; implicit-def: $vgpr49
                                        ; implicit-def: $vgpr7
                                        ; implicit-def: $vgpr50
.LBB91_42:                              ;   in Loop: Header=BB91_6 Depth=1
	s_and_not1_saveexec_b32 s0, s0
	s_cbranch_execz .LBB91_5
; %bb.43:                               ;   in Loop: Header=BB91_6 Depth=1
	s_delay_alu instid0(VALU_DEP_1)
	v_dual_mov_b32 v20, v18 :: v_dual_mov_b32 v51, v49
	v_mov_b32_e32 v52, v7
	s_mov_b32 s1, exec_lo
	v_cmpx_eq_u32_e32 1, v38
	s_cbranch_execz .LBB91_4
; %bb.44:                               ;   in Loop: Header=BB91_6 Depth=1
	v_dual_mov_b32 v20, v4 :: v_dual_mov_b32 v51, v18
	v_mov_b32_e32 v52, v49
	v_mov_b32_e32 v50, v7
	s_branch .LBB91_4
.LBB91_45:
	s_endpgm
	.section	.rodata,"a",@progbits
	.p2align	6, 0x0
	.amdhsa_kernel _ZN2at6native12_GLOBAL__N_124fused_dropout_kernel_vecIffmLi1ELi16EhEEvNS_4cuda6detail10TensorInfoIKT_T1_EENS5_IS6_S8_EENS5_IT4_S8_EES8_T0_NS_15PhiloxCudaStateE
		.amdhsa_group_segment_fixed_size 0
		.amdhsa_private_segment_fixed_size 0
		.amdhsa_kernarg_size 1552
		.amdhsa_user_sgpr_count 15
		.amdhsa_user_sgpr_dispatch_ptr 0
		.amdhsa_user_sgpr_queue_ptr 0
		.amdhsa_user_sgpr_kernarg_segment_ptr 1
		.amdhsa_user_sgpr_dispatch_id 0
		.amdhsa_user_sgpr_private_segment_size 0
		.amdhsa_wavefront_size32 1
		.amdhsa_uses_dynamic_stack 0
		.amdhsa_enable_private_segment 0
		.amdhsa_system_sgpr_workgroup_id_x 1
		.amdhsa_system_sgpr_workgroup_id_y 0
		.amdhsa_system_sgpr_workgroup_id_z 0
		.amdhsa_system_sgpr_workgroup_info 0
		.amdhsa_system_vgpr_workitem_id 0
		.amdhsa_next_free_vgpr 86
		.amdhsa_next_free_sgpr 29
		.amdhsa_reserve_vcc 1
		.amdhsa_float_round_mode_32 0
		.amdhsa_float_round_mode_16_64 0
		.amdhsa_float_denorm_mode_32 3
		.amdhsa_float_denorm_mode_16_64 3
		.amdhsa_dx10_clamp 1
		.amdhsa_ieee_mode 1
		.amdhsa_fp16_overflow 0
		.amdhsa_workgroup_processor_mode 1
		.amdhsa_memory_ordered 1
		.amdhsa_forward_progress 0
		.amdhsa_shared_vgpr_count 0
		.amdhsa_exception_fp_ieee_invalid_op 0
		.amdhsa_exception_fp_denorm_src 0
		.amdhsa_exception_fp_ieee_div_zero 0
		.amdhsa_exception_fp_ieee_overflow 0
		.amdhsa_exception_fp_ieee_underflow 0
		.amdhsa_exception_fp_ieee_inexact 0
		.amdhsa_exception_int_div_zero 0
	.end_amdhsa_kernel
	.section	.text._ZN2at6native12_GLOBAL__N_124fused_dropout_kernel_vecIffmLi1ELi16EhEEvNS_4cuda6detail10TensorInfoIKT_T1_EENS5_IS6_S8_EENS5_IT4_S8_EES8_T0_NS_15PhiloxCudaStateE,"axG",@progbits,_ZN2at6native12_GLOBAL__N_124fused_dropout_kernel_vecIffmLi1ELi16EhEEvNS_4cuda6detail10TensorInfoIKT_T1_EENS5_IS6_S8_EENS5_IT4_S8_EES8_T0_NS_15PhiloxCudaStateE,comdat
.Lfunc_end91:
	.size	_ZN2at6native12_GLOBAL__N_124fused_dropout_kernel_vecIffmLi1ELi16EhEEvNS_4cuda6detail10TensorInfoIKT_T1_EENS5_IS6_S8_EENS5_IT4_S8_EES8_T0_NS_15PhiloxCudaStateE, .Lfunc_end91-_ZN2at6native12_GLOBAL__N_124fused_dropout_kernel_vecIffmLi1ELi16EhEEvNS_4cuda6detail10TensorInfoIKT_T1_EENS5_IS6_S8_EENS5_IT4_S8_EES8_T0_NS_15PhiloxCudaStateE
                                        ; -- End function
	.section	.AMDGPU.csdata,"",@progbits
; Kernel info:
; codeLenInByte = 4796
; NumSgprs: 31
; NumVgprs: 86
; ScratchSize: 0
; MemoryBound: 0
; FloatMode: 240
; IeeeMode: 1
; LDSByteSize: 0 bytes/workgroup (compile time only)
; SGPRBlocks: 3
; VGPRBlocks: 10
; NumSGPRsForWavesPerEU: 31
; NumVGPRsForWavesPerEU: 86
; Occupancy: 16
; WaveLimiterHint : 1
; COMPUTE_PGM_RSRC2:SCRATCH_EN: 0
; COMPUTE_PGM_RSRC2:USER_SGPR: 15
; COMPUTE_PGM_RSRC2:TRAP_HANDLER: 0
; COMPUTE_PGM_RSRC2:TGID_X_EN: 1
; COMPUTE_PGM_RSRC2:TGID_Y_EN: 0
; COMPUTE_PGM_RSRC2:TGID_Z_EN: 0
; COMPUTE_PGM_RSRC2:TIDIG_COMP_CNT: 0
	.section	.text._ZN2at6native12_GLOBAL__N_124fused_dropout_kernel_vecIffmLi1ELi8EhEEvNS_4cuda6detail10TensorInfoIKT_T1_EENS5_IS6_S8_EENS5_IT4_S8_EES8_T0_NS_15PhiloxCudaStateE,"axG",@progbits,_ZN2at6native12_GLOBAL__N_124fused_dropout_kernel_vecIffmLi1ELi8EhEEvNS_4cuda6detail10TensorInfoIKT_T1_EENS5_IS6_S8_EENS5_IT4_S8_EES8_T0_NS_15PhiloxCudaStateE,comdat
	.globl	_ZN2at6native12_GLOBAL__N_124fused_dropout_kernel_vecIffmLi1ELi8EhEEvNS_4cuda6detail10TensorInfoIKT_T1_EENS5_IS6_S8_EENS5_IT4_S8_EES8_T0_NS_15PhiloxCudaStateE ; -- Begin function _ZN2at6native12_GLOBAL__N_124fused_dropout_kernel_vecIffmLi1ELi8EhEEvNS_4cuda6detail10TensorInfoIKT_T1_EENS5_IS6_S8_EENS5_IT4_S8_EES8_T0_NS_15PhiloxCudaStateE
	.p2align	8
	.type	_ZN2at6native12_GLOBAL__N_124fused_dropout_kernel_vecIffmLi1ELi8EhEEvNS_4cuda6detail10TensorInfoIKT_T1_EENS5_IS6_S8_EENS5_IT4_S8_EES8_T0_NS_15PhiloxCudaStateE,@function
_ZN2at6native12_GLOBAL__N_124fused_dropout_kernel_vecIffmLi1ELi8EhEEvNS_4cuda6detail10TensorInfoIKT_T1_EENS5_IS6_S8_EENS5_IT4_S8_EES8_T0_NS_15PhiloxCudaStateE: ; @_ZN2at6native12_GLOBAL__N_124fused_dropout_kernel_vecIffmLi1ELi8EhEEvNS_4cuda6detail10TensorInfoIKT_T1_EENS5_IS6_S8_EENS5_IT4_S8_EES8_T0_NS_15PhiloxCudaStateE
; %bb.0:
	s_clause 0x1
	s_load_b128 s[4:7], s[0:1], 0x4f0
	s_load_b32 s2, s[0:1], 0x508
	s_waitcnt lgkmcnt(0)
	v_dual_mov_b32 v1, s6 :: v_dual_mov_b32 v2, s7
	v_dual_mov_b32 v11, s5 :: v_dual_mov_b32 v10, s4
	s_bitcmp0_b32 s2, 0
	s_cbranch_scc1 .LBB92_2
; %bb.1:
	v_dual_mov_b32 v1, s6 :: v_dual_mov_b32 v2, s7
	v_dual_mov_b32 v3, s4 :: v_dual_mov_b32 v4, s5
	s_load_b64 s[2:3], s[0:1], 0x500
	flat_load_b64 v[1:2], v[1:2]
	flat_load_b64 v[10:11], v[3:4]
	s_waitcnt vmcnt(1) lgkmcnt(0)
	v_add_co_u32 v1, vcc_lo, v1, s2
	v_add_co_ci_u32_e32 v2, vcc_lo, s3, v2, vcc_lo
.LBB92_2:
	s_clause 0x1
	s_load_b32 s4, s[0:1], 0x51c
	s_load_b64 s[8:9], s[0:1], 0x4e0
	s_add_u32 s2, s0, 0x510
	s_addc_u32 s3, s1, 0
	s_mov_b32 s5, exec_lo
	s_waitcnt lgkmcnt(0)
	s_and_b32 s4, s4, 0xffff
	s_delay_alu instid0(SALU_CYCLE_1) | instskip(SKIP_1) | instid1(VALU_DEP_1)
	v_mad_u64_u32 v[14:15], null, s15, s4, v[0:1]
	v_mov_b32_e32 v15, 0
	v_lshlrev_b64 v[12:13], 3, v[14:15]
	s_delay_alu instid0(VALU_DEP_1)
	v_cmpx_gt_u64_e64 s[8:9], v[12:13]
	s_cbranch_execz .LBB92_25
; %bb.3:
	v_alignbit_b32 v21, v2, v1, 2
	v_mad_u64_u32 v[3:4], null, 0xcd9e8d57, v14, 0
	v_lshrrev_b32_e32 v42, 2, v2
	s_waitcnt vmcnt(0)
	v_mov_b32_e32 v16, v11
	v_mad_u64_u32 v[5:6], null, 0xd2511f53, v21, 0
	v_add_co_u32 v23, null, 0x9e3779b9, v10
	v_xor3_b32 v0, v10, v4, v42
	s_delay_alu instid0(VALU_DEP_4) | instskip(SKIP_2) | instid1(VALU_DEP_4)
	v_add_co_u32 v22, null, 0xbb67ae85, v16
	v_add_co_u32 v24, null, 0x3c6ef372, v10
	v_xor_b32_e32 v2, v6, v11
	v_mad_u64_u32 v[6:7], null, 0xd2511f53, v0, 0
	v_add_co_u32 v25, null, 0x76cf5d0a, v16
	s_delay_alu instid0(VALU_DEP_3) | instskip(SKIP_1) | instid1(VALU_DEP_4)
	v_mad_u64_u32 v[8:9], null, 0xcd9e8d57, v2, 0
	v_add_co_u32 v26, null, 0x32370b8f, v16
	v_xor3_b32 v0, v22, v7, v5
	v_add_co_u32 v27, null, 0xdaa66d2b, v10
	s_load_b32 s7, s[0:1], 0x4e8
	s_delay_alu instid0(VALU_DEP_4) | instskip(NEXT) | instid1(VALU_DEP_3)
	v_xor3_b32 v7, v9, v23, v3
	v_mad_u64_u32 v[2:3], null, 0xcd9e8d57, v0, 0
	v_add_co_u32 v28, null, 0x78dde6e4, v10
	s_delay_alu instid0(VALU_DEP_3) | instskip(SKIP_1) | instid1(VALU_DEP_4)
	v_mad_u64_u32 v[4:5], null, 0xd2511f53, v7, 0
	v_add_co_u32 v29, null, 0xed9eba14, v16
	v_xor3_b32 v0, v24, v3, v8
	v_add_co_u32 v31, null, 0x1715609d, v10
	v_add_co_u32 v30, null, 0xa9066899, v16
	v_xor3_b32 v3, v5, v25, v6
	s_delay_alu instid0(VALU_DEP_4) | instskip(SKIP_1) | instid1(VALU_DEP_3)
	v_mad_u64_u32 v[5:6], null, 0xd2511f53, v0, 0
	v_add_co_u32 v32, null, 0xb54cda56, v10
	v_mad_u64_u32 v[7:8], null, 0xcd9e8d57, v3, 0
	v_add_co_u32 v33, null, 0x5384540f, v10
	s_delay_alu instid0(VALU_DEP_4)
	v_xor3_b32 v0, v26, v6, v4
	s_waitcnt lgkmcnt(0)
	v_div_scale_f32 v18, vcc_lo, 1.0, s7, 1.0
	s_clause 0x2
	s_load_b64 s[10:11], s[0:1], 0x0
	s_load_b64 s[12:13], s[0:1], 0x1a0
	;; [unrolled: 1-line block ×3, first 2 shown]
	v_xor3_b32 v4, v8, v27, v2
	v_mad_u64_u32 v[2:3], null, 0xcd9e8d57, v0, 0
	s_load_b32 s0, s[2:3], 0x0
	v_add_co_u32 v36, null, 0xf1bbcdc8, v10
	s_delay_alu instid0(VALU_DEP_3) | instskip(SKIP_1) | instid1(VALU_DEP_4)
	v_mad_u64_u32 v[8:9], null, 0xd2511f53, v4, 0
	v_and_b32_e32 v38, 3, v1
	v_xor3_b32 v0, v28, v3, v7
	v_add_nc_u32_e32 v39, 0x8ff34781, v10
	s_mov_b32 s17, 0
	v_add_nc_u32_e32 v40, 0x96a522ad, v11
	v_xor3_b32 v7, v9, v29, v5
	v_mad_u64_u32 v[3:4], null, 0xd2511f53, v0, 0
	v_div_scale_f32 v0, null, s7, s7, 1.0
	s_delay_alu instid0(VALU_DEP_3) | instskip(NEXT) | instid1(VALU_DEP_2)
	v_mad_u64_u32 v[5:6], null, 0xcd9e8d57, v7, 0
	v_rcp_f32_e32 v17, v0
	s_delay_alu instid0(VALU_DEP_3) | instskip(SKIP_2) | instid1(SALU_CYCLE_1)
	v_xor3_b32 v4, v30, v4, v8
	s_waitcnt lgkmcnt(0)
	s_mul_i32 s0, s0, s4
	s_lshl_b32 s16, s0, 3
	s_delay_alu instid0(VALU_DEP_2) | instskip(SKIP_2) | instid1(VALU_DEP_2)
	v_xor3_b32 v2, v6, v31, v2
	v_mad_u64_u32 v[6:7], null, 0xcd9e8d57, v4, 0
	s_lshl_b64 s[18:19], s[16:17], 2
	v_mad_u64_u32 v[8:9], null, 0xd2511f53, v2, 0
	s_waitcnt_depctr 0xfff
	v_fma_f32 v2, -v0, v17, 1.0
	v_xor3_b32 v4, v32, v7, v5
	s_delay_alu instid0(VALU_DEP_2) | instskip(SKIP_3) | instid1(VALU_DEP_3)
	v_fmac_f32_e32 v17, v2, v17
	v_add_co_u32 v34, null, 0x646e171e, v16
	v_add_co_u32 v35, null, 0x1fd5c5a3, v16
	;; [unrolled: 1-line block ×3, first 2 shown]
	v_xor3_b32 v7, v9, v34, v3
	v_mad_u64_u32 v[2:3], null, 0xd2511f53, v4, 0
	v_mul_f32_e32 v9, v18, v17
	s_delay_alu instid0(VALU_DEP_3) | instskip(NEXT) | instid1(VALU_DEP_2)
	v_mad_u64_u32 v[4:5], null, 0xcd9e8d57, v7, 0
	v_fma_f32 v20, -v0, v9, v18
	s_delay_alu instid0(VALU_DEP_4) | instskip(NEXT) | instid1(VALU_DEP_3)
	v_xor3_b32 v3, v35, v3, v8
	v_xor3_b32 v19, v5, v33, v6
	s_delay_alu instid0(VALU_DEP_2) | instskip(NEXT) | instid1(VALU_DEP_4)
	v_mad_u64_u32 v[5:6], null, 0xcd9e8d57, v3, 0
	v_fmac_f32_e32 v9, v20, v17
	s_delay_alu instid0(VALU_DEP_3) | instskip(NEXT) | instid1(VALU_DEP_2)
	v_mad_u64_u32 v[7:8], null, 0xd2511f53, v19, 0
	v_fma_f32 v0, -v0, v9, v18
	s_delay_alu instid0(VALU_DEP_4) | instskip(NEXT) | instid1(VALU_DEP_3)
	v_xor3_b32 v6, v36, v6, v4
	v_xor3_b32 v8, v8, v37, v2
	s_delay_alu instid0(VALU_DEP_2) | instskip(NEXT) | instid1(VALU_DEP_4)
	v_mad_u64_u32 v[3:4], null, 0xd2511f53, v6, 0
	v_div_fmas_f32 v0, v0, v17, v9
	v_lshlrev_b64 v[16:17], 5, v[14:15]
	s_delay_alu instid0(VALU_DEP_4) | instskip(NEXT) | instid1(VALU_DEP_3)
	v_mad_u64_u32 v[1:2], null, 0xcd9e8d57, v8, 0
	v_div_fixup_f32 v41, v0, s7, 1.0
	s_delay_alu instid0(VALU_DEP_2)
	v_xor3_b32 v0, v5, v2, v39
	v_xor3_b32 v2, v4, v7, v40
	s_branch .LBB92_6
.LBB92_4:                               ;   in Loop: Header=BB92_6 Depth=1
	s_or_b32 exec_lo, exec_lo, s1
	s_delay_alu instid0(VALU_DEP_1)
	v_mov_b32_e32 v18, v43
.LBB92_5:                               ;   in Loop: Header=BB92_6 Depth=1
	s_or_b32 exec_lo, exec_lo, s0
	v_add_co_u32 v8, vcc_lo, s10, v16
	v_add_co_ci_u32_e32 v9, vcc_lo, s11, v17, vcc_lo
	v_cvt_f32_u32_e32 v4, v4
	v_cvt_f32_u32_e32 v43, v18
	v_mov_b32_e32 v3, v19
	s_clause 0x1
	global_load_b128 v[46:49], v[8:9], off
	global_load_b128 v[50:53], v[8:9], off offset:16
	v_add_co_u32 v8, vcc_lo, s12, v16
	v_fmaak_f32 v4, 0x2f800000, v4, 0x2f800000
	v_add_co_ci_u32_e32 v9, vcc_lo, s13, v17, vcc_lo
	v_add_co_u32 v18, vcc_lo, s14, v12
	v_add_co_ci_u32_e32 v19, vcc_lo, s15, v13, vcc_lo
	v_add_co_u32 v12, vcc_lo, v12, s16
	v_add_co_ci_u32_e32 v13, vcc_lo, 0, v13, vcc_lo
	v_cvt_f32_u32_e32 v5, v5
	v_cvt_f32_u32_e32 v45, v45
	;; [unrolled: 1-line block ×3, first 2 shown]
	v_cmp_gt_f32_e32 vcc_lo, s7, v4
	v_cvt_f32_u32_e32 v7, v7
	v_cvt_f32_u32_e32 v6, v6
	;; [unrolled: 1-line block ×3, first 2 shown]
	v_fmaak_f32 v5, 0x2f800000, v5, 0x2f800000
	v_dual_fmaak_f32 v43, 0x2f800000, v43, 0x2f800000 :: v_dual_fmaak_f32 v20, 0x2f800000, v20, 0x2f800000
	v_cndmask_b32_e64 v4, 0, 1.0, vcc_lo
	v_fmaak_f32 v45, 0x2f800000, v45, 0x2f800000
	v_dual_fmaak_f32 v7, 0x2f800000, v7, 0x2f800000 :: v_dual_fmaak_f32 v44, 0x2f800000, v44, 0x2f800000
	v_fmaak_f32 v6, 0x2f800000, v6, 0x2f800000
	v_cmp_gt_f32_e64 s0, s7, v5
	v_cmp_gt_f32_e64 s6, s7, v20
	s_delay_alu instid0(VALU_DEP_4)
	v_cmp_gt_f32_e64 s2, s7, v7
	v_cmp_gt_f32_e64 s3, s7, v43
	;; [unrolled: 1-line block ×3, first 2 shown]
	v_cndmask_b32_e64 v55, 0, 1, s0
	v_cndmask_b32_e64 v57, 0, 1, s6
	v_cmp_gt_f32_e64 s1, s7, v6
	v_cndmask_b32_e64 v58, 0, 1, s2
	v_cndmask_b32_e64 v54, 0, 1, vcc_lo
	v_cndmask_b32_e64 v59, 0, 1, s3
	v_cndmask_b32_e64 v60, 0, 1, s5
	v_lshlrev_b16 v57, 8, v57
	v_lshlrev_b16 v55, 8, v55
	v_cndmask_b32_e64 v61, 0, 1, s1
	v_lshlrev_b16 v58, 8, v58
	v_cndmask_b32_e64 v5, 0, 1.0, s0
	v_cndmask_b32_e64 v6, 0, 1.0, s1
	;; [unrolled: 1-line block ×3, first 2 shown]
	v_or_b32_e32 v57, v60, v57
	v_or_b32_e32 v54, v54, v55
	v_cndmask_b32_e64 v43, 0, 1.0, s3
	v_cndmask_b32_e64 v44, 0, 1.0, s5
	;; [unrolled: 1-line block ×3, first 2 shown]
	v_or_b32_e32 v55, v61, v58
	v_lshlrev_b32_e32 v57, 16, v57
	v_and_b32_e32 v58, 0xffff, v54
	v_cmp_le_u64_e32 vcc_lo, s[8:9], v[12:13]
	s_add_u32 s12, s12, s18
	v_lshlrev_b32_e32 v55, 16, v55
	s_addc_u32 s13, s13, s19
	s_add_u32 s10, s10, s18
	s_addc_u32 s11, s11, s19
	s_or_b32 s17, vcc_lo, s17
	s_waitcnt vmcnt(1)
	v_mul_f32_e32 v4, v46, v4
	s_waitcnt vmcnt(0)
	v_mul_f32_e32 v46, v52, v44
	v_cmp_gt_f32_e64 s4, s7, v45
	v_dual_mul_f32 v6, v48, v6 :: v_dual_mul_f32 v7, v49, v7
	v_dual_mul_f32 v43, v50, v43 :: v_dual_mul_f32 v20, v53, v20
	s_delay_alu instid0(VALU_DEP_3) | instskip(SKIP_1) | instid1(VALU_DEP_4)
	v_cndmask_b32_e64 v56, 0, 1, s4
	v_cndmask_b32_e64 v45, 0, 1.0, s4
	v_mul_f32_e32 v6, v41, v6
	v_mul_f32_e32 v4, v41, v4
	;; [unrolled: 1-line block ×3, first 2 shown]
	v_lshlrev_b16 v56, 8, v56
	v_mul_f32_e32 v45, v51, v45
	v_mul_f32_e32 v43, v41, v43
	v_or_b32_e32 v53, v58, v55
	v_mul_f32_e32 v5, v47, v5
	v_or_b32_e32 v56, v59, v56
	v_mul_f32_e32 v44, v41, v45
	v_mul_f32_e32 v45, v41, v46
	;; [unrolled: 1-line block ×3, first 2 shown]
	s_delay_alu instid0(VALU_DEP_4) | instskip(NEXT) | instid1(VALU_DEP_1)
	v_dual_mul_f32 v5, v41, v5 :: v_dual_and_b32 v56, 0xffff, v56
	v_or_b32_e32 v54, v56, v57
	s_clause 0x1
	global_store_b128 v[8:9], v[4:7], off
	global_store_b128 v[8:9], v[43:46], off offset:16
	global_store_b64 v[18:19], v[53:54], off
	s_waitcnt_vscnt null, 0x0
	s_barrier
	buffer_gl0_inv
	s_and_not1_b32 exec_lo, exec_lo, s17
	s_cbranch_execz .LBB92_25
.LBB92_6:                               ; =>This Inner Loop Header: Depth=1
	v_add_co_u32 v6, vcc_lo, v21, 1
	s_delay_alu instid0(VALU_DEP_1) | instskip(SKIP_2) | instid1(VALU_DEP_1)
	v_cndmask_b32_e64 v4, 0, 1, vcc_lo
	v_add_co_ci_u32_e32 v20, vcc_lo, 0, v42, vcc_lo
	s_mov_b32 s0, exec_lo
	v_cmp_eq_u32_e32 vcc_lo, 0, v20
	s_delay_alu instid0(VALU_DEP_3) | instskip(SKIP_1) | instid1(VALU_DEP_2)
	v_cndmask_b32_e32 v7, 0, v4, vcc_lo
	v_mad_u64_u32 v[4:5], null, 0xd2511f53, v6, 0
	v_add_nc_u32_e32 v14, v7, v14
	s_delay_alu instid0(VALU_DEP_2) | instskip(NEXT) | instid1(VALU_DEP_2)
	v_xor_b32_e32 v8, v5, v11
	v_cmp_eq_u32_e32 vcc_lo, 0, v14
	v_cndmask_b32_e32 v7, 0, v7, vcc_lo
	v_mad_u64_u32 v[5:6], null, 0xcd9e8d57, v14, 0
	s_delay_alu instid0(VALU_DEP_2) | instskip(NEXT) | instid1(VALU_DEP_2)
	v_add_nc_u32_e32 v15, v7, v15
	v_xor3_b32 v18, v6, v10, v20
	s_delay_alu instid0(VALU_DEP_2) | instskip(NEXT) | instid1(VALU_DEP_1)
	v_xor_b32_e32 v8, v15, v8
	v_mad_u64_u32 v[6:7], null, 0xcd9e8d57, v8, 0
	s_delay_alu instid0(VALU_DEP_3) | instskip(NEXT) | instid1(VALU_DEP_2)
	v_mad_u64_u32 v[8:9], null, 0xd2511f53, v18, 0
	v_xor3_b32 v7, v23, v7, v5
	s_delay_alu instid0(VALU_DEP_2) | instskip(NEXT) | instid1(VALU_DEP_2)
	v_xor3_b32 v9, v22, v9, v4
	v_mad_u64_u32 v[4:5], null, 0xd2511f53, v7, 0
	s_delay_alu instid0(VALU_DEP_2) | instskip(NEXT) | instid1(VALU_DEP_2)
	v_mad_u64_u32 v[18:19], null, 0xcd9e8d57, v9, 0
	v_xor3_b32 v7, v25, v5, v8
	s_delay_alu instid0(VALU_DEP_2) | instskip(NEXT) | instid1(VALU_DEP_2)
	v_xor3_b32 v9, v24, v19, v6
	v_mad_u64_u32 v[5:6], null, 0xcd9e8d57, v7, 0
	s_delay_alu instid0(VALU_DEP_2) | instskip(NEXT) | instid1(VALU_DEP_2)
	;; [unrolled: 6-line block ×8, first 2 shown]
	v_mad_u64_u32 v[18:19], null, 0xd2511f53, v4, 0
	v_xor3_b32 v43, v9, v42, v39
	s_delay_alu instid0(VALU_DEP_2)
	v_xor3_b32 v9, v19, v5, v40
                                        ; implicit-def: $vgpr4_vgpr5_vgpr6_vgpr7
	v_cmpx_lt_i32_e32 1, v38
	s_xor_b32 s0, exec_lo, s0
	s_cbranch_execz .LBB92_12
; %bb.7:                                ;   in Loop: Header=BB92_6 Depth=1
	s_mov_b32 s1, exec_lo
                                        ; implicit-def: $vgpr4_vgpr5_vgpr6_vgpr7
	v_cmpx_lt_i32_e32 2, v38
	s_xor_b32 s1, exec_lo, s1
; %bb.8:                                ;   in Loop: Header=BB92_6 Depth=1
	v_mov_b32_e32 v6, v3
	v_mov_b32_e32 v7, v43
                                        ; implicit-def: $vgpr0_vgpr1_vgpr2_vgpr3
	s_delay_alu instid0(VALU_DEP_2) | instskip(NEXT) | instid1(VALU_DEP_2)
	v_mov_b32_e32 v4, v6
	v_dual_mov_b32 v5, v7 :: v_dual_mov_b32 v6, v8
	v_mov_b32_e32 v7, v9
; %bb.9:                                ;   in Loop: Header=BB92_6 Depth=1
	s_and_not1_saveexec_b32 s1, s1
; %bb.10:                               ;   in Loop: Header=BB92_6 Depth=1
	v_dual_mov_b32 v4, v2 :: v_dual_mov_b32 v5, v3
	v_dual_mov_b32 v6, v43 :: v_dual_mov_b32 v7, v8
; %bb.11:                               ;   in Loop: Header=BB92_6 Depth=1
	s_or_b32 exec_lo, exec_lo, s1
                                        ; implicit-def: $vgpr0_vgpr1_vgpr2_vgpr3
.LBB92_12:                              ;   in Loop: Header=BB92_6 Depth=1
	s_and_not1_saveexec_b32 s0, s0
	s_cbranch_execz .LBB92_16
; %bb.13:                               ;   in Loop: Header=BB92_6 Depth=1
	s_mov_b32 s1, exec_lo
	v_cmpx_eq_u32_e32 1, v38
; %bb.14:                               ;   in Loop: Header=BB92_6 Depth=1
	v_dual_mov_b32 v0, v1 :: v_dual_mov_b32 v1, v2
	v_mov_b32_e32 v2, v3
	v_mov_b32_e32 v3, v43
; %bb.15:                               ;   in Loop: Header=BB92_6 Depth=1
	s_or_b32 exec_lo, exec_lo, s1
	s_delay_alu instid0(VALU_DEP_1)
	v_dual_mov_b32 v7, v3 :: v_dual_mov_b32 v6, v2
	v_dual_mov_b32 v5, v1 :: v_dual_mov_b32 v4, v0
.LBB92_16:                              ;   in Loop: Header=BB92_6 Depth=1
	s_or_b32 exec_lo, exec_lo, s0
	v_add_nc_u32_e32 v21, 2, v21
	s_mov_b32 s0, exec_lo
	s_delay_alu instid0(VALU_DEP_1) | instskip(SKIP_2) | instid1(VALU_DEP_1)
	v_cmp_eq_u32_e32 vcc_lo, 0, v21
	v_cndmask_b32_e64 v0, 0, 1, vcc_lo
	v_add_co_ci_u32_e32 v42, vcc_lo, 0, v20, vcc_lo
	v_cmp_eq_u32_e32 vcc_lo, 0, v42
	s_delay_alu instid0(VALU_DEP_3) | instskip(NEXT) | instid1(VALU_DEP_1)
	v_cndmask_b32_e32 v0, 0, v0, vcc_lo
	v_add_nc_u32_e32 v14, v0, v14
	s_delay_alu instid0(VALU_DEP_1) | instskip(SKIP_2) | instid1(VALU_DEP_2)
	v_cmp_eq_u32_e32 vcc_lo, 0, v14
	v_mad_u64_u32 v[2:3], null, 0xcd9e8d57, v14, 0
	v_cndmask_b32_e32 v0, 0, v0, vcc_lo
	v_xor3_b32 v3, v3, v10, v42
	s_delay_alu instid0(VALU_DEP_2) | instskip(SKIP_1) | instid1(VALU_DEP_3)
	v_add_nc_u32_e32 v15, v0, v15
	v_mad_u64_u32 v[0:1], null, 0xd2511f53, v21, 0
	v_mad_u64_u32 v[44:45], null, 0xd2511f53, v3, 0
	s_delay_alu instid0(VALU_DEP_2) | instskip(NEXT) | instid1(VALU_DEP_1)
	v_xor_b32_e32 v1, v1, v11
	v_xor_b32_e32 v1, v15, v1
	s_delay_alu instid0(VALU_DEP_1) | instskip(NEXT) | instid1(VALU_DEP_1)
	v_mad_u64_u32 v[19:20], null, 0xcd9e8d57, v1, 0
	v_xor3_b32 v2, v23, v20, v2
	v_xor3_b32 v20, v22, v45, v0
	s_delay_alu instid0(VALU_DEP_2) | instskip(NEXT) | instid1(VALU_DEP_2)
	v_mad_u64_u32 v[0:1], null, 0xd2511f53, v2, 0
	v_mad_u64_u32 v[2:3], null, 0xcd9e8d57, v20, 0
	s_delay_alu instid0(VALU_DEP_2) | instskip(NEXT) | instid1(VALU_DEP_2)
	v_xor3_b32 v1, v25, v1, v44
	v_xor3_b32 v3, v24, v3, v19
	s_delay_alu instid0(VALU_DEP_2) | instskip(NEXT) | instid1(VALU_DEP_2)
	v_mad_u64_u32 v[19:20], null, 0xcd9e8d57, v1, 0
	v_mad_u64_u32 v[44:45], null, 0xd2511f53, v3, 0
	s_delay_alu instid0(VALU_DEP_2) | instskip(NEXT) | instid1(VALU_DEP_2)
	;; [unrolled: 6-line block ×7, first 2 shown]
	v_xor3_b32 v3, v37, v46, v44
	v_xor3_b32 v44, v36, v1, v19
	s_delay_alu instid0(VALU_DEP_2) | instskip(NEXT) | instid1(VALU_DEP_2)
	v_mad_u64_u32 v[1:2], null, 0xcd9e8d57, v3, 0
	v_mad_u64_u32 v[19:20], null, 0xd2511f53, v44, 0
                                        ; implicit-def: $vgpr44
	s_delay_alu instid0(VALU_DEP_2) | instskip(NEXT) | instid1(VALU_DEP_2)
	v_xor3_b32 v0, v2, v0, v39
	v_xor3_b32 v2, v20, v45, v40
                                        ; implicit-def: $vgpr20
                                        ; implicit-def: $vgpr45
	v_cmpx_lt_i32_e32 1, v38
	s_xor_b32 s0, exec_lo, s0
	s_cbranch_execz .LBB92_22
; %bb.17:                               ;   in Loop: Header=BB92_6 Depth=1
	s_mov_b32 s1, exec_lo
	v_cmpx_lt_i32_e32 2, v38
	s_xor_b32 s1, exec_lo, s1
; %bb.18:                               ;   in Loop: Header=BB92_6 Depth=1
                                        ; implicit-def: $vgpr9
; %bb.19:                               ;   in Loop: Header=BB92_6 Depth=1
	s_delay_alu instid0(SALU_CYCLE_1)
	s_or_saveexec_b32 s1, s1
	v_dual_mov_b32 v20, v2 :: v_dual_mov_b32 v45, v0
	v_mov_b32_e32 v44, v1
	s_xor_b32 exec_lo, exec_lo, s1
; %bb.20:                               ;   in Loop: Header=BB92_6 Depth=1
	v_dual_mov_b32 v20, v1 :: v_dual_mov_b32 v45, v18
	v_mov_b32_e32 v44, v0
	v_mov_b32_e32 v18, v9
; %bb.21:                               ;   in Loop: Header=BB92_6 Depth=1
	s_or_b32 exec_lo, exec_lo, s1
                                        ; implicit-def: $vgpr9
                                        ; implicit-def: $vgpr43
.LBB92_22:                              ;   in Loop: Header=BB92_6 Depth=1
	s_and_not1_saveexec_b32 s0, s0
	s_cbranch_execz .LBB92_5
; %bb.23:                               ;   in Loop: Header=BB92_6 Depth=1
	s_delay_alu instid0(VALU_DEP_1)
	v_dual_mov_b32 v20, v18 :: v_dual_mov_b32 v45, v8
	v_mov_b32_e32 v44, v9
	s_mov_b32 s1, exec_lo
	v_cmpx_eq_u32_e32 1, v38
	s_cbranch_execz .LBB92_4
; %bb.24:                               ;   in Loop: Header=BB92_6 Depth=1
	v_dual_mov_b32 v20, v0 :: v_dual_mov_b32 v45, v9
	v_dual_mov_b32 v44, v18 :: v_dual_mov_b32 v43, v8
	s_branch .LBB92_4
.LBB92_25:
	s_endpgm
	.section	.rodata,"a",@progbits
	.p2align	6, 0x0
	.amdhsa_kernel _ZN2at6native12_GLOBAL__N_124fused_dropout_kernel_vecIffmLi1ELi8EhEEvNS_4cuda6detail10TensorInfoIKT_T1_EENS5_IS6_S8_EENS5_IT4_S8_EES8_T0_NS_15PhiloxCudaStateE
		.amdhsa_group_segment_fixed_size 0
		.amdhsa_private_segment_fixed_size 0
		.amdhsa_kernarg_size 1552
		.amdhsa_user_sgpr_count 15
		.amdhsa_user_sgpr_dispatch_ptr 0
		.amdhsa_user_sgpr_queue_ptr 0
		.amdhsa_user_sgpr_kernarg_segment_ptr 1
		.amdhsa_user_sgpr_dispatch_id 0
		.amdhsa_user_sgpr_private_segment_size 0
		.amdhsa_wavefront_size32 1
		.amdhsa_uses_dynamic_stack 0
		.amdhsa_enable_private_segment 0
		.amdhsa_system_sgpr_workgroup_id_x 1
		.amdhsa_system_sgpr_workgroup_id_y 0
		.amdhsa_system_sgpr_workgroup_id_z 0
		.amdhsa_system_sgpr_workgroup_info 0
		.amdhsa_system_vgpr_workitem_id 0
		.amdhsa_next_free_vgpr 62
		.amdhsa_next_free_sgpr 20
		.amdhsa_reserve_vcc 1
		.amdhsa_float_round_mode_32 0
		.amdhsa_float_round_mode_16_64 0
		.amdhsa_float_denorm_mode_32 3
		.amdhsa_float_denorm_mode_16_64 3
		.amdhsa_dx10_clamp 1
		.amdhsa_ieee_mode 1
		.amdhsa_fp16_overflow 0
		.amdhsa_workgroup_processor_mode 1
		.amdhsa_memory_ordered 1
		.amdhsa_forward_progress 0
		.amdhsa_shared_vgpr_count 0
		.amdhsa_exception_fp_ieee_invalid_op 0
		.amdhsa_exception_fp_denorm_src 0
		.amdhsa_exception_fp_ieee_div_zero 0
		.amdhsa_exception_fp_ieee_overflow 0
		.amdhsa_exception_fp_ieee_underflow 0
		.amdhsa_exception_fp_ieee_inexact 0
		.amdhsa_exception_int_div_zero 0
	.end_amdhsa_kernel
	.section	.text._ZN2at6native12_GLOBAL__N_124fused_dropout_kernel_vecIffmLi1ELi8EhEEvNS_4cuda6detail10TensorInfoIKT_T1_EENS5_IS6_S8_EENS5_IT4_S8_EES8_T0_NS_15PhiloxCudaStateE,"axG",@progbits,_ZN2at6native12_GLOBAL__N_124fused_dropout_kernel_vecIffmLi1ELi8EhEEvNS_4cuda6detail10TensorInfoIKT_T1_EENS5_IS6_S8_EENS5_IT4_S8_EES8_T0_NS_15PhiloxCudaStateE,comdat
.Lfunc_end92:
	.size	_ZN2at6native12_GLOBAL__N_124fused_dropout_kernel_vecIffmLi1ELi8EhEEvNS_4cuda6detail10TensorInfoIKT_T1_EENS5_IS6_S8_EENS5_IT4_S8_EES8_T0_NS_15PhiloxCudaStateE, .Lfunc_end92-_ZN2at6native12_GLOBAL__N_124fused_dropout_kernel_vecIffmLi1ELi8EhEEvNS_4cuda6detail10TensorInfoIKT_T1_EENS5_IS6_S8_EENS5_IT4_S8_EES8_T0_NS_15PhiloxCudaStateE
                                        ; -- End function
	.section	.AMDGPU.csdata,"",@progbits
; Kernel info:
; codeLenInByte = 2996
; NumSgprs: 22
; NumVgprs: 62
; ScratchSize: 0
; MemoryBound: 0
; FloatMode: 240
; IeeeMode: 1
; LDSByteSize: 0 bytes/workgroup (compile time only)
; SGPRBlocks: 2
; VGPRBlocks: 7
; NumSGPRsForWavesPerEU: 22
; NumVGPRsForWavesPerEU: 62
; Occupancy: 16
; WaveLimiterHint : 1
; COMPUTE_PGM_RSRC2:SCRATCH_EN: 0
; COMPUTE_PGM_RSRC2:USER_SGPR: 15
; COMPUTE_PGM_RSRC2:TRAP_HANDLER: 0
; COMPUTE_PGM_RSRC2:TGID_X_EN: 1
; COMPUTE_PGM_RSRC2:TGID_Y_EN: 0
; COMPUTE_PGM_RSRC2:TGID_Z_EN: 0
; COMPUTE_PGM_RSRC2:TIDIG_COMP_CNT: 0
	.section	.text._ZN2at6native12_GLOBAL__N_124fused_dropout_kernel_vecIffmLi1ELi4EhEEvNS_4cuda6detail10TensorInfoIKT_T1_EENS5_IS6_S8_EENS5_IT4_S8_EES8_T0_NS_15PhiloxCudaStateE,"axG",@progbits,_ZN2at6native12_GLOBAL__N_124fused_dropout_kernel_vecIffmLi1ELi4EhEEvNS_4cuda6detail10TensorInfoIKT_T1_EENS5_IS6_S8_EENS5_IT4_S8_EES8_T0_NS_15PhiloxCudaStateE,comdat
	.globl	_ZN2at6native12_GLOBAL__N_124fused_dropout_kernel_vecIffmLi1ELi4EhEEvNS_4cuda6detail10TensorInfoIKT_T1_EENS5_IS6_S8_EENS5_IT4_S8_EES8_T0_NS_15PhiloxCudaStateE ; -- Begin function _ZN2at6native12_GLOBAL__N_124fused_dropout_kernel_vecIffmLi1ELi4EhEEvNS_4cuda6detail10TensorInfoIKT_T1_EENS5_IS6_S8_EENS5_IT4_S8_EES8_T0_NS_15PhiloxCudaStateE
	.p2align	8
	.type	_ZN2at6native12_GLOBAL__N_124fused_dropout_kernel_vecIffmLi1ELi4EhEEvNS_4cuda6detail10TensorInfoIKT_T1_EENS5_IS6_S8_EENS5_IT4_S8_EES8_T0_NS_15PhiloxCudaStateE,@function
_ZN2at6native12_GLOBAL__N_124fused_dropout_kernel_vecIffmLi1ELi4EhEEvNS_4cuda6detail10TensorInfoIKT_T1_EENS5_IS6_S8_EENS5_IT4_S8_EES8_T0_NS_15PhiloxCudaStateE: ; @_ZN2at6native12_GLOBAL__N_124fused_dropout_kernel_vecIffmLi1ELi4EhEEvNS_4cuda6detail10TensorInfoIKT_T1_EENS5_IS6_S8_EENS5_IT4_S8_EES8_T0_NS_15PhiloxCudaStateE
; %bb.0:
	s_clause 0x1
	s_load_b128 s[4:7], s[0:1], 0x4f0
	s_load_b32 s2, s[0:1], 0x508
	s_waitcnt lgkmcnt(0)
	v_dual_mov_b32 v1, s6 :: v_dual_mov_b32 v2, s7
	v_dual_mov_b32 v12, s5 :: v_dual_mov_b32 v11, s4
	s_bitcmp0_b32 s2, 0
	s_cbranch_scc1 .LBB93_2
; %bb.1:
	v_dual_mov_b32 v1, s6 :: v_dual_mov_b32 v2, s7
	v_dual_mov_b32 v3, s4 :: v_dual_mov_b32 v4, s5
	s_load_b64 s[2:3], s[0:1], 0x500
	flat_load_b64 v[1:2], v[1:2]
	flat_load_b64 v[11:12], v[3:4]
	s_waitcnt vmcnt(1) lgkmcnt(0)
	v_add_co_u32 v1, vcc_lo, v1, s2
	v_add_co_ci_u32_e32 v2, vcc_lo, s3, v2, vcc_lo
.LBB93_2:
	s_clause 0x1
	s_load_b32 s4, s[0:1], 0x51c
	s_load_b64 s[2:3], s[0:1], 0x4e0
	s_add_u32 s10, s0, 0x510
	s_addc_u32 s11, s1, 0
	s_waitcnt lgkmcnt(0)
	s_and_b32 s12, s4, 0xffff
	s_mov_b32 s4, exec_lo
	v_mad_u64_u32 v[13:14], null, s15, s12, v[0:1]
	v_mov_b32_e32 v14, 0
	s_delay_alu instid0(VALU_DEP_1) | instskip(NEXT) | instid1(VALU_DEP_1)
	v_lshlrev_b64 v[15:16], 2, v[13:14]
	v_cmpx_gt_u64_e64 s[2:3], v[15:16]
	s_cbranch_execz .LBB93_15
; %bb.3:
	v_alignbit_b32 v21, v2, v1, 2
	v_mad_u64_u32 v[3:4], null, 0xcd9e8d57, v13, 0
	v_lshrrev_b32_e32 v22, 2, v2
	s_waitcnt vmcnt(0)
	v_mov_b32_e32 v10, v12
	v_mad_u64_u32 v[5:6], null, 0xd2511f53, v21, 0
	v_add_co_u32 v24, null, 0x9e3779b9, v11
	v_xor3_b32 v0, v11, v4, v22
	s_delay_alu instid0(VALU_DEP_4) | instskip(SKIP_2) | instid1(VALU_DEP_4)
	v_add_co_u32 v23, null, 0xbb67ae85, v10
	v_add_co_u32 v25, null, 0x3c6ef372, v11
	v_xor_b32_e32 v2, v6, v12
	v_mad_u64_u32 v[6:7], null, 0xd2511f53, v0, 0
	v_add_co_u32 v26, null, 0x76cf5d0a, v10
	s_delay_alu instid0(VALU_DEP_3) | instskip(SKIP_1) | instid1(VALU_DEP_4)
	v_mad_u64_u32 v[8:9], null, 0xcd9e8d57, v2, 0
	v_add_co_u32 v27, null, 0x32370b8f, v10
	v_xor3_b32 v0, v23, v7, v5
	v_add_co_u32 v28, null, 0xdaa66d2b, v11
	s_load_b32 s14, s[0:1], 0x4e8
	s_delay_alu instid0(VALU_DEP_4) | instskip(NEXT) | instid1(VALU_DEP_3)
	v_xor3_b32 v7, v9, v24, v3
	v_mad_u64_u32 v[2:3], null, 0xcd9e8d57, v0, 0
	v_add_co_u32 v29, null, 0x78dde6e4, v11
	s_delay_alu instid0(VALU_DEP_3) | instskip(SKIP_1) | instid1(VALU_DEP_4)
	v_mad_u64_u32 v[4:5], null, 0xd2511f53, v7, 0
	v_add_co_u32 v30, null, 0xed9eba14, v10
	v_xor3_b32 v0, v25, v3, v8
	v_add_co_u32 v32, null, 0x1715609d, v11
	v_add_co_u32 v31, null, 0xa9066899, v10
	v_xor3_b32 v3, v5, v26, v6
	s_delay_alu instid0(VALU_DEP_4) | instskip(SKIP_1) | instid1(VALU_DEP_3)
	v_mad_u64_u32 v[5:6], null, 0xd2511f53, v0, 0
	v_add_co_u32 v33, null, 0xb54cda56, v11
	v_mad_u64_u32 v[7:8], null, 0xcd9e8d57, v3, 0
	v_add_co_u32 v34, null, 0x5384540f, v11
	s_delay_alu instid0(VALU_DEP_4)
	v_xor3_b32 v0, v27, v6, v4
	s_waitcnt lgkmcnt(0)
	v_div_scale_f32 v18, vcc_lo, 1.0, s14, 1.0
	s_clause 0x2
	s_load_b64 s[4:5], s[0:1], 0x0
	s_load_b64 s[6:7], s[0:1], 0x1a0
	;; [unrolled: 1-line block ×3, first 2 shown]
	v_xor3_b32 v4, v8, v28, v2
	v_mad_u64_u32 v[2:3], null, 0xcd9e8d57, v0, 0
	s_load_b32 s0, s[10:11], 0x0
	v_add_co_u32 v37, null, 0xf1bbcdc8, v11
	s_delay_alu instid0(VALU_DEP_3) | instskip(SKIP_1) | instid1(VALU_DEP_4)
	v_mad_u64_u32 v[8:9], null, 0xd2511f53, v4, 0
	v_and_b32_e32 v39, 3, v1
	v_xor3_b32 v0, v29, v3, v7
	v_add_nc_u32_e32 v41, 0x96a522ad, v12
	s_mov_b32 s11, 0
	v_add_nc_u32_e32 v40, 0x8ff34781, v11
	v_xor3_b32 v7, v9, v30, v5
	v_mad_u64_u32 v[3:4], null, 0xd2511f53, v0, 0
	v_div_scale_f32 v0, null, s14, s14, 1.0
	s_delay_alu instid0(VALU_DEP_3) | instskip(NEXT) | instid1(VALU_DEP_2)
	v_mad_u64_u32 v[5:6], null, 0xcd9e8d57, v7, 0
	v_rcp_f32_e32 v17, v0
	s_delay_alu instid0(VALU_DEP_3) | instskip(SKIP_2) | instid1(SALU_CYCLE_1)
	v_xor3_b32 v4, v31, v4, v8
	s_waitcnt lgkmcnt(0)
	s_mul_i32 s0, s0, s12
	s_lshl_b32 s10, s0, 2
	s_delay_alu instid0(VALU_DEP_2) | instskip(SKIP_2) | instid1(VALU_DEP_2)
	v_xor3_b32 v2, v6, v32, v2
	v_mad_u64_u32 v[6:7], null, 0xcd9e8d57, v4, 0
	s_lshl_b64 s[12:13], s[10:11], 2
	v_mad_u64_u32 v[8:9], null, 0xd2511f53, v2, 0
	s_waitcnt_depctr 0xfff
	v_fma_f32 v2, -v0, v17, 1.0
	v_xor3_b32 v4, v33, v7, v5
	s_delay_alu instid0(VALU_DEP_2) | instskip(SKIP_3) | instid1(VALU_DEP_3)
	v_fmac_f32_e32 v17, v2, v17
	v_add_co_u32 v35, null, 0x646e171e, v10
	v_add_co_u32 v36, null, 0x1fd5c5a3, v10
	;; [unrolled: 1-line block ×3, first 2 shown]
	v_xor3_b32 v7, v9, v35, v3
	v_mad_u64_u32 v[2:3], null, 0xd2511f53, v4, 0
	v_mul_f32_e32 v9, v18, v17
	s_delay_alu instid0(VALU_DEP_3) | instskip(NEXT) | instid1(VALU_DEP_2)
	v_mad_u64_u32 v[4:5], null, 0xcd9e8d57, v7, 0
	v_fma_f32 v20, -v0, v9, v18
	s_delay_alu instid0(VALU_DEP_4) | instskip(NEXT) | instid1(VALU_DEP_3)
	v_xor3_b32 v3, v36, v3, v8
	v_xor3_b32 v19, v5, v34, v6
	s_delay_alu instid0(VALU_DEP_2) | instskip(NEXT) | instid1(VALU_DEP_4)
	v_mad_u64_u32 v[5:6], null, 0xcd9e8d57, v3, 0
	v_fmac_f32_e32 v9, v20, v17
	s_delay_alu instid0(VALU_DEP_3) | instskip(NEXT) | instid1(VALU_DEP_2)
	v_mad_u64_u32 v[7:8], null, 0xd2511f53, v19, 0
	v_fma_f32 v0, -v0, v9, v18
	s_delay_alu instid0(VALU_DEP_4) | instskip(NEXT) | instid1(VALU_DEP_3)
	v_xor3_b32 v6, v37, v6, v4
	v_xor3_b32 v8, v8, v38, v2
	s_delay_alu instid0(VALU_DEP_2) | instskip(NEXT) | instid1(VALU_DEP_4)
	v_mad_u64_u32 v[3:4], null, 0xd2511f53, v6, 0
	v_div_fmas_f32 v0, v0, v17, v9
	v_lshlrev_b64 v[17:18], 4, v[13:14]
	s_delay_alu instid0(VALU_DEP_4) | instskip(NEXT) | instid1(VALU_DEP_3)
	v_mad_u64_u32 v[1:2], null, 0xcd9e8d57, v8, 0
	v_div_fixup_f32 v42, v0, s14, 1.0
	s_delay_alu instid0(VALU_DEP_2)
	v_xor3_b32 v0, v5, v2, v40
	v_xor3_b32 v2, v4, v7, v41
	s_branch .LBB93_6
.LBB93_4:                               ;   in Loop: Header=BB93_6 Depth=1
	s_or_b32 exec_lo, exec_lo, s1
.LBB93_5:                               ;   in Loop: Header=BB93_6 Depth=1
	s_delay_alu instid0(SALU_CYCLE_1)
	s_or_b32 exec_lo, exec_lo, s0
	v_add_co_u32 v7, vcc_lo, s4, v17
	v_add_co_ci_u32_e32 v8, vcc_lo, s5, v18, vcc_lo
	v_cvt_f32_u32_e32 v0, v0
	v_cvt_f32_u32_e32 v1, v1
	;; [unrolled: 1-line block ×3, first 2 shown]
	global_load_b128 v[43:46], v[7:8], off
	v_dual_mov_b32 v7, v19 :: v_dual_fmaak_f32 v0, 0x2f800000, v0, 0x2f800000
	v_add_co_u32 v8, vcc_lo, s6, v17
	v_add_co_ci_u32_e32 v9, vcc_lo, s7, v18, vcc_lo
	s_delay_alu instid0(VALU_DEP_3) | instskip(SKIP_3) | instid1(VALU_DEP_4)
	v_cmp_gt_f32_e64 s0, s14, v0
	v_add_co_u32 v19, vcc_lo, s8, v15
	v_cvt_f32_u32_e32 v2, v2
	v_fmaak_f32 v1, 0x2f800000, v1, 0x2f800000
	v_cndmask_b32_e64 v0, 0, 1.0, s0
	v_fmaak_f32 v3, 0x2f800000, v3, 0x2f800000
	v_add_co_ci_u32_e32 v20, vcc_lo, s9, v16, vcc_lo
	v_add_co_u32 v15, vcc_lo, v15, s10
	v_add_co_ci_u32_e32 v16, vcc_lo, 0, v16, vcc_lo
	v_fmaak_f32 v2, 0x2f800000, v2, 0x2f800000
	v_cmp_gt_f32_e32 vcc_lo, s14, v1
	v_cndmask_b32_e64 v47, 0, 1, s0
	s_add_u32 s6, s6, s12
	s_addc_u32 s7, s7, s13
	s_add_u32 s4, s4, s12
	v_cndmask_b32_e64 v1, 0, 1.0, vcc_lo
	s_addc_u32 s5, s5, s13
	s_waitcnt vmcnt(0)
	v_mul_f32_e32 v0, v43, v0
	v_cmp_gt_f32_e64 s1, s14, v3
	v_cndmask_b32_e64 v3, 0, 1, vcc_lo
	v_cmp_gt_f32_e32 vcc_lo, s14, v2
	s_delay_alu instid0(VALU_DEP_4) | instskip(NEXT) | instid1(VALU_DEP_4)
	v_mul_f32_e32 v43, v42, v0
	v_cndmask_b32_e64 v2, 0, 1, s1
	s_delay_alu instid0(VALU_DEP_4)
	v_lshlrev_b16 v3, 8, v3
	v_cndmask_b32_e64 v49, 0, 1, vcc_lo
	v_cndmask_b32_e64 v10, 0, 1.0, s1
	v_cndmask_b32_e64 v48, 0, 1.0, vcc_lo
	v_lshlrev_b16 v2, 8, v2
	v_or_b32_e32 v3, v47, v3
	v_cmp_le_u64_e32 vcc_lo, s[2:3], v[15:16]
	v_mul_f32_e32 v10, v46, v10
	s_delay_alu instid0(VALU_DEP_4) | instskip(NEXT) | instid1(VALU_DEP_4)
	v_or_b32_e32 v2, v49, v2
	v_and_b32_e32 v3, 0xffff, v3
	v_mul_f32_e32 v1, v44, v1
	s_or_b32 s11, vcc_lo, s11
	v_mul_f32_e32 v46, v42, v10
	v_dual_mul_f32 v45, v45, v48 :: v_dual_lshlrev_b32 v2, 16, v2
	s_delay_alu instid0(VALU_DEP_3) | instskip(NEXT) | instid1(VALU_DEP_2)
	v_mul_f32_e32 v44, v42, v1
	v_or_b32_e32 v10, v3, v2
	s_delay_alu instid0(VALU_DEP_3)
	v_dual_mov_b32 v0, v4 :: v_dual_mul_f32 v45, v42, v45
	v_dual_mov_b32 v1, v5 :: v_dual_mov_b32 v2, v6
	v_mov_b32_e32 v3, v7
	global_store_b128 v[8:9], v[43:46], off
	global_store_b32 v[19:20], v10, off
	s_waitcnt_vscnt null, 0x0
	s_barrier
	buffer_gl0_inv
	s_and_not1_b32 exec_lo, exec_lo, s11
	s_cbranch_execz .LBB93_15
.LBB93_6:                               ; =>This Inner Loop Header: Depth=1
	v_add_co_u32 v21, vcc_lo, v21, 1
	s_delay_alu instid0(VALU_DEP_1) | instskip(SKIP_2) | instid1(VALU_DEP_1)
	v_cndmask_b32_e64 v4, 0, 1, vcc_lo
	v_add_co_ci_u32_e32 v22, vcc_lo, 0, v22, vcc_lo
	s_mov_b32 s0, exec_lo
	v_cmp_eq_u32_e32 vcc_lo, 0, v22
	s_delay_alu instid0(VALU_DEP_3) | instskip(NEXT) | instid1(VALU_DEP_1)
	v_cndmask_b32_e32 v4, 0, v4, vcc_lo
	v_add_nc_u32_e32 v13, v4, v13
	s_delay_alu instid0(VALU_DEP_1) | instskip(SKIP_2) | instid1(VALU_DEP_2)
	v_cmp_eq_u32_e32 vcc_lo, 0, v13
	v_cndmask_b32_e32 v4, 0, v4, vcc_lo
	v_mad_u64_u32 v[6:7], null, 0xcd9e8d57, v13, 0
	v_add_nc_u32_e32 v14, v4, v14
	v_mad_u64_u32 v[4:5], null, 0xd2511f53, v21, 0
	s_delay_alu instid0(VALU_DEP_3) | instskip(NEXT) | instid1(VALU_DEP_2)
	v_xor3_b32 v9, v7, v11, v22
	v_xor_b32_e32 v5, v5, v12
	s_delay_alu instid0(VALU_DEP_2) | instskip(NEXT) | instid1(VALU_DEP_2)
	v_mad_u64_u32 v[7:8], null, 0xd2511f53, v9, 0
	v_xor_b32_e32 v5, v14, v5
	s_delay_alu instid0(VALU_DEP_2) | instskip(NEXT) | instid1(VALU_DEP_2)
	v_xor3_b32 v8, v23, v8, v4
	v_mad_u64_u32 v[9:10], null, 0xcd9e8d57, v5, 0
	s_delay_alu instid0(VALU_DEP_2) | instskip(NEXT) | instid1(VALU_DEP_2)
	v_mad_u64_u32 v[4:5], null, 0xcd9e8d57, v8, 0
	v_xor3_b32 v6, v24, v10, v6
	s_delay_alu instid0(VALU_DEP_2) | instskip(NEXT) | instid1(VALU_DEP_2)
	v_xor3_b32 v8, v25, v5, v9
	v_mad_u64_u32 v[19:20], null, 0xd2511f53, v6, 0
	s_delay_alu instid0(VALU_DEP_2) | instskip(NEXT) | instid1(VALU_DEP_2)
	v_mad_u64_u32 v[5:6], null, 0xd2511f53, v8, 0
	v_xor3_b32 v9, v26, v20, v7
	s_delay_alu instid0(VALU_DEP_2) | instskip(NEXT) | instid1(VALU_DEP_2)
	v_xor3_b32 v6, v27, v6, v19
	v_mad_u64_u32 v[7:8], null, 0xcd9e8d57, v9, 0
	s_delay_alu instid0(VALU_DEP_1) | instskip(NEXT) | instid1(VALU_DEP_3)
	v_xor3_b32 v4, v28, v8, v4
	v_mad_u64_u32 v[8:9], null, 0xcd9e8d57, v6, 0
	s_delay_alu instid0(VALU_DEP_2) | instskip(NEXT) | instid1(VALU_DEP_2)
	v_mad_u64_u32 v[19:20], null, 0xd2511f53, v4, 0
	v_xor3_b32 v6, v29, v9, v7
	s_delay_alu instid0(VALU_DEP_2) | instskip(NEXT) | instid1(VALU_DEP_2)
	v_xor3_b32 v9, v30, v20, v5
	v_mad_u64_u32 v[4:5], null, 0xd2511f53, v6, 0
	s_delay_alu instid0(VALU_DEP_2) | instskip(NEXT) | instid1(VALU_DEP_2)
	v_mad_u64_u32 v[6:7], null, 0xcd9e8d57, v9, 0
	v_xor3_b32 v5, v31, v5, v19
	s_delay_alu instid0(VALU_DEP_2) | instskip(NEXT) | instid1(VALU_DEP_2)
	;; [unrolled: 6-line block ×6, first 2 shown]
	v_xor3_b32 v4, v6, v7, v40
	v_mov_b32_e32 v6, v10
	v_cmpx_lt_i32_e32 1, v39
	s_xor_b32 s0, exec_lo, s0
	s_cbranch_execz .LBB93_12
; %bb.7:                                ;   in Loop: Header=BB93_6 Depth=1
	s_mov_b32 s1, exec_lo
	v_cmpx_lt_i32_e32 2, v39
	s_xor_b32 s1, exec_lo, s1
; %bb.8:                                ;   in Loop: Header=BB93_6 Depth=1
	v_dual_mov_b32 v7, v3 :: v_dual_mov_b32 v8, v4
	v_mov_b32_e32 v9, v5
	s_delay_alu instid0(VALU_DEP_2) | instskip(NEXT) | instid1(VALU_DEP_2)
	v_dual_mov_b32 v0, v7 :: v_dual_mov_b32 v1, v8
	v_dual_mov_b32 v2, v9 :: v_dual_mov_b32 v3, v10
; %bb.9:                                ;   in Loop: Header=BB93_6 Depth=1
	s_and_not1_saveexec_b32 s1, s1
; %bb.10:                               ;   in Loop: Header=BB93_6 Depth=1
	s_delay_alu instid0(VALU_DEP_1)
	v_dual_mov_b32 v0, v2 :: v_dual_mov_b32 v1, v3
	v_dual_mov_b32 v2, v4 :: v_dual_mov_b32 v3, v5
; %bb.11:                               ;   in Loop: Header=BB93_6 Depth=1
	s_or_b32 exec_lo, exec_lo, s1
.LBB93_12:                              ;   in Loop: Header=BB93_6 Depth=1
	s_and_not1_saveexec_b32 s0, s0
	s_cbranch_execz .LBB93_5
; %bb.13:                               ;   in Loop: Header=BB93_6 Depth=1
	s_mov_b32 s1, exec_lo
	v_cmpx_eq_u32_e32 1, v39
	s_cbranch_execz .LBB93_4
; %bb.14:                               ;   in Loop: Header=BB93_6 Depth=1
	v_dual_mov_b32 v0, v1 :: v_dual_mov_b32 v1, v2
	v_dual_mov_b32 v2, v3 :: v_dual_mov_b32 v3, v4
	s_branch .LBB93_4
.LBB93_15:
	s_endpgm
	.section	.rodata,"a",@progbits
	.p2align	6, 0x0
	.amdhsa_kernel _ZN2at6native12_GLOBAL__N_124fused_dropout_kernel_vecIffmLi1ELi4EhEEvNS_4cuda6detail10TensorInfoIKT_T1_EENS5_IS6_S8_EENS5_IT4_S8_EES8_T0_NS_15PhiloxCudaStateE
		.amdhsa_group_segment_fixed_size 0
		.amdhsa_private_segment_fixed_size 0
		.amdhsa_kernarg_size 1552
		.amdhsa_user_sgpr_count 15
		.amdhsa_user_sgpr_dispatch_ptr 0
		.amdhsa_user_sgpr_queue_ptr 0
		.amdhsa_user_sgpr_kernarg_segment_ptr 1
		.amdhsa_user_sgpr_dispatch_id 0
		.amdhsa_user_sgpr_private_segment_size 0
		.amdhsa_wavefront_size32 1
		.amdhsa_uses_dynamic_stack 0
		.amdhsa_enable_private_segment 0
		.amdhsa_system_sgpr_workgroup_id_x 1
		.amdhsa_system_sgpr_workgroup_id_y 0
		.amdhsa_system_sgpr_workgroup_id_z 0
		.amdhsa_system_sgpr_workgroup_info 0
		.amdhsa_system_vgpr_workitem_id 0
		.amdhsa_next_free_vgpr 50
		.amdhsa_next_free_sgpr 16
		.amdhsa_reserve_vcc 1
		.amdhsa_float_round_mode_32 0
		.amdhsa_float_round_mode_16_64 0
		.amdhsa_float_denorm_mode_32 3
		.amdhsa_float_denorm_mode_16_64 3
		.amdhsa_dx10_clamp 1
		.amdhsa_ieee_mode 1
		.amdhsa_fp16_overflow 0
		.amdhsa_workgroup_processor_mode 1
		.amdhsa_memory_ordered 1
		.amdhsa_forward_progress 0
		.amdhsa_shared_vgpr_count 0
		.amdhsa_exception_fp_ieee_invalid_op 0
		.amdhsa_exception_fp_denorm_src 0
		.amdhsa_exception_fp_ieee_div_zero 0
		.amdhsa_exception_fp_ieee_overflow 0
		.amdhsa_exception_fp_ieee_underflow 0
		.amdhsa_exception_fp_ieee_inexact 0
		.amdhsa_exception_int_div_zero 0
	.end_amdhsa_kernel
	.section	.text._ZN2at6native12_GLOBAL__N_124fused_dropout_kernel_vecIffmLi1ELi4EhEEvNS_4cuda6detail10TensorInfoIKT_T1_EENS5_IS6_S8_EENS5_IT4_S8_EES8_T0_NS_15PhiloxCudaStateE,"axG",@progbits,_ZN2at6native12_GLOBAL__N_124fused_dropout_kernel_vecIffmLi1ELi4EhEEvNS_4cuda6detail10TensorInfoIKT_T1_EENS5_IS6_S8_EENS5_IT4_S8_EES8_T0_NS_15PhiloxCudaStateE,comdat
.Lfunc_end93:
	.size	_ZN2at6native12_GLOBAL__N_124fused_dropout_kernel_vecIffmLi1ELi4EhEEvNS_4cuda6detail10TensorInfoIKT_T1_EENS5_IS6_S8_EENS5_IT4_S8_EES8_T0_NS_15PhiloxCudaStateE, .Lfunc_end93-_ZN2at6native12_GLOBAL__N_124fused_dropout_kernel_vecIffmLi1ELi4EhEEvNS_4cuda6detail10TensorInfoIKT_T1_EENS5_IS6_S8_EENS5_IT4_S8_EES8_T0_NS_15PhiloxCudaStateE
                                        ; -- End function
	.section	.AMDGPU.csdata,"",@progbits
; Kernel info:
; codeLenInByte = 2108
; NumSgprs: 18
; NumVgprs: 50
; ScratchSize: 0
; MemoryBound: 0
; FloatMode: 240
; IeeeMode: 1
; LDSByteSize: 0 bytes/workgroup (compile time only)
; SGPRBlocks: 2
; VGPRBlocks: 6
; NumSGPRsForWavesPerEU: 18
; NumVGPRsForWavesPerEU: 50
; Occupancy: 16
; WaveLimiterHint : 1
; COMPUTE_PGM_RSRC2:SCRATCH_EN: 0
; COMPUTE_PGM_RSRC2:USER_SGPR: 15
; COMPUTE_PGM_RSRC2:TRAP_HANDLER: 0
; COMPUTE_PGM_RSRC2:TGID_X_EN: 1
; COMPUTE_PGM_RSRC2:TGID_Y_EN: 0
; COMPUTE_PGM_RSRC2:TGID_Z_EN: 0
; COMPUTE_PGM_RSRC2:TIDIG_COMP_CNT: 0
	.section	.text._ZN2at6native12_GLOBAL__N_124fused_dropout_kernel_vecIffmLi1ELi2EhEEvNS_4cuda6detail10TensorInfoIKT_T1_EENS5_IS6_S8_EENS5_IT4_S8_EES8_T0_NS_15PhiloxCudaStateE,"axG",@progbits,_ZN2at6native12_GLOBAL__N_124fused_dropout_kernel_vecIffmLi1ELi2EhEEvNS_4cuda6detail10TensorInfoIKT_T1_EENS5_IS6_S8_EENS5_IT4_S8_EES8_T0_NS_15PhiloxCudaStateE,comdat
	.globl	_ZN2at6native12_GLOBAL__N_124fused_dropout_kernel_vecIffmLi1ELi2EhEEvNS_4cuda6detail10TensorInfoIKT_T1_EENS5_IS6_S8_EENS5_IT4_S8_EES8_T0_NS_15PhiloxCudaStateE ; -- Begin function _ZN2at6native12_GLOBAL__N_124fused_dropout_kernel_vecIffmLi1ELi2EhEEvNS_4cuda6detail10TensorInfoIKT_T1_EENS5_IS6_S8_EENS5_IT4_S8_EES8_T0_NS_15PhiloxCudaStateE
	.p2align	8
	.type	_ZN2at6native12_GLOBAL__N_124fused_dropout_kernel_vecIffmLi1ELi2EhEEvNS_4cuda6detail10TensorInfoIKT_T1_EENS5_IS6_S8_EENS5_IT4_S8_EES8_T0_NS_15PhiloxCudaStateE,@function
_ZN2at6native12_GLOBAL__N_124fused_dropout_kernel_vecIffmLi1ELi2EhEEvNS_4cuda6detail10TensorInfoIKT_T1_EENS5_IS6_S8_EENS5_IT4_S8_EES8_T0_NS_15PhiloxCudaStateE: ; @_ZN2at6native12_GLOBAL__N_124fused_dropout_kernel_vecIffmLi1ELi2EhEEvNS_4cuda6detail10TensorInfoIKT_T1_EENS5_IS6_S8_EENS5_IT4_S8_EES8_T0_NS_15PhiloxCudaStateE
; %bb.0:
	s_clause 0x1
	s_load_b128 s[4:7], s[0:1], 0x4f0
	s_load_b32 s2, s[0:1], 0x508
	s_waitcnt lgkmcnt(0)
	v_dual_mov_b32 v1, s6 :: v_dual_mov_b32 v2, s7
	v_dual_mov_b32 v9, s5 :: v_dual_mov_b32 v8, s4
	s_bitcmp0_b32 s2, 0
	s_cbranch_scc1 .LBB94_2
; %bb.1:
	v_dual_mov_b32 v1, s6 :: v_dual_mov_b32 v2, s7
	v_dual_mov_b32 v3, s4 :: v_dual_mov_b32 v4, s5
	s_load_b64 s[2:3], s[0:1], 0x500
	flat_load_b64 v[1:2], v[1:2]
	flat_load_b64 v[8:9], v[3:4]
	s_waitcnt vmcnt(1) lgkmcnt(0)
	v_add_co_u32 v1, vcc_lo, v1, s2
	v_add_co_ci_u32_e32 v2, vcc_lo, s3, v2, vcc_lo
.LBB94_2:
	s_clause 0x1
	s_load_b32 s4, s[0:1], 0x51c
	s_load_b64 s[2:3], s[0:1], 0x4e0
	s_add_u32 s10, s0, 0x510
	s_addc_u32 s11, s1, 0
	s_waitcnt lgkmcnt(0)
	s_and_b32 s12, s4, 0xffff
	s_mov_b32 s4, exec_lo
	v_mad_u64_u32 v[10:11], null, s15, s12, v[0:1]
	v_mov_b32_e32 v11, 0
	s_delay_alu instid0(VALU_DEP_1) | instskip(NEXT) | instid1(VALU_DEP_1)
	v_lshlrev_b64 v[12:13], 1, v[10:11]
	v_cmpx_gt_u64_e64 s[2:3], v[12:13]
	s_cbranch_execz .LBB94_15
; %bb.3:
	v_alignbit_b32 v18, v2, v1, 2
	v_mad_u64_u32 v[3:4], null, 0xcd9e8d57, v10, 0
	v_lshrrev_b32_e32 v19, 2, v2
	s_waitcnt vmcnt(0)
	v_mov_b32_e32 v16, v9
	v_mad_u64_u32 v[5:6], null, 0xd2511f53, v18, 0
	v_add_co_u32 v21, null, 0x9e3779b9, v8
	v_xor3_b32 v0, v8, v4, v19
	s_delay_alu instid0(VALU_DEP_4) | instskip(SKIP_2) | instid1(VALU_DEP_4)
	v_add_co_u32 v20, null, 0xbb67ae85, v16
	v_add_co_u32 v22, null, 0x3c6ef372, v8
	v_xor_b32_e32 v2, v6, v9
	v_mad_u64_u32 v[6:7], null, 0xd2511f53, v0, 0
	v_add_co_u32 v23, null, 0x76cf5d0a, v16
	s_delay_alu instid0(VALU_DEP_3) | instskip(SKIP_1) | instid1(VALU_DEP_4)
	v_mad_u64_u32 v[14:15], null, 0xcd9e8d57, v2, 0
	v_add_co_u32 v24, null, 0x32370b8f, v16
	v_xor3_b32 v0, v20, v7, v5
	v_add_co_u32 v25, null, 0xdaa66d2b, v8
	s_load_b32 s14, s[0:1], 0x4e8
	s_delay_alu instid0(VALU_DEP_4) | instskip(NEXT) | instid1(VALU_DEP_3)
	v_xor3_b32 v7, v15, v21, v3
	v_mad_u64_u32 v[2:3], null, 0xcd9e8d57, v0, 0
	v_add_co_u32 v26, null, 0x78dde6e4, v8
	s_delay_alu instid0(VALU_DEP_3) | instskip(SKIP_1) | instid1(VALU_DEP_4)
	v_mad_u64_u32 v[4:5], null, 0xd2511f53, v7, 0
	v_add_co_u32 v27, null, 0xed9eba14, v16
	v_xor3_b32 v0, v22, v3, v14
	v_add_co_u32 v28, null, 0xa9066899, v16
	v_add_co_u32 v29, null, 0x1715609d, v8
	v_xor3_b32 v3, v5, v23, v6
	s_delay_alu instid0(VALU_DEP_4) | instskip(SKIP_1) | instid1(VALU_DEP_3)
	v_mad_u64_u32 v[5:6], null, 0xd2511f53, v0, 0
	v_add_co_u32 v30, null, 0xb54cda56, v8
	v_mad_u64_u32 v[14:15], null, 0xcd9e8d57, v3, 0
	v_add_co_u32 v31, null, 0x5384540f, v8
	s_delay_alu instid0(VALU_DEP_4)
	v_xor3_b32 v0, v24, v6, v4
	s_waitcnt lgkmcnt(0)
	v_div_scale_f32 v37, vcc_lo, 1.0, s14, 1.0
	v_add_co_u32 v34, null, 0xf1bbcdc8, v8
	v_xor3_b32 v4, v15, v25, v2
	v_mad_u64_u32 v[2:3], null, 0xcd9e8d57, v0, 0
	s_clause 0x2
	s_load_b64 s[4:5], s[0:1], 0x0
	s_load_b64 s[6:7], s[0:1], 0x1a0
	;; [unrolled: 1-line block ×3, first 2 shown]
	s_load_b32 s0, s[10:11], 0x0
	v_mad_u64_u32 v[6:7], null, 0xd2511f53, v4, 0
	v_and_b32_e32 v36, 3, v1
	s_mov_b32 s11, 0
	v_xor3_b32 v0, v26, v3, v14
	s_delay_alu instid0(VALU_DEP_3) | instskip(NEXT) | instid1(VALU_DEP_2)
	v_xor3_b32 v5, v7, v27, v5
	v_mad_u64_u32 v[3:4], null, 0xd2511f53, v0, 0
	v_div_scale_f32 v0, null, s14, s14, 1.0
	s_delay_alu instid0(VALU_DEP_3) | instskip(NEXT) | instid1(VALU_DEP_2)
	v_mad_u64_u32 v[14:15], null, 0xcd9e8d57, v5, 0
	v_rcp_f32_e32 v17, v0
	s_delay_alu instid0(VALU_DEP_3) | instskip(SKIP_2) | instid1(VALU_DEP_2)
	v_xor3_b32 v6, v28, v4, v6
	s_waitcnt lgkmcnt(0)
	s_mul_i32 s0, s0, s12
	v_xor3_b32 v2, v15, v29, v2
	s_delay_alu instid0(VALU_DEP_2) | instskip(SKIP_1) | instid1(VALU_DEP_2)
	v_mad_u64_u32 v[4:5], null, 0xcd9e8d57, v6, 0
	s_lshl_b32 s10, s0, 1
	v_mad_u64_u32 v[6:7], null, 0xd2511f53, v2, 0
	s_waitcnt_depctr 0xfff
	v_fma_f32 v2, -v0, v17, 1.0
	s_lshl_b64 s[12:13], s[10:11], 2
	v_xor3_b32 v5, v30, v5, v14
	s_delay_alu instid0(VALU_DEP_2) | instskip(SKIP_2) | instid1(VALU_DEP_3)
	v_fmac_f32_e32 v17, v2, v17
	v_add_co_u32 v32, null, 0x646e171e, v16
	v_add_co_u32 v33, null, 0x1fd5c5a3, v16
	v_mul_f32_e32 v38, v37, v17
	s_delay_alu instid0(VALU_DEP_3) | instskip(SKIP_2) | instid1(VALU_DEP_3)
	v_xor3_b32 v7, v7, v32, v3
	v_mad_u64_u32 v[2:3], null, 0xd2511f53, v5, 0
	v_add_co_u32 v35, null, 0xdb3d7428, v16
	v_mad_u64_u32 v[14:15], null, 0xcd9e8d57, v7, 0
	s_delay_alu instid0(VALU_DEP_3) | instskip(NEXT) | instid1(VALU_DEP_2)
	v_xor3_b32 v5, v33, v3, v6
	v_xor3_b32 v7, v15, v31, v4
	s_delay_alu instid0(VALU_DEP_2) | instskip(SKIP_1) | instid1(VALU_DEP_3)
	v_mad_u64_u32 v[3:4], null, 0xcd9e8d57, v5, 0
	v_fma_f32 v15, -v0, v38, v37
	v_mad_u64_u32 v[5:6], null, 0xd2511f53, v7, 0
	s_delay_alu instid0(VALU_DEP_3) | instskip(NEXT) | instid1(VALU_DEP_2)
	v_xor3_b32 v4, v34, v4, v14
	v_xor3_b32 v14, v6, v35, v2
	s_delay_alu instid0(VALU_DEP_2) | instskip(SKIP_1) | instid1(VALU_DEP_3)
	v_mad_u64_u32 v[6:7], null, 0xd2511f53, v4, 0
	v_fmac_f32_e32 v38, v15, v17
	v_mad_u64_u32 v[1:2], null, 0xcd9e8d57, v14, 0
	v_lshlrev_b64 v[14:15], 3, v[10:11]
	s_delay_alu instid0(VALU_DEP_3) | instskip(SKIP_1) | instid1(VALU_DEP_2)
	v_fma_f32 v0, -v0, v38, v37
	v_add_nc_u32_e32 v37, 0x8ff34781, v8
	v_div_fmas_f32 v0, v0, v17, v38
	v_add_nc_u32_e32 v38, 0x96a522ad, v9
	s_delay_alu instid0(VALU_DEP_2) | instskip(NEXT) | instid1(VALU_DEP_4)
	v_div_fixup_f32 v39, v0, s14, 1.0
	v_xor3_b32 v0, v3, v2, v37
	v_mov_b32_e32 v3, v6
	s_delay_alu instid0(VALU_DEP_4)
	v_xor3_b32 v2, v7, v5, v38
	s_branch .LBB94_6
.LBB94_4:                               ;   in Loop: Header=BB94_6 Depth=1
	s_or_b32 exec_lo, exec_lo, s1
.LBB94_5:                               ;   in Loop: Header=BB94_6 Depth=1
	s_delay_alu instid0(SALU_CYCLE_1)
	s_or_b32 exec_lo, exec_lo, s0
	v_add_co_u32 v2, vcc_lo, s4, v14
	v_add_co_ci_u32_e32 v3, vcc_lo, s5, v15, vcc_lo
	v_cvt_f32_u32_e32 v1, v1
	v_cvt_f32_u32_e32 v0, v0
	global_load_b64 v[2:3], v[2:3], off
	v_mov_b32_e32 v7, v16
	v_dual_fmaak_f32 v1, 0x2f800000, v1, 0x2f800000 :: v_dual_fmaak_f32 v0, 0x2f800000, v0, 0x2f800000
	v_add_co_u32 v16, s0, s8, v12
	s_delay_alu instid0(VALU_DEP_1) | instskip(NEXT) | instid1(VALU_DEP_3)
	v_add_co_ci_u32_e64 v17, s0, s9, v13, s0
	v_cmp_gt_f32_e32 vcc_lo, s14, v1
	s_delay_alu instid0(VALU_DEP_4) | instskip(SKIP_1) | instid1(VALU_DEP_2)
	v_cmp_gt_f32_e64 s0, s14, v0
	v_cndmask_b32_e64 v1, 0, 1.0, vcc_lo
	v_cndmask_b32_e64 v0, 0, 1.0, s0
	v_cndmask_b32_e64 v40, 0, 1, vcc_lo
	v_add_co_u32 v12, vcc_lo, v12, s10
	v_add_co_ci_u32_e32 v13, vcc_lo, 0, v13, vcc_lo
	v_cndmask_b32_e64 v42, 0, 1, s0
	s_delay_alu instid0(VALU_DEP_4)
	v_lshlrev_b16 v43, 8, v40
	v_add_co_u32 v40, vcc_lo, s6, v14
	v_add_co_ci_u32_e32 v41, vcc_lo, s7, v15, vcc_lo
	v_cmp_le_u64_e32 vcc_lo, s[2:3], v[12:13]
	v_add_co_u32 v14, s0, v14, s12
	v_or_b32_e32 v44, v42, v43
	v_add_co_ci_u32_e64 v15, s0, s13, v15, s0
	s_or_b32 s11, vcc_lo, s11
	s_waitcnt vmcnt(0)
	v_dual_mul_f32 v0, v2, v0 :: v_dual_mul_f32 v1, v3, v1
	s_delay_alu instid0(VALU_DEP_1) | instskip(NEXT) | instid1(VALU_DEP_2)
	v_mul_f32_e32 v42, v39, v0
	v_dual_mul_f32 v43, v39, v1 :: v_dual_mov_b32 v0, v4
	v_dual_mov_b32 v1, v5 :: v_dual_mov_b32 v2, v6
	v_mov_b32_e32 v3, v7
	global_store_b64 v[40:41], v[42:43], off
	global_store_b16 v[16:17], v44, off
	s_waitcnt_vscnt null, 0x0
	s_barrier
	buffer_gl0_inv
	s_and_not1_b32 exec_lo, exec_lo, s11
	s_cbranch_execz .LBB94_15
.LBB94_6:                               ; =>This Inner Loop Header: Depth=1
	v_add_co_u32 v18, vcc_lo, v18, 1
	s_delay_alu instid0(VALU_DEP_1) | instskip(SKIP_2) | instid1(VALU_DEP_1)
	v_cndmask_b32_e64 v4, 0, 1, vcc_lo
	v_add_co_ci_u32_e32 v19, vcc_lo, 0, v19, vcc_lo
	s_mov_b32 s0, exec_lo
	v_cmp_eq_u32_e32 vcc_lo, 0, v19
	s_delay_alu instid0(VALU_DEP_3) | instskip(NEXT) | instid1(VALU_DEP_1)
	v_cndmask_b32_e32 v4, 0, v4, vcc_lo
	v_add_nc_u32_e32 v10, v4, v10
	s_delay_alu instid0(VALU_DEP_1) | instskip(SKIP_2) | instid1(VALU_DEP_2)
	v_cmp_eq_u32_e32 vcc_lo, 0, v10
	v_mad_u64_u32 v[6:7], null, 0xcd9e8d57, v10, 0
	v_cndmask_b32_e32 v4, 0, v4, vcc_lo
	v_xor3_b32 v7, v7, v8, v19
	s_delay_alu instid0(VALU_DEP_2) | instskip(SKIP_1) | instid1(VALU_DEP_3)
	v_add_nc_u32_e32 v11, v4, v11
	v_mad_u64_u32 v[4:5], null, 0xd2511f53, v18, 0
	v_mad_u64_u32 v[40:41], null, 0xd2511f53, v7, 0
	s_delay_alu instid0(VALU_DEP_2) | instskip(NEXT) | instid1(VALU_DEP_1)
	v_xor_b32_e32 v5, v5, v9
	v_xor_b32_e32 v5, v11, v5
	s_delay_alu instid0(VALU_DEP_1) | instskip(NEXT) | instid1(VALU_DEP_1)
	v_mad_u64_u32 v[16:17], null, 0xcd9e8d57, v5, 0
	v_xor3_b32 v6, v21, v17, v6
	v_xor3_b32 v17, v20, v41, v4
	s_delay_alu instid0(VALU_DEP_2) | instskip(NEXT) | instid1(VALU_DEP_2)
	v_mad_u64_u32 v[4:5], null, 0xd2511f53, v6, 0
	v_mad_u64_u32 v[6:7], null, 0xcd9e8d57, v17, 0
	s_delay_alu instid0(VALU_DEP_2) | instskip(NEXT) | instid1(VALU_DEP_2)
	v_xor3_b32 v5, v23, v5, v40
	v_xor3_b32 v7, v22, v7, v16
	s_delay_alu instid0(VALU_DEP_2) | instskip(NEXT) | instid1(VALU_DEP_2)
	v_mad_u64_u32 v[16:17], null, 0xcd9e8d57, v5, 0
	v_mad_u64_u32 v[40:41], null, 0xd2511f53, v7, 0
	s_delay_alu instid0(VALU_DEP_2) | instskip(NEXT) | instid1(VALU_DEP_2)
	;; [unrolled: 6-line block ×8, first 2 shown]
	v_xor3_b32 v4, v6, v4, v37
	v_xor3_b32 v6, v17, v41, v38
	v_cmpx_lt_i32_e32 1, v36
	s_xor_b32 s0, exec_lo, s0
	s_cbranch_execz .LBB94_12
; %bb.7:                                ;   in Loop: Header=BB94_6 Depth=1
	s_mov_b32 s1, exec_lo
	v_cmpx_lt_i32_e32 2, v36
	s_xor_b32 s1, exec_lo, s1
; %bb.8:                                ;   in Loop: Header=BB94_6 Depth=1
	v_dual_mov_b32 v0, v3 :: v_dual_mov_b32 v1, v4
; %bb.9:                                ;   in Loop: Header=BB94_6 Depth=1
	s_and_not1_saveexec_b32 s1, s1
; %bb.10:                               ;   in Loop: Header=BB94_6 Depth=1
	v_dual_mov_b32 v0, v2 :: v_dual_mov_b32 v1, v3
; %bb.11:                               ;   in Loop: Header=BB94_6 Depth=1
	s_or_b32 exec_lo, exec_lo, s1
.LBB94_12:                              ;   in Loop: Header=BB94_6 Depth=1
	s_and_not1_saveexec_b32 s0, s0
	s_cbranch_execz .LBB94_5
; %bb.13:                               ;   in Loop: Header=BB94_6 Depth=1
	s_mov_b32 s1, exec_lo
	v_cmpx_eq_u32_e32 1, v36
	s_cbranch_execz .LBB94_4
; %bb.14:                               ;   in Loop: Header=BB94_6 Depth=1
	v_dual_mov_b32 v0, v1 :: v_dual_mov_b32 v1, v2
	s_branch .LBB94_4
.LBB94_15:
	s_endpgm
	.section	.rodata,"a",@progbits
	.p2align	6, 0x0
	.amdhsa_kernel _ZN2at6native12_GLOBAL__N_124fused_dropout_kernel_vecIffmLi1ELi2EhEEvNS_4cuda6detail10TensorInfoIKT_T1_EENS5_IS6_S8_EENS5_IT4_S8_EES8_T0_NS_15PhiloxCudaStateE
		.amdhsa_group_segment_fixed_size 0
		.amdhsa_private_segment_fixed_size 0
		.amdhsa_kernarg_size 1552
		.amdhsa_user_sgpr_count 15
		.amdhsa_user_sgpr_dispatch_ptr 0
		.amdhsa_user_sgpr_queue_ptr 0
		.amdhsa_user_sgpr_kernarg_segment_ptr 1
		.amdhsa_user_sgpr_dispatch_id 0
		.amdhsa_user_sgpr_private_segment_size 0
		.amdhsa_wavefront_size32 1
		.amdhsa_uses_dynamic_stack 0
		.amdhsa_enable_private_segment 0
		.amdhsa_system_sgpr_workgroup_id_x 1
		.amdhsa_system_sgpr_workgroup_id_y 0
		.amdhsa_system_sgpr_workgroup_id_z 0
		.amdhsa_system_sgpr_workgroup_info 0
		.amdhsa_system_vgpr_workitem_id 0
		.amdhsa_next_free_vgpr 45
		.amdhsa_next_free_sgpr 16
		.amdhsa_reserve_vcc 1
		.amdhsa_float_round_mode_32 0
		.amdhsa_float_round_mode_16_64 0
		.amdhsa_float_denorm_mode_32 3
		.amdhsa_float_denorm_mode_16_64 3
		.amdhsa_dx10_clamp 1
		.amdhsa_ieee_mode 1
		.amdhsa_fp16_overflow 0
		.amdhsa_workgroup_processor_mode 1
		.amdhsa_memory_ordered 1
		.amdhsa_forward_progress 0
		.amdhsa_shared_vgpr_count 0
		.amdhsa_exception_fp_ieee_invalid_op 0
		.amdhsa_exception_fp_denorm_src 0
		.amdhsa_exception_fp_ieee_div_zero 0
		.amdhsa_exception_fp_ieee_overflow 0
		.amdhsa_exception_fp_ieee_underflow 0
		.amdhsa_exception_fp_ieee_inexact 0
		.amdhsa_exception_int_div_zero 0
	.end_amdhsa_kernel
	.section	.text._ZN2at6native12_GLOBAL__N_124fused_dropout_kernel_vecIffmLi1ELi2EhEEvNS_4cuda6detail10TensorInfoIKT_T1_EENS5_IS6_S8_EENS5_IT4_S8_EES8_T0_NS_15PhiloxCudaStateE,"axG",@progbits,_ZN2at6native12_GLOBAL__N_124fused_dropout_kernel_vecIffmLi1ELi2EhEEvNS_4cuda6detail10TensorInfoIKT_T1_EENS5_IS6_S8_EENS5_IT4_S8_EES8_T0_NS_15PhiloxCudaStateE,comdat
.Lfunc_end94:
	.size	_ZN2at6native12_GLOBAL__N_124fused_dropout_kernel_vecIffmLi1ELi2EhEEvNS_4cuda6detail10TensorInfoIKT_T1_EENS5_IS6_S8_EENS5_IT4_S8_EES8_T0_NS_15PhiloxCudaStateE, .Lfunc_end94-_ZN2at6native12_GLOBAL__N_124fused_dropout_kernel_vecIffmLi1ELi2EhEEvNS_4cuda6detail10TensorInfoIKT_T1_EENS5_IS6_S8_EENS5_IT4_S8_EES8_T0_NS_15PhiloxCudaStateE
                                        ; -- End function
	.section	.AMDGPU.csdata,"",@progbits
; Kernel info:
; codeLenInByte = 1940
; NumSgprs: 18
; NumVgprs: 45
; ScratchSize: 0
; MemoryBound: 0
; FloatMode: 240
; IeeeMode: 1
; LDSByteSize: 0 bytes/workgroup (compile time only)
; SGPRBlocks: 2
; VGPRBlocks: 5
; NumSGPRsForWavesPerEU: 18
; NumVGPRsForWavesPerEU: 45
; Occupancy: 16
; WaveLimiterHint : 1
; COMPUTE_PGM_RSRC2:SCRATCH_EN: 0
; COMPUTE_PGM_RSRC2:USER_SGPR: 15
; COMPUTE_PGM_RSRC2:TRAP_HANDLER: 0
; COMPUTE_PGM_RSRC2:TGID_X_EN: 1
; COMPUTE_PGM_RSRC2:TGID_Y_EN: 0
; COMPUTE_PGM_RSRC2:TGID_Z_EN: 0
; COMPUTE_PGM_RSRC2:TIDIG_COMP_CNT: 0
	.section	.text._ZN2at6native12_GLOBAL__N_120fused_dropout_kernelIffmLi1ELi1EhEEvNS_4cuda6detail10TensorInfoIKT_T1_EENS5_IS6_S8_EENS5_IT4_S8_EES8_T0_NS_15PhiloxCudaStateE,"axG",@progbits,_ZN2at6native12_GLOBAL__N_120fused_dropout_kernelIffmLi1ELi1EhEEvNS_4cuda6detail10TensorInfoIKT_T1_EENS5_IS6_S8_EENS5_IT4_S8_EES8_T0_NS_15PhiloxCudaStateE,comdat
	.globl	_ZN2at6native12_GLOBAL__N_120fused_dropout_kernelIffmLi1ELi1EhEEvNS_4cuda6detail10TensorInfoIKT_T1_EENS5_IS6_S8_EENS5_IT4_S8_EES8_T0_NS_15PhiloxCudaStateE ; -- Begin function _ZN2at6native12_GLOBAL__N_120fused_dropout_kernelIffmLi1ELi1EhEEvNS_4cuda6detail10TensorInfoIKT_T1_EENS5_IS6_S8_EENS5_IT4_S8_EES8_T0_NS_15PhiloxCudaStateE
	.p2align	8
	.type	_ZN2at6native12_GLOBAL__N_120fused_dropout_kernelIffmLi1ELi1EhEEvNS_4cuda6detail10TensorInfoIKT_T1_EENS5_IS6_S8_EENS5_IT4_S8_EES8_T0_NS_15PhiloxCudaStateE,@function
_ZN2at6native12_GLOBAL__N_120fused_dropout_kernelIffmLi1ELi1EhEEvNS_4cuda6detail10TensorInfoIKT_T1_EENS5_IS6_S8_EENS5_IT4_S8_EES8_T0_NS_15PhiloxCudaStateE: ; @_ZN2at6native12_GLOBAL__N_120fused_dropout_kernelIffmLi1ELi1EhEEvNS_4cuda6detail10TensorInfoIKT_T1_EENS5_IS6_S8_EENS5_IT4_S8_EES8_T0_NS_15PhiloxCudaStateE
; %bb.0:
	s_clause 0x1
	s_load_b128 s[4:7], s[0:1], 0x4f0
	s_load_b32 s2, s[0:1], 0x508
	s_waitcnt lgkmcnt(0)
	v_dual_mov_b32 v1, s6 :: v_dual_mov_b32 v2, s7
	v_dual_mov_b32 v16, s5 :: v_dual_mov_b32 v15, s4
	s_bitcmp0_b32 s2, 0
	s_mov_b32 s2, 0
	s_cbranch_scc1 .LBB95_2
; %bb.1:
	v_dual_mov_b32 v1, s6 :: v_dual_mov_b32 v2, s7
	v_dual_mov_b32 v3, s4 :: v_dual_mov_b32 v4, s5
	s_load_b64 s[4:5], s[0:1], 0x500
	flat_load_b64 v[1:2], v[1:2]
	flat_load_b64 v[15:16], v[3:4]
	s_waitcnt vmcnt(1) lgkmcnt(0)
	v_add_co_u32 v1, vcc_lo, v1, s4
	v_add_co_ci_u32_e32 v2, vcc_lo, s5, v2, vcc_lo
.LBB95_2:
	s_clause 0x2
	s_load_b32 s3, s[0:1], 0x51c
	s_load_b64 s[4:5], s[0:1], 0x4e0
	s_load_b32 s6, s[0:1], 0x510
	s_waitcnt lgkmcnt(0)
	s_and_b32 s7, s3, 0xffff
	s_add_u32 s8, s4, -1
	s_mul_i32 s20, s6, s7
	s_addc_u32 s3, s5, -1
	s_lshl_b32 s21, s20, 2
	s_cmp_lg_u64 s[2:3], 0
	s_cbranch_scc0 .LBB95_35
; %bb.3:
	v_cvt_f32_u32_e32 v3, s21
	s_sub_u32 s10, 0, s21
	s_subb_u32 s11, 0, 0
	s_delay_alu instid0(VALU_DEP_1) | instskip(NEXT) | instid1(VALU_DEP_1)
	v_fmamk_f32 v3, 0, 0x4f800000, v3
	v_rcp_f32_e32 v3, v3
	s_waitcnt_depctr 0xfff
	v_mul_f32_e32 v3, 0x5f7ffffc, v3
	s_delay_alu instid0(VALU_DEP_1) | instskip(NEXT) | instid1(VALU_DEP_1)
	v_mul_f32_e32 v4, 0x2f800000, v3
	v_trunc_f32_e32 v4, v4
	s_delay_alu instid0(VALU_DEP_1) | instskip(SKIP_1) | instid1(VALU_DEP_2)
	v_fmamk_f32 v3, v4, 0xcf800000, v3
	v_cvt_u32_f32_e32 v4, v4
	v_cvt_u32_f32_e32 v3, v3
	s_delay_alu instid0(VALU_DEP_2) | instskip(NEXT) | instid1(VALU_DEP_2)
	v_readfirstlane_b32 s2, v4
	v_readfirstlane_b32 s9, v3
	s_delay_alu instid0(VALU_DEP_2) | instskip(NEXT) | instid1(VALU_DEP_1)
	s_mul_i32 s12, s10, s2
	s_mul_hi_u32 s14, s10, s9
	s_mul_i32 s13, s11, s9
	s_add_i32 s12, s14, s12
	s_mul_i32 s16, s10, s9
	s_add_i32 s12, s12, s13
	s_mul_hi_u32 s14, s9, s16
	s_mul_hi_u32 s17, s2, s16
	s_mul_i32 s13, s2, s16
	s_mul_hi_u32 s16, s9, s12
	s_mul_i32 s9, s9, s12
	s_mul_hi_u32 s18, s2, s12
	s_add_u32 s9, s14, s9
	s_addc_u32 s14, 0, s16
	s_add_u32 s9, s9, s13
	s_mul_i32 s12, s2, s12
	s_addc_u32 s9, s14, s17
	s_addc_u32 s13, s18, 0
	s_add_u32 s9, s9, s12
	s_addc_u32 s12, 0, s13
	v_add_co_u32 v3, s9, v3, s9
	s_delay_alu instid0(VALU_DEP_1) | instskip(SKIP_1) | instid1(VALU_DEP_1)
	s_cmp_lg_u32 s9, 0
	s_addc_u32 s2, s2, s12
	v_readfirstlane_b32 s9, v3
	s_mul_i32 s12, s10, s2
	s_delay_alu instid0(VALU_DEP_1)
	s_mul_hi_u32 s13, s10, s9
	s_mul_i32 s11, s11, s9
	s_add_i32 s12, s13, s12
	s_mul_i32 s10, s10, s9
	s_add_i32 s12, s12, s11
	s_mul_hi_u32 s13, s2, s10
	s_mul_i32 s14, s2, s10
	s_mul_hi_u32 s10, s9, s10
	s_mul_hi_u32 s16, s9, s12
	s_mul_i32 s9, s9, s12
	s_mul_hi_u32 s11, s2, s12
	s_add_u32 s9, s10, s9
	s_addc_u32 s10, 0, s16
	s_add_u32 s9, s9, s14
	s_mul_i32 s12, s2, s12
	s_addc_u32 s9, s10, s13
	s_addc_u32 s10, s11, 0
	s_add_u32 s9, s9, s12
	s_addc_u32 s10, 0, s10
	v_add_co_u32 v3, s9, v3, s9
	s_delay_alu instid0(VALU_DEP_1) | instskip(SKIP_1) | instid1(VALU_DEP_1)
	s_cmp_lg_u32 s9, 0
	s_addc_u32 s2, s2, s10
	v_readfirstlane_b32 s9, v3
	s_mul_i32 s11, s8, s2
	s_mul_hi_u32 s10, s8, s2
	s_mul_hi_u32 s12, s3, s2
	s_mul_i32 s2, s3, s2
	s_mul_hi_u32 s13, s8, s9
	s_mul_hi_u32 s14, s3, s9
	s_mul_i32 s9, s3, s9
	s_add_u32 s11, s13, s11
	s_addc_u32 s10, 0, s10
	s_add_u32 s9, s11, s9
	s_addc_u32 s9, s10, s14
	s_addc_u32 s10, s12, 0
	s_add_u32 s2, s9, s2
	s_addc_u32 s10, 0, s10
	s_mul_i32 s11, s21, s2
	s_add_u32 s9, s2, 1
	v_sub_co_u32 v3, s11, s8, s11
	s_mul_hi_u32 s12, s21, s2
	s_addc_u32 s13, s10, 0
	s_mul_i32 s14, s21, s10
	s_delay_alu instid0(VALU_DEP_1)
	v_sub_co_u32 v4, s16, v3, s21
	s_add_u32 s17, s2, 2
	s_addc_u32 s18, s10, 0
	s_add_i32 s12, s12, s14
	s_cmp_lg_u32 s11, 0
	v_readfirstlane_b32 s11, v4
	s_subb_u32 s3, s3, s12
	s_cmp_lg_u32 s16, 0
	s_subb_u32 s12, s3, 0
	s_delay_alu instid0(VALU_DEP_1) | instskip(SKIP_4) | instid1(SALU_CYCLE_1)
	s_cmp_ge_u32 s11, s21
	s_cselect_b32 s11, -1, 0
	s_cmp_eq_u32 s12, 0
	v_readfirstlane_b32 s12, v3
	s_cselect_b32 s11, s11, -1
	s_cmp_lg_u32 s11, 0
	s_cselect_b32 s11, s17, s9
	s_cselect_b32 s13, s18, s13
	s_cmp_ge_u32 s12, s21
	s_cselect_b32 s9, -1, 0
	s_cmp_eq_u32 s3, 0
	s_cselect_b32 s3, s9, -1
	s_delay_alu instid0(SALU_CYCLE_1)
	s_cmp_lg_u32 s3, 0
	s_cselect_b32 s3, s13, s10
	s_cselect_b32 s2, s11, s2
	s_cbranch_execnz .LBB95_5
.LBB95_4:
	v_cvt_f32_u32_e32 v3, s21
	s_sub_i32 s3, 0, s21
	s_delay_alu instid0(VALU_DEP_1) | instskip(SKIP_2) | instid1(VALU_DEP_1)
	v_rcp_iflag_f32_e32 v3, v3
	s_waitcnt_depctr 0xfff
	v_mul_f32_e32 v3, 0x4f7ffffe, v3
	v_cvt_u32_f32_e32 v3, v3
	s_delay_alu instid0(VALU_DEP_1) | instskip(NEXT) | instid1(VALU_DEP_1)
	v_readfirstlane_b32 s2, v3
	s_mul_i32 s3, s3, s2
	s_delay_alu instid0(SALU_CYCLE_1) | instskip(NEXT) | instid1(SALU_CYCLE_1)
	s_mul_hi_u32 s3, s2, s3
	s_add_i32 s2, s2, s3
	s_delay_alu instid0(SALU_CYCLE_1) | instskip(NEXT) | instid1(SALU_CYCLE_1)
	s_mul_hi_u32 s2, s8, s2
	s_mul_i32 s3, s2, s21
	s_delay_alu instid0(SALU_CYCLE_1)
	s_sub_i32 s3, s8, s3
	s_add_i32 s8, s2, 1
	s_sub_i32 s9, s3, s21
	s_cmp_ge_u32 s3, s21
	s_cselect_b32 s2, s8, s2
	s_cselect_b32 s3, s9, s3
	s_add_i32 s8, s2, 1
	s_cmp_ge_u32 s3, s21
	s_mov_b32 s3, 0
	s_cselect_b32 s2, s8, s2
.LBB95_5:
	s_delay_alu instid0(SALU_CYCLE_1)
	s_add_u32 s2, s2, 1
	s_addc_u32 s3, s3, 0
	v_mad_u64_u32 v[17:18], null, s15, s7, v[0:1]
	s_mul_i32 s3, s20, s3
	s_mul_hi_u32 s8, s20, s2
	s_mul_hi_u32 s6, s6, s7
	s_add_i32 s3, s8, s3
	s_mul_i32 s6, s6, s2
	v_mov_b32_e32 v18, 0
	s_add_i32 s3, s3, s6
	s_mul_i32 s2, s20, s2
	s_delay_alu instid0(SALU_CYCLE_1)
	s_lshl_b64 s[6:7], s[2:3], 2
	s_mov_b32 s2, exec_lo
	v_cmpx_gt_u64_e64 s[6:7], v[17:18]
	s_cbranch_execz .LBB95_34
; %bb.6:
	v_alignbit_b32 v47, v2, v1, 2
	v_mad_u64_u32 v[3:4], null, 0xcd9e8d57, v17, 0
	v_lshrrev_b32_e32 v48, 2, v2
	s_waitcnt vmcnt(0)
	v_dual_mov_b32 v10, v16 :: v_dual_and_b32 v57, 3, v1
	v_mad_u64_u32 v[5:6], null, 0xd2511f53, v47, 0
	v_add_co_u32 v50, null, 0x9e3779b9, v15
	v_xor3_b32 v0, v15, v4, v48
	s_delay_alu instid0(VALU_DEP_4) | instskip(SKIP_2) | instid1(VALU_DEP_4)
	v_add_co_u32 v49, null, 0xbb67ae85, v10
	v_add_co_u32 v51, null, 0x3c6ef372, v15
	v_xor_b32_e32 v2, v6, v16
	v_mad_u64_u32 v[6:7], null, 0xd2511f53, v0, 0
	v_add_co_u32 v52, null, 0x76cf5d0a, v10
	s_delay_alu instid0(VALU_DEP_3) | instskip(SKIP_1) | instid1(VALU_DEP_4)
	v_mad_u64_u32 v[8:9], null, 0xcd9e8d57, v2, 0
	v_add_co_u32 v54, null, 0x32370b8f, v10
	v_xor3_b32 v0, v49, v7, v5
	v_add_co_u32 v53, null, 0xdaa66d2b, v15
	s_clause 0x3
	s_load_b64 s[8:9], s[0:1], 0x0
	s_load_b64 s[2:3], s[0:1], 0xd0
	;; [unrolled: 1-line block ×4, first 2 shown]
	v_xor3_b32 v7, v9, v50, v3
	v_mad_u64_u32 v[2:3], null, 0xcd9e8d57, v0, 0
	s_clause 0x1
	s_load_b64 s[12:13], s[0:1], 0x340
	s_load_b32 s22, s[0:1], 0x4e8
	v_add_co_u32 v55, null, 0x78dde6e4, v15
	v_mad_u64_u32 v[4:5], null, 0xd2511f53, v7, 0
	v_add_co_u32 v56, null, 0xed9eba14, v10
	s_delay_alu instid0(VALU_DEP_4) | instskip(SKIP_3) | instid1(VALU_DEP_4)
	v_xor3_b32 v0, v51, v3, v8
	v_add_co_u32 v60, null, 0xa9066899, v10
	v_add_co_u32 v61, null, 0x1715609d, v15
	v_xor3_b32 v3, v5, v52, v6
	v_mad_u64_u32 v[5:6], null, 0xd2511f53, v0, 0
	v_add_co_u32 v62, null, 0xb54cda56, v15
	s_delay_alu instid0(VALU_DEP_3) | instskip(SKIP_1) | instid1(VALU_DEP_4)
	v_mad_u64_u32 v[7:8], null, 0xcd9e8d57, v3, 0
	v_add_co_u32 v65, null, 0x646e171e, v10
	v_xor3_b32 v0, v54, v6, v4
	s_waitcnt lgkmcnt(0)
	v_div_scale_f32 v11, null, s22, s22, 1.0
	v_add_co_u32 v64, null, 0x1fd5c5a3, v10
	v_xor3_b32 v4, v8, v53, v2
	v_mad_u64_u32 v[2:3], null, 0xcd9e8d57, v0, 0
	s_delay_alu instid0(VALU_DEP_4) | instskip(SKIP_1) | instid1(VALU_DEP_3)
	v_rcp_f32_e32 v12, v11
	v_div_scale_f32 v13, vcc_lo, 1.0, s22, 1.0
	v_mad_u64_u32 v[8:9], null, 0xd2511f53, v4, 0
	v_add_co_u32 v63, null, 0x5384540f, v15
	s_delay_alu instid0(VALU_DEP_4) | instskip(SKIP_3) | instid1(VALU_DEP_4)
	v_xor3_b32 v3, v55, v3, v7
	v_mad_u64_u32 v[19:20], null, s16, v17, 0
	v_add_co_u32 v67, null, 0xdb3d7428, v10
	v_xor3_b32 v5, v9, v56, v5
	v_mad_u64_u32 v[0:1], null, 0xd2511f53, v3, 0
	v_add_co_u32 v66, null, 0xf1bbcdc8, v15
	s_delay_alu instid0(VALU_DEP_3)
	v_mad_u64_u32 v[3:4], null, 0xcd9e8d57, v5, 0
	v_add_nc_u32_e32 v58, 0x8ff34781, v15
	v_mov_b32_e32 v44, v18
	v_xor3_b32 v5, v60, v1, v8
	v_mad_u64_u32 v[8:9], null, s2, v17, 0
	s_mul_i32 s25, s20, 3
	v_xor3_b32 v6, v4, v61, v2
	s_delay_alu instid0(VALU_DEP_3) | instskip(SKIP_2) | instid1(VALU_DEP_2)
	v_mad_u64_u32 v[1:2], null, 0xcd9e8d57, v5, 0
	s_lshl_b32 s24, s20, 1
	s_mul_hi_u32 s1, s16, s21
	v_mad_u64_u32 v[4:5], null, 0xd2511f53, v6, 0
	v_fma_f32 v6, -v11, v12, 1.0
	s_mul_i32 s14, s16, s21
	s_delay_alu instid0(VALU_DEP_3) | instskip(SKIP_1) | instid1(VALU_DEP_2)
	v_xor3_b32 v7, v62, v2, v3
	s_mov_b32 s23, 0
	v_dual_mov_b32 v43, v17 :: v_dual_fmac_f32 v12, v6, v12
	s_delay_alu instid0(VALU_DEP_4) | instskip(NEXT) | instid1(VALU_DEP_3)
	v_xor3_b32 v0, v5, v65, v0
	v_mad_u64_u32 v[2:3], null, 0xd2511f53, v7, 0
	s_delay_alu instid0(VALU_DEP_3) | instskip(NEXT) | instid1(VALU_DEP_3)
	v_mul_f32_e32 v14, v13, v12
	v_mad_u64_u32 v[5:6], null, 0xcd9e8d57, v0, 0
	s_delay_alu instid0(VALU_DEP_3) | instskip(NEXT) | instid1(VALU_DEP_3)
	v_xor3_b32 v3, v64, v3, v4
	v_fma_f32 v10, -v11, v14, v13
	s_delay_alu instid0(VALU_DEP_3) | instskip(NEXT) | instid1(VALU_DEP_3)
	v_xor3_b32 v4, v6, v63, v1
	v_mad_u64_u32 v[0:1], null, 0xcd9e8d57, v3, 0
	s_delay_alu instid0(VALU_DEP_3) | instskip(NEXT) | instid1(VALU_DEP_3)
	v_dual_mov_b32 v3, v20 :: v_dual_fmac_f32 v14, v10, v12
	v_mad_u64_u32 v[6:7], null, 0xd2511f53, v4, 0
	s_delay_alu instid0(VALU_DEP_3) | instskip(NEXT) | instid1(VALU_DEP_3)
	v_xor3_b32 v1, v66, v1, v5
	v_mad_u64_u32 v[4:5], null, s17, v17, v[3:4]
	s_delay_alu instid0(VALU_DEP_4) | instskip(NEXT) | instid1(VALU_DEP_4)
	v_fma_f32 v5, -v11, v14, v13
	v_xor3_b32 v3, v7, v67, v2
	s_delay_alu instid0(VALU_DEP_4) | instskip(NEXT) | instid1(VALU_DEP_4)
	v_mad_u64_u32 v[10:11], null, 0xd2511f53, v1, 0
	v_dual_mov_b32 v20, v4 :: v_dual_add_nc_u32 v59, 0x96a522ad, v16
	s_delay_alu instid0(VALU_DEP_3) | instskip(SKIP_2) | instid1(VALU_DEP_4)
	v_mad_u64_u32 v[1:2], null, 0xcd9e8d57, v3, 0
	v_div_fmas_f32 v3, v5, v12, v14
	v_mov_b32_e32 v5, v9
	v_lshlrev_b64 v[23:24], 2, v[19:20]
	s_delay_alu instid0(VALU_DEP_3) | instskip(SKIP_2) | instid1(VALU_DEP_1)
	v_div_fixup_f32 v68, v3, s22, 1.0
	v_mov_b32_e32 v3, v10
	v_add_co_u32 v10, s0, s25, v17
	v_add_co_ci_u32_e64 v4, null, 0, 0, s0
	v_xor3_b32 v0, v0, v2, v58
	v_xor3_b32 v2, v11, v6, v59
	v_mad_u64_u32 v[6:7], null, s3, v17, v[5:6]
	v_mul_lo_u32 v5, s17, v10
	v_mul_lo_u32 v7, s16, v4
	v_mad_u64_u32 v[21:22], null, s16, v10, 0
	v_add_co_u32 v11, s18, s24, v17
	v_mov_b32_e32 v9, v6
	v_add_co_ci_u32_e64 v6, null, 0, 0, s18
	v_add_co_u32 v29, s18, s20, v17
	v_add3_u32 v22, v22, v7, v5
	v_mul_lo_u32 v12, s3, v10
	v_mul_lo_u32 v13, s2, v4
	v_mad_u64_u32 v[4:5], null, s2, v10, 0
	v_add_co_ci_u32_e64 v10, null, 0, 0, s18
	v_mul_lo_u32 v14, s17, v11
	v_mul_lo_u32 v33, s16, v6
	v_mad_u64_u32 v[25:26], null, s16, v11, 0
	v_mul_lo_u32 v34, s3, v11
	v_mul_lo_u32 v35, s2, v6
	v_mad_u64_u32 v[6:7], null, s2, v11, 0
	;; [unrolled: 3-line block ×4, first 2 shown]
	v_add3_u32 v5, v5, v13, v12
	v_add3_u32 v26, v26, v33, v14
	;; [unrolled: 1-line block ×4, first 2 shown]
	s_mul_i32 s0, s17, s21
	v_lshlrev_b64 v[29:30], 2, v[8:9]
	v_add3_u32 v11, v11, v39, v38
	s_add_i32 s15, s1, s0
	s_mul_i32 s0, s3, s21
	s_mul_hi_u32 s1, s2, s21
	v_lshlrev_b64 v[31:32], 2, v[21:22]
	v_lshlrev_b64 v[33:34], 2, v[4:5]
	;; [unrolled: 1-line block ×6, first 2 shown]
	s_add_i32 s1, s1, s0
	s_mul_i32 s0, s2, s21
	s_lshl_b64 s[16:17], s[14:15], 2
	s_lshl_b64 s[18:19], s[0:1], 2
                                        ; implicit-def: $vgpr4_vgpr5_vgpr6_vgpr7
	s_branch .LBB95_8
.LBB95_7:                               ;   in Loop: Header=BB95_8 Depth=1
	s_or_b32 exec_lo, exec_lo, s1
	v_add_co_u32 v43, vcc_lo, v43, s21
	v_add_co_ci_u32_e32 v44, vcc_lo, 0, v44, vcc_lo
	v_mov_b32_e32 v11, v45
	s_add_u32 s10, s10, s16
	s_addc_u32 s11, s11, s17
	s_delay_alu instid0(VALU_DEP_2)
	v_cmp_le_u64_e32 vcc_lo, s[6:7], v[43:44]
	s_add_u32 s12, s12, s14
	v_dual_mov_b32 v0, v8 :: v_dual_mov_b32 v1, v9
	s_addc_u32 s13, s13, s15
	v_dual_mov_b32 v2, v10 :: v_dual_mov_b32 v3, v11
	s_add_u32 s8, s8, s18
	s_addc_u32 s9, s9, s19
	s_or_b32 s23, vcc_lo, s23
	s_waitcnt vmcnt(0)
	s_waitcnt_vscnt null, 0x0
	s_barrier
	buffer_gl0_inv
	s_and_not1_b32 exec_lo, exec_lo, s23
	s_cbranch_execz .LBB95_34
.LBB95_8:                               ; =>This Inner Loop Header: Depth=1
	v_add_co_u32 v47, vcc_lo, v47, 1
	s_delay_alu instid0(VALU_DEP_1) | instskip(SKIP_2) | instid1(VALU_DEP_1)
	v_cndmask_b32_e64 v8, 0, 1, vcc_lo
	v_add_co_ci_u32_e32 v48, vcc_lo, 0, v48, vcc_lo
	s_mov_b32 s0, exec_lo
	v_cmp_eq_u32_e32 vcc_lo, 0, v48
	s_delay_alu instid0(VALU_DEP_3) | instskip(NEXT) | instid1(VALU_DEP_1)
	v_cndmask_b32_e32 v8, 0, v8, vcc_lo
	v_add_nc_u32_e32 v17, v8, v17
	s_delay_alu instid0(VALU_DEP_1) | instskip(SKIP_2) | instid1(VALU_DEP_2)
	v_cmp_eq_u32_e32 vcc_lo, 0, v17
	v_cndmask_b32_e32 v8, 0, v8, vcc_lo
	v_mad_u64_u32 v[10:11], null, 0xcd9e8d57, v17, 0
	v_add_nc_u32_e32 v18, v8, v18
	v_mad_u64_u32 v[8:9], null, 0xd2511f53, v47, 0
	s_delay_alu instid0(VALU_DEP_3) | instskip(NEXT) | instid1(VALU_DEP_2)
	v_xor3_b32 v13, v11, v15, v48
	v_xor_b32_e32 v9, v9, v16
	s_delay_alu instid0(VALU_DEP_2) | instskip(NEXT) | instid1(VALU_DEP_2)
	v_mad_u64_u32 v[11:12], null, 0xd2511f53, v13, 0
	v_xor_b32_e32 v9, v18, v9
	s_delay_alu instid0(VALU_DEP_2) | instskip(NEXT) | instid1(VALU_DEP_2)
	v_xor3_b32 v12, v49, v12, v8
	v_mad_u64_u32 v[13:14], null, 0xcd9e8d57, v9, 0
	s_delay_alu instid0(VALU_DEP_2) | instskip(NEXT) | instid1(VALU_DEP_2)
	v_mad_u64_u32 v[8:9], null, 0xcd9e8d57, v12, 0
	v_xor3_b32 v10, v50, v14, v10
	s_delay_alu instid0(VALU_DEP_2) | instskip(NEXT) | instid1(VALU_DEP_2)
	v_xor3_b32 v12, v51, v9, v13
	v_mad_u64_u32 v[45:46], null, 0xd2511f53, v10, 0
	s_delay_alu instid0(VALU_DEP_2) | instskip(NEXT) | instid1(VALU_DEP_2)
	v_mad_u64_u32 v[9:10], null, 0xd2511f53, v12, 0
	v_xor3_b32 v13, v52, v46, v11
	s_delay_alu instid0(VALU_DEP_2) | instskip(NEXT) | instid1(VALU_DEP_2)
	v_xor3_b32 v10, v54, v10, v45
	v_mad_u64_u32 v[11:12], null, 0xcd9e8d57, v13, 0
	s_delay_alu instid0(VALU_DEP_1) | instskip(NEXT) | instid1(VALU_DEP_3)
	v_xor3_b32 v8, v53, v12, v8
	v_mad_u64_u32 v[12:13], null, 0xcd9e8d57, v10, 0
	s_delay_alu instid0(VALU_DEP_2) | instskip(NEXT) | instid1(VALU_DEP_2)
	v_mad_u64_u32 v[45:46], null, 0xd2511f53, v8, 0
	v_xor3_b32 v10, v55, v13, v11
	s_delay_alu instid0(VALU_DEP_2) | instskip(NEXT) | instid1(VALU_DEP_2)
	v_xor3_b32 v13, v56, v46, v9
	v_mad_u64_u32 v[8:9], null, 0xd2511f53, v10, 0
	s_delay_alu instid0(VALU_DEP_2) | instskip(NEXT) | instid1(VALU_DEP_2)
	v_mad_u64_u32 v[10:11], null, 0xcd9e8d57, v13, 0
	v_xor3_b32 v9, v60, v9, v45
	s_delay_alu instid0(VALU_DEP_2) | instskip(NEXT) | instid1(VALU_DEP_2)
	;; [unrolled: 6-line block ×6, first 2 shown]
	v_xor3_b32 v8, v10, v11, v58
	v_mov_b32_e32 v10, v14
	v_cmpx_lt_i32_e32 1, v57
	s_xor_b32 s0, exec_lo, s0
	s_cbranch_execnz .LBB95_21
; %bb.9:                                ;   in Loop: Header=BB95_8 Depth=1
	s_and_not1_saveexec_b32 s0, s0
	s_cbranch_execnz .LBB95_26
.LBB95_10:                              ;   in Loop: Header=BB95_8 Depth=1
	s_or_b32 exec_lo, exec_lo, s0
	v_cmp_gt_u64_e64 s2, s[4:5], v[43:44]
	s_delay_alu instid0(VALU_DEP_1)
	s_and_saveexec_b32 s0, s2
	s_cbranch_execz .LBB95_12
.LBB95_11:                              ;   in Loop: Header=BB95_8 Depth=1
	v_add_co_u32 v11, vcc_lo, s8, v29
	v_add_co_ci_u32_e32 v12, vcc_lo, s9, v30, vcc_lo
	global_load_b32 v4, v[11:12], off
.LBB95_12:                              ;   in Loop: Header=BB95_8 Depth=1
	s_or_b32 exec_lo, exec_lo, s0
	v_add_co_u32 v11, vcc_lo, s20, v43
	v_add_co_ci_u32_e32 v12, vcc_lo, 0, v44, vcc_lo
	s_delay_alu instid0(VALU_DEP_1) | instskip(NEXT) | instid1(VALU_DEP_1)
	v_cmp_gt_u64_e64 s1, s[4:5], v[11:12]
	s_and_saveexec_b32 s0, s1
	s_cbranch_execz .LBB95_14
; %bb.13:                               ;   in Loop: Header=BB95_8 Depth=1
	v_add_co_u32 v11, vcc_lo, s8, v41
	v_add_co_ci_u32_e32 v12, vcc_lo, s9, v42, vcc_lo
	global_load_b32 v5, v[11:12], off
.LBB95_14:                              ;   in Loop: Header=BB95_8 Depth=1
	s_or_b32 exec_lo, exec_lo, s0
	v_add_co_u32 v11, vcc_lo, s24, v43
	v_add_co_ci_u32_e32 v12, vcc_lo, 0, v44, vcc_lo
	s_delay_alu instid0(VALU_DEP_1) | instskip(NEXT) | instid1(VALU_DEP_1)
	v_cmp_gt_u64_e64 s0, s[4:5], v[11:12]
	s_and_saveexec_b32 s3, s0
	s_cbranch_execz .LBB95_16
; %bb.15:                               ;   in Loop: Header=BB95_8 Depth=1
	v_add_co_u32 v11, vcc_lo, s8, v37
	v_add_co_ci_u32_e32 v12, vcc_lo, s9, v38, vcc_lo
	global_load_b32 v6, v[11:12], off
.LBB95_16:                              ;   in Loop: Header=BB95_8 Depth=1
	s_or_b32 exec_lo, exec_lo, s3
	v_add_co_u32 v11, vcc_lo, s25, v43
	v_add_co_ci_u32_e32 v12, vcc_lo, 0, v44, vcc_lo
	s_delay_alu instid0(VALU_DEP_1)
	v_cmp_gt_u64_e32 vcc_lo, s[4:5], v[11:12]
	s_and_saveexec_b32 s26, vcc_lo
	s_cbranch_execnz .LBB95_29
; %bb.17:                               ;   in Loop: Header=BB95_8 Depth=1
	s_or_b32 exec_lo, exec_lo, s26
	s_and_saveexec_b32 s26, s2
	s_cbranch_execnz .LBB95_30
.LBB95_18:                              ;   in Loop: Header=BB95_8 Depth=1
	s_or_b32 exec_lo, exec_lo, s26
	s_and_saveexec_b32 s3, s1
	s_cbranch_execnz .LBB95_31
.LBB95_19:                              ;   in Loop: Header=BB95_8 Depth=1
	s_or_b32 exec_lo, exec_lo, s3
	s_and_saveexec_b32 s2, s0
	s_cbranch_execnz .LBB95_32
.LBB95_20:                              ;   in Loop: Header=BB95_8 Depth=1
	s_or_b32 exec_lo, exec_lo, s2
	s_and_saveexec_b32 s1, vcc_lo
	s_cbranch_execz .LBB95_7
	s_branch .LBB95_33
.LBB95_21:                              ;   in Loop: Header=BB95_8 Depth=1
	s_mov_b32 s1, exec_lo
	v_cmpx_lt_i32_e32 2, v57
	s_xor_b32 s1, exec_lo, s1
; %bb.22:                               ;   in Loop: Header=BB95_8 Depth=1
	v_dual_mov_b32 v11, v3 :: v_dual_mov_b32 v12, v8
	v_mov_b32_e32 v13, v9
	s_delay_alu instid0(VALU_DEP_2) | instskip(NEXT) | instid1(VALU_DEP_2)
	v_dual_mov_b32 v0, v11 :: v_dual_mov_b32 v1, v12
	v_dual_mov_b32 v2, v13 :: v_dual_mov_b32 v3, v14
; %bb.23:                               ;   in Loop: Header=BB95_8 Depth=1
	s_and_not1_saveexec_b32 s1, s1
; %bb.24:                               ;   in Loop: Header=BB95_8 Depth=1
	s_delay_alu instid0(VALU_DEP_1)
	v_dual_mov_b32 v0, v2 :: v_dual_mov_b32 v1, v3
	v_dual_mov_b32 v2, v8 :: v_dual_mov_b32 v3, v9
; %bb.25:                               ;   in Loop: Header=BB95_8 Depth=1
	s_or_b32 exec_lo, exec_lo, s1
	s_and_not1_saveexec_b32 s0, s0
	s_cbranch_execz .LBB95_10
.LBB95_26:                              ;   in Loop: Header=BB95_8 Depth=1
	s_mov_b32 s1, exec_lo
	v_cmpx_eq_u32_e32 1, v57
; %bb.27:                               ;   in Loop: Header=BB95_8 Depth=1
	v_dual_mov_b32 v0, v1 :: v_dual_mov_b32 v1, v2
	v_dual_mov_b32 v2, v3 :: v_dual_mov_b32 v3, v8
; %bb.28:                               ;   in Loop: Header=BB95_8 Depth=1
	s_or_b32 exec_lo, exec_lo, s1
	s_delay_alu instid0(SALU_CYCLE_1) | instskip(SKIP_1) | instid1(VALU_DEP_1)
	s_or_b32 exec_lo, exec_lo, s0
	v_cmp_gt_u64_e64 s2, s[4:5], v[43:44]
	s_and_saveexec_b32 s0, s2
	s_cbranch_execnz .LBB95_11
	s_branch .LBB95_12
.LBB95_29:                              ;   in Loop: Header=BB95_8 Depth=1
	v_add_co_u32 v11, s3, s8, v33
	s_delay_alu instid0(VALU_DEP_1)
	v_add_co_ci_u32_e64 v12, s3, s9, v34, s3
	global_load_b32 v7, v[11:12], off
	s_or_b32 exec_lo, exec_lo, s26
	s_and_saveexec_b32 s26, s2
	s_cbranch_execz .LBB95_18
.LBB95_30:                              ;   in Loop: Header=BB95_8 Depth=1
	v_cvt_f32_u32_e32 v0, v0
	v_add_co_u32 v11, s3, s10, v23
	s_delay_alu instid0(VALU_DEP_1) | instskip(NEXT) | instid1(VALU_DEP_3)
	v_add_co_ci_u32_e64 v12, s3, s11, v24, s3
	v_fmaak_f32 v0, 0x2f800000, v0, 0x2f800000
	v_add_co_u32 v13, s3, s12, v19
	s_delay_alu instid0(VALU_DEP_1) | instskip(NEXT) | instid1(VALU_DEP_3)
	v_add_co_ci_u32_e64 v14, s3, s13, v20, s3
	v_cmp_gt_f32_e64 s2, s22, v0
	s_delay_alu instid0(VALU_DEP_1) | instskip(SKIP_2) | instid1(VALU_DEP_2)
	v_cndmask_b32_e64 v0, 0, 1.0, s2
	v_cndmask_b32_e64 v46, 0, 1, s2
	s_waitcnt vmcnt(0)
	v_mul_f32_e32 v0, v4, v0
	s_delay_alu instid0(VALU_DEP_1)
	v_mul_f32_e32 v0, v68, v0
	global_store_b32 v[11:12], v0, off
	global_store_b8 v[13:14], v46, off
	s_or_b32 exec_lo, exec_lo, s26
	s_and_saveexec_b32 s3, s1
	s_cbranch_execz .LBB95_19
.LBB95_31:                              ;   in Loop: Header=BB95_8 Depth=1
	v_cvt_f32_u32_e32 v0, v1
	s_delay_alu instid0(VALU_DEP_1) | instskip(NEXT) | instid1(VALU_DEP_1)
	v_fmaak_f32 v0, 0x2f800000, v0, 0x2f800000
	v_cmp_gt_f32_e64 s1, s22, v0
	v_add_co_u32 v0, s2, s10, v39
	s_delay_alu instid0(VALU_DEP_1) | instskip(NEXT) | instid1(VALU_DEP_3)
	v_add_co_ci_u32_e64 v1, s2, s11, v40, s2
	v_cndmask_b32_e64 v11, 0, 1.0, s1
	v_cndmask_b32_e64 v14, 0, 1, s1
	s_waitcnt vmcnt(0)
	s_delay_alu instid0(VALU_DEP_2) | instskip(SKIP_1) | instid1(VALU_DEP_1)
	v_mul_f32_e32 v13, v5, v11
	v_add_co_u32 v11, s2, s12, v27
	v_add_co_ci_u32_e64 v12, s2, s13, v28, s2
	s_delay_alu instid0(VALU_DEP_3)
	v_mul_f32_e32 v13, v68, v13
	global_store_b32 v[0:1], v13, off
	global_store_b8 v[11:12], v14, off
	s_or_b32 exec_lo, exec_lo, s3
	s_and_saveexec_b32 s2, s0
	s_cbranch_execz .LBB95_20
.LBB95_32:                              ;   in Loop: Header=BB95_8 Depth=1
	v_cvt_f32_u32_e32 v0, v2
	s_delay_alu instid0(VALU_DEP_1) | instskip(NEXT) | instid1(VALU_DEP_1)
	v_fmaak_f32 v0, 0x2f800000, v0, 0x2f800000
	v_cmp_gt_f32_e64 s0, s22, v0
	v_add_co_u32 v0, s1, s10, v35
	s_delay_alu instid0(VALU_DEP_1) | instskip(NEXT) | instid1(VALU_DEP_3)
	v_add_co_ci_u32_e64 v1, s1, s11, v36, s1
	v_cndmask_b32_e64 v2, 0, 1.0, s0
	v_add_co_u32 v11, s1, s12, v25
	s_delay_alu instid0(VALU_DEP_1) | instskip(SKIP_1) | instid1(VALU_DEP_3)
	v_add_co_ci_u32_e64 v12, s1, s13, v26, s1
	s_waitcnt vmcnt(0)
	v_mul_f32_e32 v2, v6, v2
	v_cndmask_b32_e64 v13, 0, 1, s0
	s_delay_alu instid0(VALU_DEP_2)
	v_mul_f32_e32 v2, v68, v2
	global_store_b32 v[0:1], v2, off
	global_store_b8 v[11:12], v13, off
	s_or_b32 exec_lo, exec_lo, s2
	s_and_saveexec_b32 s1, vcc_lo
	s_cbranch_execz .LBB95_7
.LBB95_33:                              ;   in Loop: Header=BB95_8 Depth=1
	v_cvt_f32_u32_e32 v0, v3
	s_delay_alu instid0(VALU_DEP_1) | instskip(NEXT) | instid1(VALU_DEP_1)
	v_fmaak_f32 v0, 0x2f800000, v0, 0x2f800000
	v_cmp_gt_f32_e32 vcc_lo, s22, v0
	v_add_co_u32 v0, s0, s10, v31
	s_delay_alu instid0(VALU_DEP_1) | instskip(SKIP_3) | instid1(VALU_DEP_2)
	v_add_co_ci_u32_e64 v1, s0, s11, v32, s0
	v_cndmask_b32_e64 v2, 0, 1.0, vcc_lo
	v_cndmask_b32_e64 v12, 0, 1, vcc_lo
	s_waitcnt vmcnt(0)
	v_mul_f32_e32 v11, v7, v2
	v_add_co_u32 v2, s0, s12, v21
	s_delay_alu instid0(VALU_DEP_1) | instskip(NEXT) | instid1(VALU_DEP_3)
	v_add_co_ci_u32_e64 v3, s0, s13, v22, s0
	v_mul_f32_e32 v11, v68, v11
	global_store_b32 v[0:1], v11, off
	global_store_b8 v[2:3], v12, off
	s_branch .LBB95_7
.LBB95_34:
	s_endpgm
.LBB95_35:
                                        ; implicit-def: $sgpr2_sgpr3
	s_branch .LBB95_4
	.section	.rodata,"a",@progbits
	.p2align	6, 0x0
	.amdhsa_kernel _ZN2at6native12_GLOBAL__N_120fused_dropout_kernelIffmLi1ELi1EhEEvNS_4cuda6detail10TensorInfoIKT_T1_EENS5_IS6_S8_EENS5_IT4_S8_EES8_T0_NS_15PhiloxCudaStateE
		.amdhsa_group_segment_fixed_size 0
		.amdhsa_private_segment_fixed_size 0
		.amdhsa_kernarg_size 1552
		.amdhsa_user_sgpr_count 15
		.amdhsa_user_sgpr_dispatch_ptr 0
		.amdhsa_user_sgpr_queue_ptr 0
		.amdhsa_user_sgpr_kernarg_segment_ptr 1
		.amdhsa_user_sgpr_dispatch_id 0
		.amdhsa_user_sgpr_private_segment_size 0
		.amdhsa_wavefront_size32 1
		.amdhsa_uses_dynamic_stack 0
		.amdhsa_enable_private_segment 0
		.amdhsa_system_sgpr_workgroup_id_x 1
		.amdhsa_system_sgpr_workgroup_id_y 0
		.amdhsa_system_sgpr_workgroup_id_z 0
		.amdhsa_system_sgpr_workgroup_info 0
		.amdhsa_system_vgpr_workitem_id 0
		.amdhsa_next_free_vgpr 69
		.amdhsa_next_free_sgpr 27
		.amdhsa_reserve_vcc 1
		.amdhsa_float_round_mode_32 0
		.amdhsa_float_round_mode_16_64 0
		.amdhsa_float_denorm_mode_32 3
		.amdhsa_float_denorm_mode_16_64 3
		.amdhsa_dx10_clamp 1
		.amdhsa_ieee_mode 1
		.amdhsa_fp16_overflow 0
		.amdhsa_workgroup_processor_mode 1
		.amdhsa_memory_ordered 1
		.amdhsa_forward_progress 0
		.amdhsa_shared_vgpr_count 0
		.amdhsa_exception_fp_ieee_invalid_op 0
		.amdhsa_exception_fp_denorm_src 0
		.amdhsa_exception_fp_ieee_div_zero 0
		.amdhsa_exception_fp_ieee_overflow 0
		.amdhsa_exception_fp_ieee_underflow 0
		.amdhsa_exception_fp_ieee_inexact 0
		.amdhsa_exception_int_div_zero 0
	.end_amdhsa_kernel
	.section	.text._ZN2at6native12_GLOBAL__N_120fused_dropout_kernelIffmLi1ELi1EhEEvNS_4cuda6detail10TensorInfoIKT_T1_EENS5_IS6_S8_EENS5_IT4_S8_EES8_T0_NS_15PhiloxCudaStateE,"axG",@progbits,_ZN2at6native12_GLOBAL__N_120fused_dropout_kernelIffmLi1ELi1EhEEvNS_4cuda6detail10TensorInfoIKT_T1_EENS5_IS6_S8_EENS5_IT4_S8_EES8_T0_NS_15PhiloxCudaStateE,comdat
.Lfunc_end95:
	.size	_ZN2at6native12_GLOBAL__N_120fused_dropout_kernelIffmLi1ELi1EhEEvNS_4cuda6detail10TensorInfoIKT_T1_EENS5_IS6_S8_EENS5_IT4_S8_EES8_T0_NS_15PhiloxCudaStateE, .Lfunc_end95-_ZN2at6native12_GLOBAL__N_120fused_dropout_kernelIffmLi1ELi1EhEEvNS_4cuda6detail10TensorInfoIKT_T1_EENS5_IS6_S8_EENS5_IT4_S8_EES8_T0_NS_15PhiloxCudaStateE
                                        ; -- End function
	.section	.AMDGPU.csdata,"",@progbits
; Kernel info:
; codeLenInByte = 3688
; NumSgprs: 29
; NumVgprs: 69
; ScratchSize: 0
; MemoryBound: 0
; FloatMode: 240
; IeeeMode: 1
; LDSByteSize: 0 bytes/workgroup (compile time only)
; SGPRBlocks: 3
; VGPRBlocks: 8
; NumSGPRsForWavesPerEU: 29
; NumVGPRsForWavesPerEU: 69
; Occupancy: 16
; WaveLimiterHint : 1
; COMPUTE_PGM_RSRC2:SCRATCH_EN: 0
; COMPUTE_PGM_RSRC2:USER_SGPR: 15
; COMPUTE_PGM_RSRC2:TRAP_HANDLER: 0
; COMPUTE_PGM_RSRC2:TGID_X_EN: 1
; COMPUTE_PGM_RSRC2:TGID_Y_EN: 0
; COMPUTE_PGM_RSRC2:TGID_Z_EN: 0
; COMPUTE_PGM_RSRC2:TIDIG_COMP_CNT: 0
	.section	.text._ZN2at6native12_GLOBAL__N_120fused_dropout_kernelIffmLin1ELi1EhEEvNS_4cuda6detail10TensorInfoIKT_T1_EENS5_IS6_S8_EENS5_IT4_S8_EES8_T0_NS_15PhiloxCudaStateE,"axG",@progbits,_ZN2at6native12_GLOBAL__N_120fused_dropout_kernelIffmLin1ELi1EhEEvNS_4cuda6detail10TensorInfoIKT_T1_EENS5_IS6_S8_EENS5_IT4_S8_EES8_T0_NS_15PhiloxCudaStateE,comdat
	.globl	_ZN2at6native12_GLOBAL__N_120fused_dropout_kernelIffmLin1ELi1EhEEvNS_4cuda6detail10TensorInfoIKT_T1_EENS5_IS6_S8_EENS5_IT4_S8_EES8_T0_NS_15PhiloxCudaStateE ; -- Begin function _ZN2at6native12_GLOBAL__N_120fused_dropout_kernelIffmLin1ELi1EhEEvNS_4cuda6detail10TensorInfoIKT_T1_EENS5_IS6_S8_EENS5_IT4_S8_EES8_T0_NS_15PhiloxCudaStateE
	.p2align	8
	.type	_ZN2at6native12_GLOBAL__N_120fused_dropout_kernelIffmLin1ELi1EhEEvNS_4cuda6detail10TensorInfoIKT_T1_EENS5_IS6_S8_EENS5_IT4_S8_EES8_T0_NS_15PhiloxCudaStateE,@function
_ZN2at6native12_GLOBAL__N_120fused_dropout_kernelIffmLin1ELi1EhEEvNS_4cuda6detail10TensorInfoIKT_T1_EENS5_IS6_S8_EENS5_IT4_S8_EES8_T0_NS_15PhiloxCudaStateE: ; @_ZN2at6native12_GLOBAL__N_120fused_dropout_kernelIffmLin1ELi1EhEEvNS_4cuda6detail10TensorInfoIKT_T1_EENS5_IS6_S8_EENS5_IT4_S8_EES8_T0_NS_15PhiloxCudaStateE
; %bb.0:
	s_clause 0x1
	s_load_b128 s[4:7], s[0:1], 0x4f0
	s_load_b32 s2, s[0:1], 0x508
	s_waitcnt lgkmcnt(0)
	v_dual_mov_b32 v1, s6 :: v_dual_mov_b32 v2, s7
	v_dual_mov_b32 v16, s5 :: v_dual_mov_b32 v15, s4
	s_bitcmp0_b32 s2, 0
	s_mov_b32 s2, 0
	s_cbranch_scc1 .LBB96_2
; %bb.1:
	v_dual_mov_b32 v1, s6 :: v_dual_mov_b32 v2, s7
	v_dual_mov_b32 v3, s4 :: v_dual_mov_b32 v4, s5
	s_load_b64 s[4:5], s[0:1], 0x500
	flat_load_b64 v[1:2], v[1:2]
	flat_load_b64 v[15:16], v[3:4]
	s_waitcnt vmcnt(1) lgkmcnt(0)
	v_add_co_u32 v1, vcc_lo, v1, s4
	v_add_co_ci_u32_e32 v2, vcc_lo, s5, v2, vcc_lo
.LBB96_2:
	s_clause 0x2
	s_load_b32 s3, s[0:1], 0x51c
	s_load_b64 s[6:7], s[0:1], 0x4e0
	s_load_b32 s4, s[0:1], 0x510
	s_waitcnt lgkmcnt(0)
	s_and_b32 s5, s3, 0xffff
	s_add_u32 s8, s6, -1
	s_mul_i32 s26, s4, s5
	s_addc_u32 s3, s7, -1
	s_lshl_b32 s27, s26, 2
	s_cmp_lg_u64 s[2:3], 0
	s_cbranch_scc0 .LBB96_63
; %bb.3:
	v_cvt_f32_u32_e32 v3, s27
	s_sub_u32 s10, 0, s27
	s_subb_u32 s11, 0, 0
	s_delay_alu instid0(VALU_DEP_1) | instskip(NEXT) | instid1(VALU_DEP_1)
	v_fmamk_f32 v3, 0, 0x4f800000, v3
	v_rcp_f32_e32 v3, v3
	s_waitcnt_depctr 0xfff
	v_mul_f32_e32 v3, 0x5f7ffffc, v3
	s_delay_alu instid0(VALU_DEP_1) | instskip(NEXT) | instid1(VALU_DEP_1)
	v_mul_f32_e32 v4, 0x2f800000, v3
	v_trunc_f32_e32 v4, v4
	s_delay_alu instid0(VALU_DEP_1) | instskip(SKIP_1) | instid1(VALU_DEP_2)
	v_fmamk_f32 v3, v4, 0xcf800000, v3
	v_cvt_u32_f32_e32 v4, v4
	v_cvt_u32_f32_e32 v3, v3
	s_delay_alu instid0(VALU_DEP_2) | instskip(NEXT) | instid1(VALU_DEP_2)
	v_readfirstlane_b32 s2, v4
	v_readfirstlane_b32 s9, v3
	s_delay_alu instid0(VALU_DEP_2) | instskip(NEXT) | instid1(VALU_DEP_1)
	s_mul_i32 s12, s10, s2
	s_mul_hi_u32 s14, s10, s9
	s_mul_i32 s13, s11, s9
	s_add_i32 s12, s14, s12
	s_mul_i32 s16, s10, s9
	s_add_i32 s12, s12, s13
	s_mul_hi_u32 s14, s9, s16
	s_mul_hi_u32 s17, s2, s16
	s_mul_i32 s13, s2, s16
	s_mul_hi_u32 s16, s9, s12
	s_mul_i32 s9, s9, s12
	s_mul_hi_u32 s18, s2, s12
	s_add_u32 s9, s14, s9
	s_addc_u32 s14, 0, s16
	s_add_u32 s9, s9, s13
	s_mul_i32 s12, s2, s12
	s_addc_u32 s9, s14, s17
	s_addc_u32 s13, s18, 0
	s_add_u32 s9, s9, s12
	s_addc_u32 s12, 0, s13
	v_add_co_u32 v3, s9, v3, s9
	s_delay_alu instid0(VALU_DEP_1) | instskip(SKIP_1) | instid1(VALU_DEP_1)
	s_cmp_lg_u32 s9, 0
	s_addc_u32 s2, s2, s12
	v_readfirstlane_b32 s9, v3
	s_mul_i32 s12, s10, s2
	s_delay_alu instid0(VALU_DEP_1)
	s_mul_hi_u32 s13, s10, s9
	s_mul_i32 s11, s11, s9
	s_add_i32 s12, s13, s12
	s_mul_i32 s10, s10, s9
	s_add_i32 s12, s12, s11
	s_mul_hi_u32 s13, s2, s10
	s_mul_i32 s14, s2, s10
	s_mul_hi_u32 s10, s9, s10
	s_mul_hi_u32 s16, s9, s12
	s_mul_i32 s9, s9, s12
	s_mul_hi_u32 s11, s2, s12
	s_add_u32 s9, s10, s9
	s_addc_u32 s10, 0, s16
	s_add_u32 s9, s9, s14
	s_mul_i32 s12, s2, s12
	s_addc_u32 s9, s10, s13
	s_addc_u32 s10, s11, 0
	s_add_u32 s9, s9, s12
	s_addc_u32 s10, 0, s10
	v_add_co_u32 v3, s9, v3, s9
	s_delay_alu instid0(VALU_DEP_1) | instskip(SKIP_1) | instid1(VALU_DEP_1)
	s_cmp_lg_u32 s9, 0
	s_addc_u32 s2, s2, s10
	v_readfirstlane_b32 s9, v3
	s_mul_i32 s11, s8, s2
	s_mul_hi_u32 s10, s8, s2
	s_mul_hi_u32 s12, s3, s2
	s_mul_i32 s2, s3, s2
	s_mul_hi_u32 s13, s8, s9
	s_mul_hi_u32 s14, s3, s9
	s_mul_i32 s9, s3, s9
	s_add_u32 s11, s13, s11
	s_addc_u32 s10, 0, s10
	s_add_u32 s9, s11, s9
	s_addc_u32 s9, s10, s14
	s_addc_u32 s10, s12, 0
	s_add_u32 s2, s9, s2
	s_addc_u32 s10, 0, s10
	s_mul_i32 s11, s27, s2
	s_add_u32 s9, s2, 1
	v_sub_co_u32 v3, s11, s8, s11
	s_mul_hi_u32 s12, s27, s2
	s_addc_u32 s13, s10, 0
	s_mul_i32 s14, s27, s10
	s_delay_alu instid0(VALU_DEP_1)
	v_sub_co_u32 v4, s16, v3, s27
	s_add_u32 s17, s2, 2
	s_addc_u32 s18, s10, 0
	s_add_i32 s12, s12, s14
	s_cmp_lg_u32 s11, 0
	v_readfirstlane_b32 s11, v4
	s_subb_u32 s3, s3, s12
	s_cmp_lg_u32 s16, 0
	s_subb_u32 s12, s3, 0
	s_delay_alu instid0(VALU_DEP_1) | instskip(SKIP_4) | instid1(SALU_CYCLE_1)
	s_cmp_ge_u32 s11, s27
	s_cselect_b32 s11, -1, 0
	s_cmp_eq_u32 s12, 0
	v_readfirstlane_b32 s12, v3
	s_cselect_b32 s11, s11, -1
	s_cmp_lg_u32 s11, 0
	s_cselect_b32 s11, s17, s9
	s_cselect_b32 s13, s18, s13
	s_cmp_ge_u32 s12, s27
	s_cselect_b32 s9, -1, 0
	s_cmp_eq_u32 s3, 0
	s_cselect_b32 s3, s9, -1
	s_delay_alu instid0(SALU_CYCLE_1)
	s_cmp_lg_u32 s3, 0
	s_cselect_b32 s3, s13, s10
	s_cselect_b32 s2, s11, s2
	s_cbranch_execnz .LBB96_5
.LBB96_4:
	v_cvt_f32_u32_e32 v3, s27
	s_sub_i32 s3, 0, s27
	s_delay_alu instid0(VALU_DEP_1) | instskip(SKIP_2) | instid1(VALU_DEP_1)
	v_rcp_iflag_f32_e32 v3, v3
	s_waitcnt_depctr 0xfff
	v_mul_f32_e32 v3, 0x4f7ffffe, v3
	v_cvt_u32_f32_e32 v3, v3
	s_delay_alu instid0(VALU_DEP_1) | instskip(NEXT) | instid1(VALU_DEP_1)
	v_readfirstlane_b32 s2, v3
	s_mul_i32 s3, s3, s2
	s_delay_alu instid0(SALU_CYCLE_1) | instskip(NEXT) | instid1(SALU_CYCLE_1)
	s_mul_hi_u32 s3, s2, s3
	s_add_i32 s2, s2, s3
	s_delay_alu instid0(SALU_CYCLE_1) | instskip(NEXT) | instid1(SALU_CYCLE_1)
	s_mul_hi_u32 s2, s8, s2
	s_mul_i32 s3, s2, s27
	s_delay_alu instid0(SALU_CYCLE_1)
	s_sub_i32 s3, s8, s3
	s_add_i32 s8, s2, 1
	s_sub_i32 s9, s3, s27
	s_cmp_ge_u32 s3, s27
	s_cselect_b32 s2, s8, s2
	s_cselect_b32 s3, s9, s3
	s_add_i32 s8, s2, 1
	s_cmp_ge_u32 s3, s27
	s_mov_b32 s3, 0
	s_cselect_b32 s2, s8, s2
.LBB96_5:
	s_delay_alu instid0(SALU_CYCLE_1)
	s_add_u32 s2, s2, 1
	s_addc_u32 s3, s3, 0
	v_mov_b32_e32 v19, 0
	v_mad_u64_u32 v[17:18], null, s15, s5, v[0:1]
	s_mul_i32 s3, s26, s3
	s_mul_hi_u32 s8, s26, s2
	s_mul_hi_u32 s4, s4, s5
	s_add_i32 s3, s8, s3
	s_mul_i32 s4, s4, s2
	v_mov_b32_e32 v18, v19
	s_add_i32 s3, s3, s4
	s_mul_i32 s2, s26, s2
	s_delay_alu instid0(SALU_CYCLE_1)
	s_lshl_b64 s[8:9], s[2:3], 2
	s_mov_b32 s2, exec_lo
	v_cmpx_gt_u64_e64 s[8:9], v[17:18]
	s_cbranch_execz .LBB96_62
; %bb.6:
	v_alignbit_b32 v32, v2, v1, 2
	v_mad_u64_u32 v[3:4], null, 0xcd9e8d57, v17, 0
	v_lshrrev_b32_e32 v33, 2, v2
	s_waitcnt vmcnt(0)
	v_dual_mov_b32 v10, v16 :: v_dual_add_nc_u32 v41, 0x8ff34781, v15
	v_mad_u64_u32 v[5:6], null, 0xd2511f53, v32, 0
	v_add_co_u32 v35, null, 0x9e3779b9, v15
	v_xor3_b32 v0, v15, v4, v33
	s_delay_alu instid0(VALU_DEP_4) | instskip(SKIP_2) | instid1(VALU_DEP_4)
	v_add_co_u32 v34, null, 0xbb67ae85, v10
	v_add_co_u32 v36, null, 0x3c6ef372, v15
	v_xor_b32_e32 v2, v6, v16
	v_mad_u64_u32 v[6:7], null, 0xd2511f53, v0, 0
	v_add_co_u32 v37, null, 0x76cf5d0a, v10
	s_delay_alu instid0(VALU_DEP_3)
	v_mad_u64_u32 v[8:9], null, 0xcd9e8d57, v2, 0
	s_clause 0x2
	s_load_b64 s[10:11], s[0:1], 0x270
	s_load_b64 s[12:13], s[0:1], 0x340
	s_load_b32 s28, s[0:1], 0x4e8
	v_add_co_u32 v38, null, 0xdaa66d2b, v15
	v_xor3_b32 v0, v34, v7, v5
	v_add_co_u32 v39, null, 0x32370b8f, v10
	v_xor3_b32 v7, v9, v35, v3
	v_add_co_u32 v42, null, 0x78dde6e4, v15
	s_delay_alu instid0(VALU_DEP_4) | instskip(NEXT) | instid1(VALU_DEP_3)
	v_mad_u64_u32 v[2:3], null, 0xcd9e8d57, v0, 0
	v_mad_u64_u32 v[4:5], null, 0xd2511f53, v7, 0
	v_add_co_u32 v43, null, 0xed9eba14, v10
	v_add_co_u32 v46, null, 0xa9066899, v10
	s_delay_alu instid0(VALU_DEP_4)
	v_xor3_b32 v0, v36, v3, v8
	v_add_co_u32 v47, null, 0x1715609d, v15
	v_xor3_b32 v3, v5, v37, v6
	s_waitcnt lgkmcnt(0)
	v_div_scale_f32 v13, vcc_lo, 1.0, s28, 1.0
	v_mad_u64_u32 v[5:6], null, 0xd2511f53, v0, 0
	s_delay_alu instid0(VALU_DEP_3)
	v_mad_u64_u32 v[7:8], null, 0xcd9e8d57, v3, 0
	v_and_b32_e32 v40, 3, v1
	v_div_scale_f32 v11, null, s28, s28, 1.0
	v_add_co_u32 v45, null, 0xb54cda56, v15
	v_xor3_b32 v3, v39, v6, v4
	v_xor3_b32 v4, v8, v38, v2
	s_delay_alu instid0(VALU_DEP_4) | instskip(SKIP_1) | instid1(VALU_DEP_3)
	v_rcp_f32_e32 v12, v11
	v_add_co_u32 v50, null, 0x646e171e, v10
	v_mad_u64_u32 v[0:1], null, 0xcd9e8d57, v3, 0
	s_delay_alu instid0(VALU_DEP_3) | instskip(SKIP_2) | instid1(VALU_DEP_4)
	v_mad_u64_u32 v[2:3], null, 0xd2511f53, v4, 0
	v_add_co_u32 v48, null, 0x5384540f, v15
	v_add_co_u32 v51, null, 0x1fd5c5a3, v10
	v_xor3_b32 v1, v42, v1, v7
	s_clause 0x1
	s_load_b64 s[14:15], s[0:1], 0x1a0
	s_load_b32 s20, s[0:1], 0x198
	s_delay_alu instid0(VALU_DEP_4) | instskip(SKIP_2) | instid1(VALU_DEP_3)
	v_xor3_b32 v7, v3, v43, v5
	v_dual_mov_b32 v22, v18 :: v_dual_mov_b32 v53, 0
	v_mad_u64_u32 v[3:4], null, 0xd2511f53, v1, 0
	v_mad_u64_u32 v[5:6], null, 0xcd9e8d57, v7, 0
	v_dual_mov_b32 v21, v17 :: v_dual_add_nc_u32 v44, 0x96a522ad, v16
	v_add_co_u32 v49, null, 0xf1bbcdc8, v15
	s_delay_alu instid0(VALU_DEP_4)
	v_xor3_b32 v2, v46, v4, v2
	v_add_co_u32 v18, null, 0xdb3d7428, v10
	v_xor3_b32 v4, v6, v47, v0
	s_clause 0x1
	s_load_b64 s[16:17], s[0:1], 0xd0
	s_load_b64 s[18:19], s[0:1], 0x0
	v_mad_u64_u32 v[0:1], null, 0xcd9e8d57, v2, 0
	v_fma_f32 v2, -v11, v12, 1.0
	v_mad_u64_u32 v[6:7], null, 0xd2511f53, v4, 0
	s_waitcnt lgkmcnt(0)
	s_cmp_gt_i32 s20, 1
	s_mov_b32 s5, 0
	v_fmac_f32_e32 v12, v2, v12
	s_delay_alu instid0(VALU_DEP_4)
	v_xor3_b32 v4, v45, v1, v5
	s_cselect_b32 s30, -1, 0
	s_add_i32 s4, s20, -1
	v_xor3_b32 v5, v7, v50, v3
	v_mul_f32_e32 v7, v13, v12
	v_mad_u64_u32 v[1:2], null, 0xd2511f53, v4, 0
	s_lshl_b64 s[2:3], s[4:5], 3
	s_delay_alu instid0(VALU_DEP_3) | instskip(SKIP_3) | instid1(VALU_DEP_2)
	v_mad_u64_u32 v[3:4], null, 0xcd9e8d57, v5, 0
	s_lshl_b32 s31, s26, 1
	s_add_i32 s33, s20, 1
	s_add_u32 s0, s2, s0
	v_xor3_b32 v2, v51, v2, v6
	v_fma_f32 v6, -v11, v7, v13
	s_addc_u32 s1, s3, s1
	s_delay_alu instid0(VALU_DEP_3) | instskip(SKIP_3) | instid1(VALU_DEP_3)
	v_xor3_b32 v0, v4, v48, v0
	s_add_u32 s20, s0, 8
	v_mad_u64_u32 v[4:5], null, 0xcd9e8d57, v2, 0
	v_fmac_f32_e32 v7, v6, v12
	v_mad_u64_u32 v[8:9], null, 0xd2511f53, v0, 0
	s_mul_i32 s29, s26, 3
	s_addc_u32 s21, s1, 0
	s_delay_alu instid0(VALU_DEP_3) | instskip(NEXT) | instid1(VALU_DEP_2)
	v_xor3_b32 v2, v49, v5, v3
	v_xor3_b32 v3, v9, v18, v1
	v_fma_f32 v9, -v11, v7, v13
	s_delay_alu instid0(VALU_DEP_3) | instskip(NEXT) | instid1(VALU_DEP_3)
	v_mad_u64_u32 v[0:1], null, 0xd2511f53, v2, 0
	v_mad_u64_u32 v[5:6], null, 0xcd9e8d57, v3, 0
	s_delay_alu instid0(VALU_DEP_3) | instskip(NEXT) | instid1(VALU_DEP_3)
	v_div_fmas_f32 v2, v9, v12, v7
	v_mov_b32_e32 v7, v0
	s_delay_alu instid0(VALU_DEP_2) | instskip(NEXT) | instid1(VALU_DEP_4)
	v_div_fixup_f32 v52, v2, s28, 1.0
	v_xor3_b32 v4, v4, v6, v41
	v_xor3_b32 v6, v1, v8, v44
                                        ; implicit-def: $vgpr0_vgpr1_vgpr2_vgpr3
	s_branch .LBB96_8
.LBB96_7:                               ;   in Loop: Header=BB96_8 Depth=1
	s_or_b32 exec_lo, exec_lo, s1
	v_add_co_u32 v21, vcc_lo, v21, s27
	v_add_co_ci_u32_e32 v22, vcc_lo, 0, v22, vcc_lo
	v_mov_b32_e32 v11, v23
	v_dual_mov_b32 v4, v8 :: v_dual_mov_b32 v5, v9
	s_delay_alu instid0(VALU_DEP_3) | instskip(NEXT) | instid1(VALU_DEP_3)
	v_cmp_le_u64_e32 vcc_lo, s[8:9], v[21:22]
	v_dual_mov_b32 v6, v10 :: v_dual_mov_b32 v7, v11
	s_waitcnt vmcnt(0)
	s_waitcnt_vscnt null, 0x0
	s_barrier
	buffer_gl0_inv
	s_or_b32 s5, vcc_lo, s5
	s_delay_alu instid0(SALU_CYCLE_1)
	s_and_not1_b32 exec_lo, exec_lo, s5
	s_cbranch_execz .LBB96_62
.LBB96_8:                               ; =>This Loop Header: Depth=1
                                        ;     Child Loop BB96_20 Depth 2
                                        ;     Child Loop BB96_29 Depth 2
	;; [unrolled: 1-line block ×4, first 2 shown]
	v_add_co_u32 v32, vcc_lo, v32, 1
	s_delay_alu instid0(VALU_DEP_1) | instskip(SKIP_2) | instid1(VALU_DEP_1)
	v_cndmask_b32_e64 v8, 0, 1, vcc_lo
	v_add_co_ci_u32_e32 v33, vcc_lo, 0, v33, vcc_lo
	s_mov_b32 s0, exec_lo
	v_cmp_eq_u32_e32 vcc_lo, 0, v33
	s_delay_alu instid0(VALU_DEP_3) | instskip(NEXT) | instid1(VALU_DEP_1)
	v_cndmask_b32_e32 v8, 0, v8, vcc_lo
	v_add_nc_u32_e32 v17, v8, v17
	s_delay_alu instid0(VALU_DEP_1) | instskip(SKIP_2) | instid1(VALU_DEP_2)
	v_cmp_eq_u32_e32 vcc_lo, 0, v17
	v_cndmask_b32_e32 v8, 0, v8, vcc_lo
	v_mad_u64_u32 v[10:11], null, 0xcd9e8d57, v17, 0
	v_add_nc_u32_e32 v53, v8, v53
	v_mad_u64_u32 v[8:9], null, 0xd2511f53, v32, 0
	s_delay_alu instid0(VALU_DEP_3) | instskip(NEXT) | instid1(VALU_DEP_2)
	v_xor3_b32 v13, v11, v15, v33
	v_xor_b32_e32 v9, v9, v16
	s_delay_alu instid0(VALU_DEP_2) | instskip(NEXT) | instid1(VALU_DEP_2)
	v_mad_u64_u32 v[11:12], null, 0xd2511f53, v13, 0
	v_xor_b32_e32 v9, v53, v9
	s_delay_alu instid0(VALU_DEP_2) | instskip(NEXT) | instid1(VALU_DEP_2)
	v_xor3_b32 v12, v34, v12, v8
	v_mad_u64_u32 v[13:14], null, 0xcd9e8d57, v9, 0
	s_delay_alu instid0(VALU_DEP_2) | instskip(NEXT) | instid1(VALU_DEP_2)
	v_mad_u64_u32 v[8:9], null, 0xcd9e8d57, v12, 0
	v_xor3_b32 v10, v35, v14, v10
	s_delay_alu instid0(VALU_DEP_2) | instskip(NEXT) | instid1(VALU_DEP_2)
	v_xor3_b32 v12, v36, v9, v13
	v_mad_u64_u32 v[23:24], null, 0xd2511f53, v10, 0
	s_delay_alu instid0(VALU_DEP_2) | instskip(NEXT) | instid1(VALU_DEP_2)
	v_mad_u64_u32 v[9:10], null, 0xd2511f53, v12, 0
	v_xor3_b32 v13, v37, v24, v11
	s_delay_alu instid0(VALU_DEP_2) | instskip(NEXT) | instid1(VALU_DEP_2)
	v_xor3_b32 v10, v39, v10, v23
	v_mad_u64_u32 v[11:12], null, 0xcd9e8d57, v13, 0
	s_delay_alu instid0(VALU_DEP_1) | instskip(NEXT) | instid1(VALU_DEP_3)
	v_xor3_b32 v8, v38, v12, v8
	v_mad_u64_u32 v[12:13], null, 0xcd9e8d57, v10, 0
	s_delay_alu instid0(VALU_DEP_2) | instskip(NEXT) | instid1(VALU_DEP_2)
	v_mad_u64_u32 v[23:24], null, 0xd2511f53, v8, 0
	v_xor3_b32 v10, v42, v13, v11
	s_delay_alu instid0(VALU_DEP_2) | instskip(NEXT) | instid1(VALU_DEP_2)
	v_xor3_b32 v13, v43, v24, v9
	v_mad_u64_u32 v[8:9], null, 0xd2511f53, v10, 0
	s_delay_alu instid0(VALU_DEP_2) | instskip(NEXT) | instid1(VALU_DEP_2)
	v_mad_u64_u32 v[10:11], null, 0xcd9e8d57, v13, 0
	v_xor3_b32 v9, v46, v9, v23
	s_delay_alu instid0(VALU_DEP_2) | instskip(NEXT) | instid1(VALU_DEP_2)
	;; [unrolled: 6-line block ×6, first 2 shown]
	v_xor3_b32 v8, v10, v11, v41
	v_mov_b32_e32 v10, v14
	v_cmpx_lt_i32_e32 1, v40
	s_xor_b32 s0, exec_lo, s0
	s_cbranch_execnz .LBB96_11
; %bb.9:                                ;   in Loop: Header=BB96_8 Depth=1
	s_and_not1_saveexec_b32 s0, s0
	s_cbranch_execnz .LBB96_16
.LBB96_10:                              ;   in Loop: Header=BB96_8 Depth=1
	s_or_b32 exec_lo, exec_lo, s0
	v_cmp_gt_u64_e64 s0, s[6:7], v[21:22]
	s_delay_alu instid0(VALU_DEP_1)
	s_and_saveexec_b32 s4, s0
	s_cbranch_execnz .LBB96_19
	s_branch .LBB96_27
.LBB96_11:                              ;   in Loop: Header=BB96_8 Depth=1
	s_mov_b32 s1, exec_lo
	v_cmpx_lt_i32_e32 2, v40
	s_xor_b32 s1, exec_lo, s1
; %bb.12:                               ;   in Loop: Header=BB96_8 Depth=1
	v_dual_mov_b32 v11, v7 :: v_dual_mov_b32 v12, v8
	v_mov_b32_e32 v13, v9
	s_delay_alu instid0(VALU_DEP_2) | instskip(NEXT) | instid1(VALU_DEP_2)
	v_dual_mov_b32 v4, v11 :: v_dual_mov_b32 v5, v12
	v_dual_mov_b32 v6, v13 :: v_dual_mov_b32 v7, v14
; %bb.13:                               ;   in Loop: Header=BB96_8 Depth=1
	s_and_not1_saveexec_b32 s1, s1
; %bb.14:                               ;   in Loop: Header=BB96_8 Depth=1
	s_delay_alu instid0(VALU_DEP_1)
	v_dual_mov_b32 v4, v6 :: v_dual_mov_b32 v5, v7
	v_dual_mov_b32 v6, v8 :: v_dual_mov_b32 v7, v9
; %bb.15:                               ;   in Loop: Header=BB96_8 Depth=1
	s_or_b32 exec_lo, exec_lo, s1
	s_and_not1_saveexec_b32 s0, s0
	s_cbranch_execz .LBB96_10
.LBB96_16:                              ;   in Loop: Header=BB96_8 Depth=1
	s_mov_b32 s1, exec_lo
	v_cmpx_eq_u32_e32 1, v40
; %bb.17:                               ;   in Loop: Header=BB96_8 Depth=1
	v_dual_mov_b32 v4, v5 :: v_dual_mov_b32 v5, v6
	v_dual_mov_b32 v6, v7 :: v_dual_mov_b32 v7, v8
; %bb.18:                               ;   in Loop: Header=BB96_8 Depth=1
	s_or_b32 exec_lo, exec_lo, s1
	s_delay_alu instid0(SALU_CYCLE_1) | instskip(SKIP_1) | instid1(VALU_DEP_1)
	s_or_b32 exec_lo, exec_lo, s0
	v_cmp_gt_u64_e64 s0, s[6:7], v[21:22]
	s_and_saveexec_b32 s4, s0
	s_cbranch_execz .LBB96_27
.LBB96_19:                              ;   in Loop: Header=BB96_8 Depth=1
	v_mov_b32_e32 v11, 0
	v_dual_mov_b32 v12, 0 :: v_dual_mov_b32 v13, v21
	v_mov_b32_e32 v14, v22
	v_dual_mov_b32 v25, v22 :: v_dual_mov_b32 v24, v21
	s_and_not1_b32 vcc_lo, exec_lo, s30
	s_mov_b64 s[2:3], s[20:21]
	s_mov_b32 s24, s33
	s_cbranch_vccnz .LBB96_26
.LBB96_20:                              ;   Parent Loop BB96_8 Depth=1
                                        ; =>  This Inner Loop Header: Depth=2
	s_load_b64 s[22:23], s[2:3], 0x0
                                        ; implicit-def: $vgpr24_vgpr25
	s_mov_b32 s1, exec_lo
	s_waitcnt lgkmcnt(0)
	v_or_b32_e32 v20, s23, v14
	s_delay_alu instid0(VALU_DEP_1)
	v_cmpx_ne_u64_e32 0, v[19:20]
	s_xor_b32 s25, exec_lo, s1
	s_cbranch_execz .LBB96_22
; %bb.21:                               ;   in Loop: Header=BB96_20 Depth=2
	v_cvt_f32_u32_e32 v0, s22
	v_cvt_f32_u32_e32 v20, s23
	s_sub_u32 s1, 0, s22
	s_subb_u32 s34, 0, s23
	s_delay_alu instid0(VALU_DEP_1) | instskip(NEXT) | instid1(VALU_DEP_1)
	v_fmac_f32_e32 v0, 0x4f800000, v20
	v_rcp_f32_e32 v0, v0
	s_waitcnt_depctr 0xfff
	v_mul_f32_e32 v0, 0x5f7ffffc, v0
	s_delay_alu instid0(VALU_DEP_1) | instskip(NEXT) | instid1(VALU_DEP_1)
	v_mul_f32_e32 v20, 0x2f800000, v0
	v_trunc_f32_e32 v20, v20
	s_delay_alu instid0(VALU_DEP_1) | instskip(SKIP_1) | instid1(VALU_DEP_2)
	v_fmac_f32_e32 v0, 0xcf800000, v20
	v_cvt_u32_f32_e32 v20, v20
	v_cvt_u32_f32_e32 v0, v0
	s_delay_alu instid0(VALU_DEP_2) | instskip(NEXT) | instid1(VALU_DEP_2)
	v_mul_lo_u32 v24, s1, v20
	v_mul_hi_u32 v25, s1, v0
	v_mul_lo_u32 v26, s34, v0
	s_delay_alu instid0(VALU_DEP_2) | instskip(SKIP_1) | instid1(VALU_DEP_2)
	v_add_nc_u32_e32 v24, v25, v24
	v_mul_lo_u32 v25, s1, v0
	v_add_nc_u32_e32 v24, v24, v26
	s_delay_alu instid0(VALU_DEP_2) | instskip(NEXT) | instid1(VALU_DEP_2)
	v_mul_hi_u32 v26, v0, v25
	v_mul_lo_u32 v27, v0, v24
	v_mul_hi_u32 v28, v0, v24
	v_mul_hi_u32 v29, v20, v25
	v_mul_lo_u32 v25, v20, v25
	v_mul_hi_u32 v30, v20, v24
	v_mul_lo_u32 v24, v20, v24
	v_add_co_u32 v26, vcc_lo, v26, v27
	v_add_co_ci_u32_e32 v27, vcc_lo, 0, v28, vcc_lo
	s_delay_alu instid0(VALU_DEP_2) | instskip(NEXT) | instid1(VALU_DEP_2)
	v_add_co_u32 v25, vcc_lo, v26, v25
	v_add_co_ci_u32_e32 v25, vcc_lo, v27, v29, vcc_lo
	v_add_co_ci_u32_e32 v26, vcc_lo, 0, v30, vcc_lo
	s_delay_alu instid0(VALU_DEP_2) | instskip(NEXT) | instid1(VALU_DEP_2)
	v_add_co_u32 v24, vcc_lo, v25, v24
	v_add_co_ci_u32_e32 v25, vcc_lo, 0, v26, vcc_lo
	s_delay_alu instid0(VALU_DEP_2) | instskip(NEXT) | instid1(VALU_DEP_2)
	v_add_co_u32 v0, vcc_lo, v0, v24
	v_add_co_ci_u32_e32 v20, vcc_lo, v20, v25, vcc_lo
	s_delay_alu instid0(VALU_DEP_2) | instskip(SKIP_1) | instid1(VALU_DEP_3)
	v_mul_hi_u32 v24, s1, v0
	v_mul_lo_u32 v26, s34, v0
	v_mul_lo_u32 v25, s1, v20
	s_delay_alu instid0(VALU_DEP_1) | instskip(SKIP_1) | instid1(VALU_DEP_2)
	v_add_nc_u32_e32 v24, v24, v25
	v_mul_lo_u32 v25, s1, v0
	v_add_nc_u32_e32 v24, v24, v26
	s_delay_alu instid0(VALU_DEP_2) | instskip(NEXT) | instid1(VALU_DEP_2)
	v_mul_hi_u32 v26, v0, v25
	v_mul_lo_u32 v27, v0, v24
	v_mul_hi_u32 v28, v0, v24
	v_mul_hi_u32 v29, v20, v25
	v_mul_lo_u32 v25, v20, v25
	v_mul_hi_u32 v30, v20, v24
	v_mul_lo_u32 v24, v20, v24
	v_add_co_u32 v26, vcc_lo, v26, v27
	v_add_co_ci_u32_e32 v27, vcc_lo, 0, v28, vcc_lo
	s_delay_alu instid0(VALU_DEP_2) | instskip(NEXT) | instid1(VALU_DEP_2)
	v_add_co_u32 v25, vcc_lo, v26, v25
	v_add_co_ci_u32_e32 v25, vcc_lo, v27, v29, vcc_lo
	v_add_co_ci_u32_e32 v26, vcc_lo, 0, v30, vcc_lo
	s_delay_alu instid0(VALU_DEP_2) | instskip(NEXT) | instid1(VALU_DEP_2)
	v_add_co_u32 v24, vcc_lo, v25, v24
	v_add_co_ci_u32_e32 v25, vcc_lo, 0, v26, vcc_lo
	s_delay_alu instid0(VALU_DEP_2) | instskip(NEXT) | instid1(VALU_DEP_2)
	v_add_co_u32 v0, vcc_lo, v0, v24
	v_add_co_ci_u32_e32 v20, vcc_lo, v20, v25, vcc_lo
	s_delay_alu instid0(VALU_DEP_2) | instskip(SKIP_1) | instid1(VALU_DEP_3)
	v_mul_hi_u32 v30, v13, v0
	v_mad_u64_u32 v[26:27], null, v14, v0, 0
	v_mad_u64_u32 v[24:25], null, v13, v20, 0
	v_mad_u64_u32 v[28:29], null, v14, v20, 0
	s_delay_alu instid0(VALU_DEP_2) | instskip(NEXT) | instid1(VALU_DEP_3)
	v_add_co_u32 v0, vcc_lo, v30, v24
	v_add_co_ci_u32_e32 v20, vcc_lo, 0, v25, vcc_lo
	s_delay_alu instid0(VALU_DEP_2) | instskip(NEXT) | instid1(VALU_DEP_2)
	v_add_co_u32 v0, vcc_lo, v0, v26
	v_add_co_ci_u32_e32 v0, vcc_lo, v20, v27, vcc_lo
	v_add_co_ci_u32_e32 v20, vcc_lo, 0, v29, vcc_lo
	s_delay_alu instid0(VALU_DEP_2) | instskip(NEXT) | instid1(VALU_DEP_2)
	v_add_co_u32 v0, vcc_lo, v0, v28
	v_add_co_ci_u32_e32 v20, vcc_lo, 0, v20, vcc_lo
	s_delay_alu instid0(VALU_DEP_2) | instskip(SKIP_1) | instid1(VALU_DEP_3)
	v_mul_lo_u32 v26, s23, v0
	v_mad_u64_u32 v[24:25], null, s22, v0, 0
	v_mul_lo_u32 v27, s22, v20
	s_delay_alu instid0(VALU_DEP_2) | instskip(NEXT) | instid1(VALU_DEP_2)
	v_sub_co_u32 v24, vcc_lo, v13, v24
	v_add3_u32 v25, v25, v27, v26
	s_delay_alu instid0(VALU_DEP_1) | instskip(NEXT) | instid1(VALU_DEP_1)
	v_sub_nc_u32_e32 v26, v14, v25
	v_subrev_co_ci_u32_e64 v26, s1, s23, v26, vcc_lo
	v_add_co_u32 v27, s1, v0, 2
	s_delay_alu instid0(VALU_DEP_1) | instskip(SKIP_3) | instid1(VALU_DEP_3)
	v_add_co_ci_u32_e64 v28, s1, 0, v20, s1
	v_sub_co_u32 v29, s1, v24, s22
	v_sub_co_ci_u32_e32 v25, vcc_lo, v14, v25, vcc_lo
	v_subrev_co_ci_u32_e64 v26, s1, 0, v26, s1
	v_cmp_le_u32_e32 vcc_lo, s22, v29
	s_delay_alu instid0(VALU_DEP_3) | instskip(SKIP_1) | instid1(VALU_DEP_4)
	v_cmp_eq_u32_e64 s1, s23, v25
	v_cndmask_b32_e64 v29, 0, -1, vcc_lo
	v_cmp_le_u32_e32 vcc_lo, s23, v26
	v_cndmask_b32_e64 v30, 0, -1, vcc_lo
	v_cmp_le_u32_e32 vcc_lo, s22, v24
	;; [unrolled: 2-line block ×3, first 2 shown]
	v_cndmask_b32_e64 v31, 0, -1, vcc_lo
	v_cmp_eq_u32_e32 vcc_lo, s23, v26
	s_delay_alu instid0(VALU_DEP_2) | instskip(SKIP_3) | instid1(VALU_DEP_3)
	v_cndmask_b32_e64 v24, v31, v24, s1
	v_cndmask_b32_e32 v26, v30, v29, vcc_lo
	v_add_co_u32 v29, vcc_lo, v0, 1
	v_add_co_ci_u32_e32 v30, vcc_lo, 0, v20, vcc_lo
	v_cmp_ne_u32_e32 vcc_lo, 0, v26
	s_delay_alu instid0(VALU_DEP_2) | instskip(SKIP_1) | instid1(VALU_DEP_2)
	v_dual_cndmask_b32 v25, v30, v28 :: v_dual_cndmask_b32 v26, v29, v27
	v_cmp_ne_u32_e32 vcc_lo, 0, v24
	v_cndmask_b32_e32 v25, v20, v25, vcc_lo
	s_delay_alu instid0(VALU_DEP_3)
	v_cndmask_b32_e32 v24, v0, v26, vcc_lo
.LBB96_22:                              ;   in Loop: Header=BB96_20 Depth=2
	s_and_not1_saveexec_b32 s1, s25
	s_cbranch_execz .LBB96_24
; %bb.23:                               ;   in Loop: Header=BB96_20 Depth=2
	v_cvt_f32_u32_e32 v0, s22
	s_sub_i32 s25, 0, s22
	s_delay_alu instid0(VALU_DEP_1) | instskip(SKIP_2) | instid1(VALU_DEP_1)
	v_rcp_iflag_f32_e32 v0, v0
	s_waitcnt_depctr 0xfff
	v_mul_f32_e32 v0, 0x4f7ffffe, v0
	v_cvt_u32_f32_e32 v0, v0
	s_delay_alu instid0(VALU_DEP_1) | instskip(NEXT) | instid1(VALU_DEP_1)
	v_mul_lo_u32 v20, s25, v0
	v_mul_hi_u32 v20, v0, v20
	s_delay_alu instid0(VALU_DEP_1) | instskip(NEXT) | instid1(VALU_DEP_1)
	v_add_nc_u32_e32 v0, v0, v20
	v_mul_hi_u32 v0, v13, v0
	s_delay_alu instid0(VALU_DEP_1) | instskip(SKIP_1) | instid1(VALU_DEP_2)
	v_mul_lo_u32 v20, v0, s22
	v_add_nc_u32_e32 v24, 1, v0
	v_sub_nc_u32_e32 v20, v13, v20
	s_delay_alu instid0(VALU_DEP_1) | instskip(SKIP_1) | instid1(VALU_DEP_2)
	v_subrev_nc_u32_e32 v25, s22, v20
	v_cmp_le_u32_e32 vcc_lo, s22, v20
	v_dual_cndmask_b32 v20, v20, v25 :: v_dual_mov_b32 v25, v19
	v_cndmask_b32_e32 v0, v0, v24, vcc_lo
	s_delay_alu instid0(VALU_DEP_2) | instskip(NEXT) | instid1(VALU_DEP_2)
	v_cmp_le_u32_e32 vcc_lo, s22, v20
	v_add_nc_u32_e32 v24, 1, v0
	s_delay_alu instid0(VALU_DEP_1)
	v_cndmask_b32_e32 v24, v0, v24, vcc_lo
.LBB96_24:                              ;   in Loop: Header=BB96_20 Depth=2
	s_or_b32 exec_lo, exec_lo, s1
	s_load_b64 s[34:35], s[2:3], 0xc8
	v_mul_lo_u32 v0, v25, s22
	s_delay_alu instid0(VALU_DEP_2)
	v_mul_lo_u32 v20, v24, s23
	v_mad_u64_u32 v[26:27], null, v24, s22, 0
	s_add_i32 s24, s24, -1
	s_add_u32 s2, s2, -8
	s_addc_u32 s3, s3, -1
	s_cmp_gt_u32 s24, 2
	s_delay_alu instid0(VALU_DEP_1) | instskip(NEXT) | instid1(VALU_DEP_2)
	v_add3_u32 v0, v27, v20, v0
	v_sub_co_u32 v20, vcc_lo, v13, v26
	s_delay_alu instid0(VALU_DEP_2) | instskip(SKIP_1) | instid1(VALU_DEP_2)
	v_sub_co_ci_u32_e32 v0, vcc_lo, v14, v0, vcc_lo
	s_waitcnt lgkmcnt(0)
	v_mul_lo_u32 v26, s35, v20
	s_delay_alu instid0(VALU_DEP_2) | instskip(SKIP_1) | instid1(VALU_DEP_1)
	v_mul_lo_u32 v0, s34, v0
	v_mad_u64_u32 v[13:14], null, s34, v20, v[11:12]
	v_add3_u32 v12, v26, v14, v0
	s_delay_alu instid0(VALU_DEP_2)
	v_mov_b32_e32 v11, v13
	s_cbranch_scc0 .LBB96_26
; %bb.25:                               ;   in Loop: Header=BB96_20 Depth=2
	v_dual_mov_b32 v13, v24 :: v_dual_mov_b32 v14, v25
	s_branch .LBB96_20
.LBB96_26:                              ;   in Loop: Header=BB96_8 Depth=1
	v_mul_lo_u32 v0, s17, v24
	v_mul_lo_u32 v20, s16, v25
	v_mad_u64_u32 v[13:14], null, s16, v24, 0
	v_lshlrev_b64 v[11:12], 2, v[11:12]
	s_delay_alu instid0(VALU_DEP_2) | instskip(NEXT) | instid1(VALU_DEP_1)
	v_add3_u32 v14, v14, v20, v0
	v_lshlrev_b64 v[13:14], 2, v[13:14]
	s_delay_alu instid0(VALU_DEP_1) | instskip(NEXT) | instid1(VALU_DEP_2)
	v_add_co_u32 v0, vcc_lo, s18, v13
	v_add_co_ci_u32_e32 v13, vcc_lo, s19, v14, vcc_lo
	s_delay_alu instid0(VALU_DEP_2) | instskip(NEXT) | instid1(VALU_DEP_2)
	v_add_co_u32 v11, vcc_lo, v0, v11
	v_add_co_ci_u32_e32 v12, vcc_lo, v13, v12, vcc_lo
	global_load_b32 v0, v[11:12], off
.LBB96_27:                              ;   in Loop: Header=BB96_8 Depth=1
	s_or_b32 exec_lo, exec_lo, s4
	v_add_co_u32 v11, vcc_lo, v21, s26
	v_add_co_ci_u32_e32 v12, vcc_lo, 0, v22, vcc_lo
	s_delay_alu instid0(VALU_DEP_1) | instskip(NEXT) | instid1(VALU_DEP_1)
	v_cmp_gt_u64_e64 s1, s[6:7], v[11:12]
	s_and_saveexec_b32 s3, s1
	s_cbranch_execz .LBB96_36
; %bb.28:                               ;   in Loop: Header=BB96_8 Depth=1
	v_mov_b32_e32 v13, 0
	v_dual_mov_b32 v14, 0 :: v_dual_mov_b32 v25, v12
	v_dual_mov_b32 v24, v11 :: v_dual_mov_b32 v27, v12
	v_mov_b32_e32 v26, v11
	s_and_not1_b32 vcc_lo, exec_lo, s30
	s_mov_b64 s[22:23], s[20:21]
	s_mov_b32 s4, s33
	s_cbranch_vccnz .LBB96_35
.LBB96_29:                              ;   Parent Loop BB96_8 Depth=1
                                        ; =>  This Inner Loop Header: Depth=2
	s_load_b64 s[24:25], s[22:23], 0x0
                                        ; implicit-def: $vgpr26_vgpr27
	s_mov_b32 s2, exec_lo
	s_waitcnt lgkmcnt(0)
	v_or_b32_e32 v20, s25, v25
	s_delay_alu instid0(VALU_DEP_1)
	v_cmpx_ne_u64_e32 0, v[19:20]
	s_xor_b32 s34, exec_lo, s2
	s_cbranch_execz .LBB96_31
; %bb.30:                               ;   in Loop: Header=BB96_29 Depth=2
	v_cvt_f32_u32_e32 v1, s24
	v_cvt_f32_u32_e32 v20, s25
	s_sub_u32 s2, 0, s24
	s_subb_u32 s35, 0, s25
	s_delay_alu instid0(VALU_DEP_1) | instskip(NEXT) | instid1(VALU_DEP_1)
	v_fmac_f32_e32 v1, 0x4f800000, v20
	v_rcp_f32_e32 v1, v1
	s_waitcnt_depctr 0xfff
	v_mul_f32_e32 v1, 0x5f7ffffc, v1
	s_delay_alu instid0(VALU_DEP_1) | instskip(NEXT) | instid1(VALU_DEP_1)
	v_mul_f32_e32 v20, 0x2f800000, v1
	v_trunc_f32_e32 v20, v20
	s_delay_alu instid0(VALU_DEP_1) | instskip(SKIP_1) | instid1(VALU_DEP_2)
	v_fmac_f32_e32 v1, 0xcf800000, v20
	v_cvt_u32_f32_e32 v20, v20
	v_cvt_u32_f32_e32 v1, v1
	s_delay_alu instid0(VALU_DEP_2) | instskip(NEXT) | instid1(VALU_DEP_2)
	v_mul_lo_u32 v26, s2, v20
	v_mul_hi_u32 v27, s2, v1
	v_mul_lo_u32 v28, s35, v1
	s_delay_alu instid0(VALU_DEP_2) | instskip(SKIP_1) | instid1(VALU_DEP_2)
	v_add_nc_u32_e32 v26, v27, v26
	v_mul_lo_u32 v27, s2, v1
	v_add_nc_u32_e32 v26, v26, v28
	s_delay_alu instid0(VALU_DEP_2) | instskip(NEXT) | instid1(VALU_DEP_2)
	v_mul_hi_u32 v28, v1, v27
	v_mul_lo_u32 v29, v1, v26
	v_mul_hi_u32 v30, v1, v26
	v_mul_hi_u32 v31, v20, v27
	v_mul_lo_u32 v27, v20, v27
	v_mul_hi_u32 v54, v20, v26
	v_mul_lo_u32 v26, v20, v26
	v_add_co_u32 v28, vcc_lo, v28, v29
	v_add_co_ci_u32_e32 v29, vcc_lo, 0, v30, vcc_lo
	s_delay_alu instid0(VALU_DEP_2) | instskip(NEXT) | instid1(VALU_DEP_2)
	v_add_co_u32 v27, vcc_lo, v28, v27
	v_add_co_ci_u32_e32 v27, vcc_lo, v29, v31, vcc_lo
	v_add_co_ci_u32_e32 v28, vcc_lo, 0, v54, vcc_lo
	s_delay_alu instid0(VALU_DEP_2) | instskip(NEXT) | instid1(VALU_DEP_2)
	v_add_co_u32 v26, vcc_lo, v27, v26
	v_add_co_ci_u32_e32 v27, vcc_lo, 0, v28, vcc_lo
	s_delay_alu instid0(VALU_DEP_2) | instskip(NEXT) | instid1(VALU_DEP_2)
	v_add_co_u32 v1, vcc_lo, v1, v26
	v_add_co_ci_u32_e32 v20, vcc_lo, v20, v27, vcc_lo
	s_delay_alu instid0(VALU_DEP_2) | instskip(SKIP_1) | instid1(VALU_DEP_3)
	v_mul_hi_u32 v26, s2, v1
	v_mul_lo_u32 v28, s35, v1
	v_mul_lo_u32 v27, s2, v20
	s_delay_alu instid0(VALU_DEP_1) | instskip(SKIP_1) | instid1(VALU_DEP_2)
	v_add_nc_u32_e32 v26, v26, v27
	v_mul_lo_u32 v27, s2, v1
	v_add_nc_u32_e32 v26, v26, v28
	s_delay_alu instid0(VALU_DEP_2) | instskip(NEXT) | instid1(VALU_DEP_2)
	v_mul_hi_u32 v28, v1, v27
	v_mul_lo_u32 v29, v1, v26
	v_mul_hi_u32 v30, v1, v26
	v_mul_hi_u32 v31, v20, v27
	v_mul_lo_u32 v27, v20, v27
	v_mul_hi_u32 v54, v20, v26
	v_mul_lo_u32 v26, v20, v26
	v_add_co_u32 v28, vcc_lo, v28, v29
	v_add_co_ci_u32_e32 v29, vcc_lo, 0, v30, vcc_lo
	s_delay_alu instid0(VALU_DEP_2) | instskip(NEXT) | instid1(VALU_DEP_2)
	v_add_co_u32 v27, vcc_lo, v28, v27
	v_add_co_ci_u32_e32 v27, vcc_lo, v29, v31, vcc_lo
	v_add_co_ci_u32_e32 v28, vcc_lo, 0, v54, vcc_lo
	s_delay_alu instid0(VALU_DEP_2) | instskip(NEXT) | instid1(VALU_DEP_2)
	v_add_co_u32 v26, vcc_lo, v27, v26
	v_add_co_ci_u32_e32 v27, vcc_lo, 0, v28, vcc_lo
	s_delay_alu instid0(VALU_DEP_2) | instskip(NEXT) | instid1(VALU_DEP_2)
	v_add_co_u32 v1, vcc_lo, v1, v26
	v_add_co_ci_u32_e32 v20, vcc_lo, v20, v27, vcc_lo
	s_delay_alu instid0(VALU_DEP_2) | instskip(SKIP_1) | instid1(VALU_DEP_3)
	v_mul_hi_u32 v54, v24, v1
	v_mad_u64_u32 v[28:29], null, v25, v1, 0
	v_mad_u64_u32 v[26:27], null, v24, v20, 0
	;; [unrolled: 1-line block ×3, first 2 shown]
	s_delay_alu instid0(VALU_DEP_2) | instskip(NEXT) | instid1(VALU_DEP_3)
	v_add_co_u32 v1, vcc_lo, v54, v26
	v_add_co_ci_u32_e32 v20, vcc_lo, 0, v27, vcc_lo
	s_delay_alu instid0(VALU_DEP_2) | instskip(NEXT) | instid1(VALU_DEP_2)
	v_add_co_u32 v1, vcc_lo, v1, v28
	v_add_co_ci_u32_e32 v1, vcc_lo, v20, v29, vcc_lo
	v_add_co_ci_u32_e32 v20, vcc_lo, 0, v31, vcc_lo
	s_delay_alu instid0(VALU_DEP_2) | instskip(NEXT) | instid1(VALU_DEP_2)
	v_add_co_u32 v1, vcc_lo, v1, v30
	v_add_co_ci_u32_e32 v20, vcc_lo, 0, v20, vcc_lo
	s_delay_alu instid0(VALU_DEP_2) | instskip(SKIP_1) | instid1(VALU_DEP_3)
	v_mul_lo_u32 v28, s25, v1
	v_mad_u64_u32 v[26:27], null, s24, v1, 0
	v_mul_lo_u32 v29, s24, v20
	s_delay_alu instid0(VALU_DEP_2) | instskip(NEXT) | instid1(VALU_DEP_2)
	v_sub_co_u32 v26, vcc_lo, v24, v26
	v_add3_u32 v27, v27, v29, v28
	s_delay_alu instid0(VALU_DEP_1) | instskip(NEXT) | instid1(VALU_DEP_1)
	v_sub_nc_u32_e32 v28, v25, v27
	v_subrev_co_ci_u32_e64 v28, s2, s25, v28, vcc_lo
	v_add_co_u32 v29, s2, v1, 2
	s_delay_alu instid0(VALU_DEP_1) | instskip(SKIP_3) | instid1(VALU_DEP_3)
	v_add_co_ci_u32_e64 v30, s2, 0, v20, s2
	v_sub_co_u32 v31, s2, v26, s24
	v_sub_co_ci_u32_e32 v27, vcc_lo, v25, v27, vcc_lo
	v_subrev_co_ci_u32_e64 v28, s2, 0, v28, s2
	v_cmp_le_u32_e32 vcc_lo, s24, v31
	s_delay_alu instid0(VALU_DEP_3) | instskip(SKIP_1) | instid1(VALU_DEP_4)
	v_cmp_eq_u32_e64 s2, s25, v27
	v_cndmask_b32_e64 v31, 0, -1, vcc_lo
	v_cmp_le_u32_e32 vcc_lo, s25, v28
	v_cndmask_b32_e64 v54, 0, -1, vcc_lo
	v_cmp_le_u32_e32 vcc_lo, s24, v26
	;; [unrolled: 2-line block ×3, first 2 shown]
	v_cndmask_b32_e64 v55, 0, -1, vcc_lo
	v_cmp_eq_u32_e32 vcc_lo, s25, v28
	s_delay_alu instid0(VALU_DEP_2) | instskip(SKIP_3) | instid1(VALU_DEP_3)
	v_cndmask_b32_e64 v26, v55, v26, s2
	v_cndmask_b32_e32 v28, v54, v31, vcc_lo
	v_add_co_u32 v31, vcc_lo, v1, 1
	v_add_co_ci_u32_e32 v54, vcc_lo, 0, v20, vcc_lo
	v_cmp_ne_u32_e32 vcc_lo, 0, v28
	s_delay_alu instid0(VALU_DEP_2) | instskip(SKIP_1) | instid1(VALU_DEP_2)
	v_dual_cndmask_b32 v27, v54, v30 :: v_dual_cndmask_b32 v28, v31, v29
	v_cmp_ne_u32_e32 vcc_lo, 0, v26
	v_dual_cndmask_b32 v27, v20, v27 :: v_dual_cndmask_b32 v26, v1, v28
.LBB96_31:                              ;   in Loop: Header=BB96_29 Depth=2
	s_and_not1_saveexec_b32 s2, s34
	s_cbranch_execz .LBB96_33
; %bb.32:                               ;   in Loop: Header=BB96_29 Depth=2
	v_cvt_f32_u32_e32 v1, s24
	s_sub_i32 s34, 0, s24
	s_delay_alu instid0(VALU_DEP_1) | instskip(SKIP_2) | instid1(VALU_DEP_1)
	v_rcp_iflag_f32_e32 v1, v1
	s_waitcnt_depctr 0xfff
	v_mul_f32_e32 v1, 0x4f7ffffe, v1
	v_cvt_u32_f32_e32 v1, v1
	s_delay_alu instid0(VALU_DEP_1) | instskip(NEXT) | instid1(VALU_DEP_1)
	v_mul_lo_u32 v20, s34, v1
	v_mul_hi_u32 v20, v1, v20
	s_delay_alu instid0(VALU_DEP_1) | instskip(NEXT) | instid1(VALU_DEP_1)
	v_add_nc_u32_e32 v1, v1, v20
	v_mul_hi_u32 v1, v24, v1
	s_delay_alu instid0(VALU_DEP_1) | instskip(SKIP_1) | instid1(VALU_DEP_2)
	v_mul_lo_u32 v20, v1, s24
	v_add_nc_u32_e32 v26, 1, v1
	v_sub_nc_u32_e32 v20, v24, v20
	s_delay_alu instid0(VALU_DEP_1) | instskip(SKIP_1) | instid1(VALU_DEP_2)
	v_subrev_nc_u32_e32 v27, s24, v20
	v_cmp_le_u32_e32 vcc_lo, s24, v20
	v_dual_cndmask_b32 v20, v20, v27 :: v_dual_mov_b32 v27, v19
	v_cndmask_b32_e32 v1, v1, v26, vcc_lo
	s_delay_alu instid0(VALU_DEP_2) | instskip(NEXT) | instid1(VALU_DEP_2)
	v_cmp_le_u32_e32 vcc_lo, s24, v20
	v_add_nc_u32_e32 v26, 1, v1
	s_delay_alu instid0(VALU_DEP_1)
	v_cndmask_b32_e32 v26, v1, v26, vcc_lo
.LBB96_33:                              ;   in Loop: Header=BB96_29 Depth=2
	s_or_b32 exec_lo, exec_lo, s2
	s_load_b64 s[34:35], s[22:23], 0xc8
	v_mul_lo_u32 v1, v27, s24
	s_delay_alu instid0(VALU_DEP_2)
	v_mul_lo_u32 v20, v26, s25
	v_mad_u64_u32 v[28:29], null, v26, s24, 0
	s_add_i32 s4, s4, -1
	s_add_u32 s22, s22, -8
	s_addc_u32 s23, s23, -1
	s_cmp_gt_u32 s4, 2
	s_delay_alu instid0(VALU_DEP_1) | instskip(NEXT) | instid1(VALU_DEP_2)
	v_add3_u32 v1, v29, v20, v1
	v_sub_co_u32 v20, vcc_lo, v24, v28
	s_delay_alu instid0(VALU_DEP_2) | instskip(SKIP_1) | instid1(VALU_DEP_2)
	v_sub_co_ci_u32_e32 v1, vcc_lo, v25, v1, vcc_lo
	s_waitcnt lgkmcnt(0)
	v_mul_lo_u32 v28, s35, v20
	s_delay_alu instid0(VALU_DEP_2) | instskip(SKIP_1) | instid1(VALU_DEP_1)
	v_mul_lo_u32 v1, s34, v1
	v_mad_u64_u32 v[24:25], null, s34, v20, v[13:14]
	v_add3_u32 v14, v28, v25, v1
	s_delay_alu instid0(VALU_DEP_2)
	v_mov_b32_e32 v13, v24
	s_cbranch_scc0 .LBB96_35
; %bb.34:                               ;   in Loop: Header=BB96_29 Depth=2
	v_dual_mov_b32 v24, v26 :: v_dual_mov_b32 v25, v27
	s_branch .LBB96_29
.LBB96_35:                              ;   in Loop: Header=BB96_8 Depth=1
	v_mul_lo_u32 v1, s17, v26
	v_mul_lo_u32 v20, s16, v27
	v_mad_u64_u32 v[24:25], null, s16, v26, 0
	v_lshlrev_b64 v[13:14], 2, v[13:14]
	s_delay_alu instid0(VALU_DEP_2) | instskip(NEXT) | instid1(VALU_DEP_1)
	v_add3_u32 v25, v25, v20, v1
	v_lshlrev_b64 v[24:25], 2, v[24:25]
	s_delay_alu instid0(VALU_DEP_1) | instskip(NEXT) | instid1(VALU_DEP_2)
	v_add_co_u32 v1, vcc_lo, s18, v24
	v_add_co_ci_u32_e32 v20, vcc_lo, s19, v25, vcc_lo
	s_delay_alu instid0(VALU_DEP_2) | instskip(NEXT) | instid1(VALU_DEP_2)
	v_add_co_u32 v13, vcc_lo, v1, v13
	v_add_co_ci_u32_e32 v14, vcc_lo, v20, v14, vcc_lo
	global_load_b32 v1, v[13:14], off
.LBB96_36:                              ;   in Loop: Header=BB96_8 Depth=1
	s_or_b32 exec_lo, exec_lo, s3
	v_add_co_u32 v13, vcc_lo, v21, s31
	v_add_co_ci_u32_e32 v14, vcc_lo, 0, v22, vcc_lo
	s_delay_alu instid0(VALU_DEP_1) | instskip(NEXT) | instid1(VALU_DEP_1)
	v_cmp_gt_u64_e64 s2, s[6:7], v[13:14]
	s_and_saveexec_b32 s4, s2
	s_cbranch_execz .LBB96_45
; %bb.37:                               ;   in Loop: Header=BB96_8 Depth=1
	v_dual_mov_b32 v24, 0 :: v_dual_mov_b32 v27, v14
	v_dual_mov_b32 v25, 0 :: v_dual_mov_b32 v26, v13
	;; [unrolled: 1-line block ×3, first 2 shown]
	s_and_not1_b32 vcc_lo, exec_lo, s30
	s_mov_b64 s[22:23], s[20:21]
	s_mov_b32 s34, s33
	s_cbranch_vccnz .LBB96_44
.LBB96_38:                              ;   Parent Loop BB96_8 Depth=1
                                        ; =>  This Inner Loop Header: Depth=2
	s_load_b64 s[24:25], s[22:23], 0x0
                                        ; implicit-def: $vgpr28_vgpr29
	s_mov_b32 s3, exec_lo
	s_waitcnt lgkmcnt(0)
	v_or_b32_e32 v20, s25, v27
	s_delay_alu instid0(VALU_DEP_1)
	v_cmpx_ne_u64_e32 0, v[19:20]
	s_xor_b32 s35, exec_lo, s3
	s_cbranch_execz .LBB96_40
; %bb.39:                               ;   in Loop: Header=BB96_38 Depth=2
	v_cvt_f32_u32_e32 v2, s24
	v_cvt_f32_u32_e32 v20, s25
	s_sub_u32 s3, 0, s24
	s_subb_u32 s36, 0, s25
	s_delay_alu instid0(VALU_DEP_1) | instskip(NEXT) | instid1(VALU_DEP_1)
	v_fmac_f32_e32 v2, 0x4f800000, v20
	v_rcp_f32_e32 v2, v2
	s_waitcnt_depctr 0xfff
	v_mul_f32_e32 v2, 0x5f7ffffc, v2
	s_delay_alu instid0(VALU_DEP_1) | instskip(NEXT) | instid1(VALU_DEP_1)
	v_mul_f32_e32 v20, 0x2f800000, v2
	v_trunc_f32_e32 v20, v20
	s_delay_alu instid0(VALU_DEP_1) | instskip(SKIP_1) | instid1(VALU_DEP_2)
	v_fmac_f32_e32 v2, 0xcf800000, v20
	v_cvt_u32_f32_e32 v20, v20
	v_cvt_u32_f32_e32 v2, v2
	s_delay_alu instid0(VALU_DEP_2) | instskip(NEXT) | instid1(VALU_DEP_2)
	v_mul_lo_u32 v28, s3, v20
	v_mul_hi_u32 v29, s3, v2
	v_mul_lo_u32 v30, s36, v2
	s_delay_alu instid0(VALU_DEP_2) | instskip(SKIP_1) | instid1(VALU_DEP_2)
	v_add_nc_u32_e32 v28, v29, v28
	v_mul_lo_u32 v29, s3, v2
	v_add_nc_u32_e32 v28, v28, v30
	s_delay_alu instid0(VALU_DEP_2) | instskip(NEXT) | instid1(VALU_DEP_2)
	v_mul_hi_u32 v30, v2, v29
	v_mul_lo_u32 v31, v2, v28
	v_mul_hi_u32 v54, v2, v28
	v_mul_hi_u32 v55, v20, v29
	v_mul_lo_u32 v29, v20, v29
	v_mul_hi_u32 v56, v20, v28
	v_mul_lo_u32 v28, v20, v28
	v_add_co_u32 v30, vcc_lo, v30, v31
	v_add_co_ci_u32_e32 v31, vcc_lo, 0, v54, vcc_lo
	s_delay_alu instid0(VALU_DEP_2) | instskip(NEXT) | instid1(VALU_DEP_2)
	v_add_co_u32 v29, vcc_lo, v30, v29
	v_add_co_ci_u32_e32 v29, vcc_lo, v31, v55, vcc_lo
	v_add_co_ci_u32_e32 v30, vcc_lo, 0, v56, vcc_lo
	s_delay_alu instid0(VALU_DEP_2) | instskip(NEXT) | instid1(VALU_DEP_2)
	v_add_co_u32 v28, vcc_lo, v29, v28
	v_add_co_ci_u32_e32 v29, vcc_lo, 0, v30, vcc_lo
	s_delay_alu instid0(VALU_DEP_2) | instskip(NEXT) | instid1(VALU_DEP_2)
	v_add_co_u32 v2, vcc_lo, v2, v28
	v_add_co_ci_u32_e32 v20, vcc_lo, v20, v29, vcc_lo
	s_delay_alu instid0(VALU_DEP_2) | instskip(SKIP_1) | instid1(VALU_DEP_3)
	v_mul_hi_u32 v28, s3, v2
	v_mul_lo_u32 v30, s36, v2
	v_mul_lo_u32 v29, s3, v20
	s_delay_alu instid0(VALU_DEP_1) | instskip(SKIP_1) | instid1(VALU_DEP_2)
	v_add_nc_u32_e32 v28, v28, v29
	v_mul_lo_u32 v29, s3, v2
	v_add_nc_u32_e32 v28, v28, v30
	s_delay_alu instid0(VALU_DEP_2) | instskip(NEXT) | instid1(VALU_DEP_2)
	v_mul_hi_u32 v30, v2, v29
	v_mul_lo_u32 v31, v2, v28
	v_mul_hi_u32 v54, v2, v28
	v_mul_hi_u32 v55, v20, v29
	v_mul_lo_u32 v29, v20, v29
	v_mul_hi_u32 v56, v20, v28
	v_mul_lo_u32 v28, v20, v28
	v_add_co_u32 v30, vcc_lo, v30, v31
	v_add_co_ci_u32_e32 v31, vcc_lo, 0, v54, vcc_lo
	s_delay_alu instid0(VALU_DEP_2) | instskip(NEXT) | instid1(VALU_DEP_2)
	v_add_co_u32 v29, vcc_lo, v30, v29
	v_add_co_ci_u32_e32 v29, vcc_lo, v31, v55, vcc_lo
	v_add_co_ci_u32_e32 v30, vcc_lo, 0, v56, vcc_lo
	s_delay_alu instid0(VALU_DEP_2) | instskip(NEXT) | instid1(VALU_DEP_2)
	v_add_co_u32 v28, vcc_lo, v29, v28
	v_add_co_ci_u32_e32 v29, vcc_lo, 0, v30, vcc_lo
	s_delay_alu instid0(VALU_DEP_2) | instskip(NEXT) | instid1(VALU_DEP_2)
	v_add_co_u32 v2, vcc_lo, v2, v28
	v_add_co_ci_u32_e32 v20, vcc_lo, v20, v29, vcc_lo
	s_delay_alu instid0(VALU_DEP_2) | instskip(SKIP_1) | instid1(VALU_DEP_3)
	v_mul_hi_u32 v56, v26, v2
	v_mad_u64_u32 v[30:31], null, v27, v2, 0
	v_mad_u64_u32 v[28:29], null, v26, v20, 0
	;; [unrolled: 1-line block ×3, first 2 shown]
	s_delay_alu instid0(VALU_DEP_2) | instskip(NEXT) | instid1(VALU_DEP_3)
	v_add_co_u32 v2, vcc_lo, v56, v28
	v_add_co_ci_u32_e32 v20, vcc_lo, 0, v29, vcc_lo
	s_delay_alu instid0(VALU_DEP_2) | instskip(NEXT) | instid1(VALU_DEP_2)
	v_add_co_u32 v2, vcc_lo, v2, v30
	v_add_co_ci_u32_e32 v2, vcc_lo, v20, v31, vcc_lo
	v_add_co_ci_u32_e32 v20, vcc_lo, 0, v55, vcc_lo
	s_delay_alu instid0(VALU_DEP_2) | instskip(NEXT) | instid1(VALU_DEP_2)
	v_add_co_u32 v2, vcc_lo, v2, v54
	v_add_co_ci_u32_e32 v20, vcc_lo, 0, v20, vcc_lo
	s_delay_alu instid0(VALU_DEP_2) | instskip(SKIP_1) | instid1(VALU_DEP_3)
	v_mul_lo_u32 v30, s25, v2
	v_mad_u64_u32 v[28:29], null, s24, v2, 0
	v_mul_lo_u32 v31, s24, v20
	s_delay_alu instid0(VALU_DEP_2) | instskip(NEXT) | instid1(VALU_DEP_2)
	v_sub_co_u32 v28, vcc_lo, v26, v28
	v_add3_u32 v29, v29, v31, v30
	s_delay_alu instid0(VALU_DEP_1) | instskip(NEXT) | instid1(VALU_DEP_1)
	v_sub_nc_u32_e32 v30, v27, v29
	v_subrev_co_ci_u32_e64 v30, s3, s25, v30, vcc_lo
	v_add_co_u32 v31, s3, v2, 2
	s_delay_alu instid0(VALU_DEP_1) | instskip(SKIP_3) | instid1(VALU_DEP_3)
	v_add_co_ci_u32_e64 v54, s3, 0, v20, s3
	v_sub_co_u32 v55, s3, v28, s24
	v_sub_co_ci_u32_e32 v29, vcc_lo, v27, v29, vcc_lo
	v_subrev_co_ci_u32_e64 v30, s3, 0, v30, s3
	v_cmp_le_u32_e32 vcc_lo, s24, v55
	s_delay_alu instid0(VALU_DEP_3) | instskip(SKIP_1) | instid1(VALU_DEP_4)
	v_cmp_eq_u32_e64 s3, s25, v29
	v_cndmask_b32_e64 v55, 0, -1, vcc_lo
	v_cmp_le_u32_e32 vcc_lo, s25, v30
	v_cndmask_b32_e64 v56, 0, -1, vcc_lo
	v_cmp_le_u32_e32 vcc_lo, s24, v28
	;; [unrolled: 2-line block ×3, first 2 shown]
	v_cndmask_b32_e64 v57, 0, -1, vcc_lo
	v_cmp_eq_u32_e32 vcc_lo, s25, v30
	s_delay_alu instid0(VALU_DEP_2) | instskip(SKIP_3) | instid1(VALU_DEP_3)
	v_cndmask_b32_e64 v28, v57, v28, s3
	v_cndmask_b32_e32 v30, v56, v55, vcc_lo
	v_add_co_u32 v55, vcc_lo, v2, 1
	v_add_co_ci_u32_e32 v56, vcc_lo, 0, v20, vcc_lo
	v_cmp_ne_u32_e32 vcc_lo, 0, v30
	s_delay_alu instid0(VALU_DEP_2) | instskip(SKIP_1) | instid1(VALU_DEP_2)
	v_dual_cndmask_b32 v29, v56, v54 :: v_dual_cndmask_b32 v30, v55, v31
	v_cmp_ne_u32_e32 vcc_lo, 0, v28
	v_dual_cndmask_b32 v29, v20, v29 :: v_dual_cndmask_b32 v28, v2, v30
.LBB96_40:                              ;   in Loop: Header=BB96_38 Depth=2
	s_and_not1_saveexec_b32 s3, s35
	s_cbranch_execz .LBB96_42
; %bb.41:                               ;   in Loop: Header=BB96_38 Depth=2
	v_cvt_f32_u32_e32 v2, s24
	s_sub_i32 s35, 0, s24
	s_delay_alu instid0(VALU_DEP_1) | instskip(SKIP_2) | instid1(VALU_DEP_1)
	v_rcp_iflag_f32_e32 v2, v2
	s_waitcnt_depctr 0xfff
	v_mul_f32_e32 v2, 0x4f7ffffe, v2
	v_cvt_u32_f32_e32 v2, v2
	s_delay_alu instid0(VALU_DEP_1) | instskip(NEXT) | instid1(VALU_DEP_1)
	v_mul_lo_u32 v20, s35, v2
	v_mul_hi_u32 v20, v2, v20
	s_delay_alu instid0(VALU_DEP_1) | instskip(NEXT) | instid1(VALU_DEP_1)
	v_add_nc_u32_e32 v2, v2, v20
	v_mul_hi_u32 v2, v26, v2
	s_delay_alu instid0(VALU_DEP_1) | instskip(SKIP_1) | instid1(VALU_DEP_2)
	v_mul_lo_u32 v20, v2, s24
	v_add_nc_u32_e32 v28, 1, v2
	v_sub_nc_u32_e32 v20, v26, v20
	s_delay_alu instid0(VALU_DEP_1) | instskip(SKIP_1) | instid1(VALU_DEP_2)
	v_subrev_nc_u32_e32 v29, s24, v20
	v_cmp_le_u32_e32 vcc_lo, s24, v20
	v_dual_cndmask_b32 v20, v20, v29 :: v_dual_mov_b32 v29, v19
	v_cndmask_b32_e32 v2, v2, v28, vcc_lo
	s_delay_alu instid0(VALU_DEP_2) | instskip(NEXT) | instid1(VALU_DEP_2)
	v_cmp_le_u32_e32 vcc_lo, s24, v20
	v_add_nc_u32_e32 v28, 1, v2
	s_delay_alu instid0(VALU_DEP_1)
	v_cndmask_b32_e32 v28, v2, v28, vcc_lo
.LBB96_42:                              ;   in Loop: Header=BB96_38 Depth=2
	s_or_b32 exec_lo, exec_lo, s3
	s_load_b64 s[36:37], s[22:23], 0xc8
	v_mul_lo_u32 v2, v29, s24
	s_delay_alu instid0(VALU_DEP_2)
	v_mul_lo_u32 v20, v28, s25
	v_mad_u64_u32 v[30:31], null, v28, s24, 0
	s_add_i32 s34, s34, -1
	s_add_u32 s22, s22, -8
	s_addc_u32 s23, s23, -1
	s_cmp_gt_u32 s34, 2
	s_delay_alu instid0(VALU_DEP_1) | instskip(NEXT) | instid1(VALU_DEP_2)
	v_add3_u32 v2, v31, v20, v2
	v_sub_co_u32 v20, vcc_lo, v26, v30
	s_delay_alu instid0(VALU_DEP_2) | instskip(SKIP_1) | instid1(VALU_DEP_2)
	v_sub_co_ci_u32_e32 v2, vcc_lo, v27, v2, vcc_lo
	s_waitcnt lgkmcnt(0)
	v_mul_lo_u32 v30, s37, v20
	s_delay_alu instid0(VALU_DEP_2) | instskip(SKIP_1) | instid1(VALU_DEP_1)
	v_mul_lo_u32 v2, s36, v2
	v_mad_u64_u32 v[26:27], null, s36, v20, v[24:25]
	v_add3_u32 v25, v30, v27, v2
	s_delay_alu instid0(VALU_DEP_2)
	v_mov_b32_e32 v24, v26
	s_cbranch_scc0 .LBB96_44
; %bb.43:                               ;   in Loop: Header=BB96_38 Depth=2
	v_dual_mov_b32 v26, v28 :: v_dual_mov_b32 v27, v29
	s_branch .LBB96_38
.LBB96_44:                              ;   in Loop: Header=BB96_8 Depth=1
	v_mul_lo_u32 v2, s17, v28
	v_mul_lo_u32 v20, s16, v29
	v_mad_u64_u32 v[26:27], null, s16, v28, 0
	v_lshlrev_b64 v[24:25], 2, v[24:25]
	s_delay_alu instid0(VALU_DEP_2) | instskip(NEXT) | instid1(VALU_DEP_1)
	v_add3_u32 v27, v27, v20, v2
	v_lshlrev_b64 v[26:27], 2, v[26:27]
	s_delay_alu instid0(VALU_DEP_1) | instskip(NEXT) | instid1(VALU_DEP_2)
	v_add_co_u32 v2, vcc_lo, s18, v26
	v_add_co_ci_u32_e32 v20, vcc_lo, s19, v27, vcc_lo
	s_delay_alu instid0(VALU_DEP_2) | instskip(NEXT) | instid1(VALU_DEP_2)
	v_add_co_u32 v24, vcc_lo, v2, v24
	v_add_co_ci_u32_e32 v25, vcc_lo, v20, v25, vcc_lo
	global_load_b32 v2, v[24:25], off
.LBB96_45:                              ;   in Loop: Header=BB96_8 Depth=1
	s_or_b32 exec_lo, exec_lo, s4
	v_add_co_u32 v24, vcc_lo, v21, s29
	v_add_co_ci_u32_e32 v25, vcc_lo, 0, v22, vcc_lo
	s_delay_alu instid0(VALU_DEP_1) | instskip(NEXT) | instid1(VALU_DEP_1)
	v_cmp_gt_u64_e64 s3, s[6:7], v[24:25]
	s_and_saveexec_b32 s34, s3
	s_cbranch_execnz .LBB96_50
; %bb.46:                               ;   in Loop: Header=BB96_8 Depth=1
	s_or_b32 exec_lo, exec_lo, s34
	s_and_saveexec_b32 s4, s0
	s_cbranch_execnz .LBB96_58
.LBB96_47:                              ;   in Loop: Header=BB96_8 Depth=1
	s_or_b32 exec_lo, exec_lo, s4
	s_and_saveexec_b32 s4, s1
	s_cbranch_execnz .LBB96_59
.LBB96_48:                              ;   in Loop: Header=BB96_8 Depth=1
	s_or_b32 exec_lo, exec_lo, s4
	s_and_saveexec_b32 s1, s2
	s_cbranch_execnz .LBB96_60
.LBB96_49:                              ;   in Loop: Header=BB96_8 Depth=1
	s_or_b32 exec_lo, exec_lo, s1
	s_and_saveexec_b32 s1, s3
	s_cbranch_execz .LBB96_7
	s_branch .LBB96_61
.LBB96_50:                              ;   in Loop: Header=BB96_8 Depth=1
	v_dual_mov_b32 v26, 0 :: v_dual_mov_b32 v29, v25
	v_dual_mov_b32 v27, 0 :: v_dual_mov_b32 v28, v24
	;; [unrolled: 1-line block ×3, first 2 shown]
	s_and_not1_b32 vcc_lo, exec_lo, s30
	s_mov_b64 s[22:23], s[20:21]
	s_mov_b32 s35, s33
	s_cbranch_vccnz .LBB96_57
.LBB96_51:                              ;   Parent Loop BB96_8 Depth=1
                                        ; =>  This Inner Loop Header: Depth=2
	s_load_b64 s[24:25], s[22:23], 0x0
                                        ; implicit-def: $vgpr30_vgpr31
	s_mov_b32 s4, exec_lo
	s_waitcnt lgkmcnt(0)
	v_or_b32_e32 v20, s25, v29
	s_delay_alu instid0(VALU_DEP_1)
	v_cmpx_ne_u64_e32 0, v[19:20]
	s_xor_b32 s36, exec_lo, s4
	s_cbranch_execz .LBB96_53
; %bb.52:                               ;   in Loop: Header=BB96_51 Depth=2
	v_cvt_f32_u32_e32 v3, s24
	v_cvt_f32_u32_e32 v20, s25
	s_sub_u32 s4, 0, s24
	s_subb_u32 s37, 0, s25
	s_delay_alu instid0(VALU_DEP_1) | instskip(NEXT) | instid1(VALU_DEP_1)
	v_fmac_f32_e32 v3, 0x4f800000, v20
	v_rcp_f32_e32 v3, v3
	s_waitcnt_depctr 0xfff
	v_mul_f32_e32 v3, 0x5f7ffffc, v3
	s_delay_alu instid0(VALU_DEP_1) | instskip(NEXT) | instid1(VALU_DEP_1)
	v_mul_f32_e32 v20, 0x2f800000, v3
	v_trunc_f32_e32 v20, v20
	s_delay_alu instid0(VALU_DEP_1) | instskip(SKIP_1) | instid1(VALU_DEP_2)
	v_fmac_f32_e32 v3, 0xcf800000, v20
	v_cvt_u32_f32_e32 v20, v20
	v_cvt_u32_f32_e32 v3, v3
	s_delay_alu instid0(VALU_DEP_2) | instskip(NEXT) | instid1(VALU_DEP_2)
	v_mul_lo_u32 v30, s4, v20
	v_mul_hi_u32 v31, s4, v3
	v_mul_lo_u32 v54, s37, v3
	s_delay_alu instid0(VALU_DEP_2) | instskip(SKIP_1) | instid1(VALU_DEP_2)
	v_add_nc_u32_e32 v30, v31, v30
	v_mul_lo_u32 v31, s4, v3
	v_add_nc_u32_e32 v30, v30, v54
	s_delay_alu instid0(VALU_DEP_2) | instskip(NEXT) | instid1(VALU_DEP_2)
	v_mul_hi_u32 v54, v3, v31
	v_mul_lo_u32 v55, v3, v30
	v_mul_hi_u32 v56, v3, v30
	v_mul_hi_u32 v57, v20, v31
	v_mul_lo_u32 v31, v20, v31
	v_mul_hi_u32 v58, v20, v30
	v_mul_lo_u32 v30, v20, v30
	v_add_co_u32 v54, vcc_lo, v54, v55
	v_add_co_ci_u32_e32 v55, vcc_lo, 0, v56, vcc_lo
	s_delay_alu instid0(VALU_DEP_2) | instskip(NEXT) | instid1(VALU_DEP_2)
	v_add_co_u32 v31, vcc_lo, v54, v31
	v_add_co_ci_u32_e32 v31, vcc_lo, v55, v57, vcc_lo
	v_add_co_ci_u32_e32 v54, vcc_lo, 0, v58, vcc_lo
	s_delay_alu instid0(VALU_DEP_2) | instskip(NEXT) | instid1(VALU_DEP_2)
	v_add_co_u32 v30, vcc_lo, v31, v30
	v_add_co_ci_u32_e32 v31, vcc_lo, 0, v54, vcc_lo
	s_delay_alu instid0(VALU_DEP_2) | instskip(NEXT) | instid1(VALU_DEP_2)
	v_add_co_u32 v3, vcc_lo, v3, v30
	v_add_co_ci_u32_e32 v20, vcc_lo, v20, v31, vcc_lo
	s_delay_alu instid0(VALU_DEP_2) | instskip(SKIP_1) | instid1(VALU_DEP_3)
	v_mul_hi_u32 v30, s4, v3
	v_mul_lo_u32 v54, s37, v3
	v_mul_lo_u32 v31, s4, v20
	s_delay_alu instid0(VALU_DEP_1) | instskip(SKIP_1) | instid1(VALU_DEP_2)
	v_add_nc_u32_e32 v30, v30, v31
	v_mul_lo_u32 v31, s4, v3
	v_add_nc_u32_e32 v30, v30, v54
	s_delay_alu instid0(VALU_DEP_2) | instskip(NEXT) | instid1(VALU_DEP_2)
	v_mul_hi_u32 v54, v3, v31
	v_mul_lo_u32 v55, v3, v30
	v_mul_hi_u32 v56, v3, v30
	v_mul_hi_u32 v57, v20, v31
	v_mul_lo_u32 v31, v20, v31
	v_mul_hi_u32 v58, v20, v30
	v_mul_lo_u32 v30, v20, v30
	v_add_co_u32 v54, vcc_lo, v54, v55
	v_add_co_ci_u32_e32 v55, vcc_lo, 0, v56, vcc_lo
	s_delay_alu instid0(VALU_DEP_2) | instskip(NEXT) | instid1(VALU_DEP_2)
	v_add_co_u32 v31, vcc_lo, v54, v31
	v_add_co_ci_u32_e32 v31, vcc_lo, v55, v57, vcc_lo
	v_add_co_ci_u32_e32 v54, vcc_lo, 0, v58, vcc_lo
	s_delay_alu instid0(VALU_DEP_2) | instskip(NEXT) | instid1(VALU_DEP_2)
	v_add_co_u32 v30, vcc_lo, v31, v30
	v_add_co_ci_u32_e32 v31, vcc_lo, 0, v54, vcc_lo
	s_delay_alu instid0(VALU_DEP_2) | instskip(NEXT) | instid1(VALU_DEP_2)
	v_add_co_u32 v3, vcc_lo, v3, v30
	v_add_co_ci_u32_e32 v20, vcc_lo, v20, v31, vcc_lo
	s_delay_alu instid0(VALU_DEP_2) | instskip(SKIP_1) | instid1(VALU_DEP_3)
	v_mul_hi_u32 v58, v28, v3
	v_mad_u64_u32 v[54:55], null, v29, v3, 0
	v_mad_u64_u32 v[30:31], null, v28, v20, 0
	;; [unrolled: 1-line block ×3, first 2 shown]
	s_delay_alu instid0(VALU_DEP_2) | instskip(NEXT) | instid1(VALU_DEP_3)
	v_add_co_u32 v3, vcc_lo, v58, v30
	v_add_co_ci_u32_e32 v20, vcc_lo, 0, v31, vcc_lo
	s_delay_alu instid0(VALU_DEP_2) | instskip(NEXT) | instid1(VALU_DEP_2)
	v_add_co_u32 v3, vcc_lo, v3, v54
	v_add_co_ci_u32_e32 v3, vcc_lo, v20, v55, vcc_lo
	v_add_co_ci_u32_e32 v20, vcc_lo, 0, v57, vcc_lo
	s_delay_alu instid0(VALU_DEP_2) | instskip(NEXT) | instid1(VALU_DEP_2)
	v_add_co_u32 v3, vcc_lo, v3, v56
	v_add_co_ci_u32_e32 v20, vcc_lo, 0, v20, vcc_lo
	s_delay_alu instid0(VALU_DEP_2) | instskip(SKIP_1) | instid1(VALU_DEP_3)
	v_mul_lo_u32 v54, s25, v3
	v_mad_u64_u32 v[30:31], null, s24, v3, 0
	v_mul_lo_u32 v55, s24, v20
	s_delay_alu instid0(VALU_DEP_2) | instskip(NEXT) | instid1(VALU_DEP_2)
	v_sub_co_u32 v30, vcc_lo, v28, v30
	v_add3_u32 v31, v31, v55, v54
	s_delay_alu instid0(VALU_DEP_1) | instskip(NEXT) | instid1(VALU_DEP_1)
	v_sub_nc_u32_e32 v54, v29, v31
	v_subrev_co_ci_u32_e64 v54, s4, s25, v54, vcc_lo
	v_add_co_u32 v55, s4, v3, 2
	s_delay_alu instid0(VALU_DEP_1) | instskip(SKIP_3) | instid1(VALU_DEP_3)
	v_add_co_ci_u32_e64 v56, s4, 0, v20, s4
	v_sub_co_u32 v57, s4, v30, s24
	v_sub_co_ci_u32_e32 v31, vcc_lo, v29, v31, vcc_lo
	v_subrev_co_ci_u32_e64 v54, s4, 0, v54, s4
	v_cmp_le_u32_e32 vcc_lo, s24, v57
	s_delay_alu instid0(VALU_DEP_3) | instskip(SKIP_1) | instid1(VALU_DEP_4)
	v_cmp_eq_u32_e64 s4, s25, v31
	v_cndmask_b32_e64 v57, 0, -1, vcc_lo
	v_cmp_le_u32_e32 vcc_lo, s25, v54
	v_cndmask_b32_e64 v58, 0, -1, vcc_lo
	v_cmp_le_u32_e32 vcc_lo, s24, v30
	;; [unrolled: 2-line block ×3, first 2 shown]
	v_cndmask_b32_e64 v59, 0, -1, vcc_lo
	v_cmp_eq_u32_e32 vcc_lo, s25, v54
	s_delay_alu instid0(VALU_DEP_2) | instskip(SKIP_3) | instid1(VALU_DEP_3)
	v_cndmask_b32_e64 v30, v59, v30, s4
	v_cndmask_b32_e32 v54, v58, v57, vcc_lo
	v_add_co_u32 v57, vcc_lo, v3, 1
	v_add_co_ci_u32_e32 v58, vcc_lo, 0, v20, vcc_lo
	v_cmp_ne_u32_e32 vcc_lo, 0, v54
	s_delay_alu instid0(VALU_DEP_2) | instskip(SKIP_1) | instid1(VALU_DEP_2)
	v_dual_cndmask_b32 v31, v58, v56 :: v_dual_cndmask_b32 v54, v57, v55
	v_cmp_ne_u32_e32 vcc_lo, 0, v30
	v_dual_cndmask_b32 v31, v20, v31 :: v_dual_cndmask_b32 v30, v3, v54
.LBB96_53:                              ;   in Loop: Header=BB96_51 Depth=2
	s_and_not1_saveexec_b32 s4, s36
	s_cbranch_execz .LBB96_55
; %bb.54:                               ;   in Loop: Header=BB96_51 Depth=2
	v_cvt_f32_u32_e32 v3, s24
	s_sub_i32 s36, 0, s24
	s_delay_alu instid0(VALU_DEP_1) | instskip(SKIP_2) | instid1(VALU_DEP_1)
	v_rcp_iflag_f32_e32 v3, v3
	s_waitcnt_depctr 0xfff
	v_mul_f32_e32 v3, 0x4f7ffffe, v3
	v_cvt_u32_f32_e32 v3, v3
	s_delay_alu instid0(VALU_DEP_1) | instskip(NEXT) | instid1(VALU_DEP_1)
	v_mul_lo_u32 v20, s36, v3
	v_mul_hi_u32 v20, v3, v20
	s_delay_alu instid0(VALU_DEP_1) | instskip(NEXT) | instid1(VALU_DEP_1)
	v_add_nc_u32_e32 v3, v3, v20
	v_mul_hi_u32 v3, v28, v3
	s_delay_alu instid0(VALU_DEP_1) | instskip(SKIP_1) | instid1(VALU_DEP_2)
	v_mul_lo_u32 v20, v3, s24
	v_add_nc_u32_e32 v30, 1, v3
	v_sub_nc_u32_e32 v20, v28, v20
	s_delay_alu instid0(VALU_DEP_1) | instskip(SKIP_1) | instid1(VALU_DEP_2)
	v_subrev_nc_u32_e32 v31, s24, v20
	v_cmp_le_u32_e32 vcc_lo, s24, v20
	v_dual_cndmask_b32 v20, v20, v31 :: v_dual_mov_b32 v31, v19
	v_cndmask_b32_e32 v3, v3, v30, vcc_lo
	s_delay_alu instid0(VALU_DEP_2) | instskip(NEXT) | instid1(VALU_DEP_2)
	v_cmp_le_u32_e32 vcc_lo, s24, v20
	v_add_nc_u32_e32 v30, 1, v3
	s_delay_alu instid0(VALU_DEP_1)
	v_cndmask_b32_e32 v30, v3, v30, vcc_lo
.LBB96_55:                              ;   in Loop: Header=BB96_51 Depth=2
	s_or_b32 exec_lo, exec_lo, s4
	s_load_b64 s[36:37], s[22:23], 0xc8
	v_mul_lo_u32 v3, v31, s24
	s_delay_alu instid0(VALU_DEP_2)
	v_mul_lo_u32 v20, v30, s25
	v_mad_u64_u32 v[54:55], null, v30, s24, 0
	s_add_i32 s35, s35, -1
	s_add_u32 s22, s22, -8
	s_addc_u32 s23, s23, -1
	s_cmp_gt_u32 s35, 2
	s_delay_alu instid0(VALU_DEP_1) | instskip(NEXT) | instid1(VALU_DEP_2)
	v_add3_u32 v3, v55, v20, v3
	v_sub_co_u32 v20, vcc_lo, v28, v54
	s_delay_alu instid0(VALU_DEP_2) | instskip(SKIP_1) | instid1(VALU_DEP_2)
	v_sub_co_ci_u32_e32 v3, vcc_lo, v29, v3, vcc_lo
	s_waitcnt lgkmcnt(0)
	v_mul_lo_u32 v54, s37, v20
	s_delay_alu instid0(VALU_DEP_2) | instskip(SKIP_1) | instid1(VALU_DEP_1)
	v_mul_lo_u32 v3, s36, v3
	v_mad_u64_u32 v[28:29], null, s36, v20, v[26:27]
	v_add3_u32 v27, v54, v29, v3
	s_delay_alu instid0(VALU_DEP_2)
	v_mov_b32_e32 v26, v28
	s_cbranch_scc0 .LBB96_57
; %bb.56:                               ;   in Loop: Header=BB96_51 Depth=2
	v_dual_mov_b32 v28, v30 :: v_dual_mov_b32 v29, v31
	s_branch .LBB96_51
.LBB96_57:                              ;   in Loop: Header=BB96_8 Depth=1
	v_mul_lo_u32 v3, s17, v30
	v_mul_lo_u32 v20, s16, v31
	v_mad_u64_u32 v[28:29], null, s16, v30, 0
	v_lshlrev_b64 v[26:27], 2, v[26:27]
	s_delay_alu instid0(VALU_DEP_2) | instskip(NEXT) | instid1(VALU_DEP_1)
	v_add3_u32 v29, v29, v20, v3
	v_lshlrev_b64 v[28:29], 2, v[28:29]
	s_delay_alu instid0(VALU_DEP_1) | instskip(NEXT) | instid1(VALU_DEP_2)
	v_add_co_u32 v3, vcc_lo, s18, v28
	v_add_co_ci_u32_e32 v20, vcc_lo, s19, v29, vcc_lo
	s_delay_alu instid0(VALU_DEP_2) | instskip(NEXT) | instid1(VALU_DEP_2)
	v_add_co_u32 v26, vcc_lo, v3, v26
	v_add_co_ci_u32_e32 v27, vcc_lo, v20, v27, vcc_lo
	global_load_b32 v3, v[26:27], off
	s_or_b32 exec_lo, exec_lo, s34
	s_and_saveexec_b32 s4, s0
	s_cbranch_execz .LBB96_47
.LBB96_58:                              ;   in Loop: Header=BB96_8 Depth=1
	v_cvt_f32_u32_e32 v4, v4
	v_mul_lo_u32 v20, v22, s10
	v_mul_lo_u32 v28, v21, s11
	v_mad_u64_u32 v[26:27], null, v21, s10, 0
	s_delay_alu instid0(VALU_DEP_4) | instskip(NEXT) | instid1(VALU_DEP_1)
	v_fmaak_f32 v4, 0x2f800000, v4, 0x2f800000
	v_cmp_gt_f32_e32 vcc_lo, s28, v4
	s_delay_alu instid0(VALU_DEP_3) | instskip(SKIP_1) | instid1(VALU_DEP_2)
	v_add3_u32 v27, v27, v28, v20
	v_cndmask_b32_e64 v4, 0, 1.0, vcc_lo
	v_lshlrev_b64 v[28:29], 2, v[26:27]
	v_add_co_u32 v26, s0, s12, v26
	s_delay_alu instid0(VALU_DEP_1) | instskip(SKIP_2) | instid1(VALU_DEP_4)
	v_add_co_ci_u32_e64 v27, s0, s13, v27, s0
	s_waitcnt vmcnt(0)
	v_mul_f32_e32 v4, v0, v4
	v_add_co_u32 v28, s0, s14, v28
	s_delay_alu instid0(VALU_DEP_1) | instskip(NEXT) | instid1(VALU_DEP_3)
	v_add_co_ci_u32_e64 v29, s0, s15, v29, s0
	v_mul_f32_e32 v4, v52, v4
	v_cndmask_b32_e64 v20, 0, 1, vcc_lo
	global_store_b32 v[28:29], v4, off
	global_store_b8 v[26:27], v20, off
	s_or_b32 exec_lo, exec_lo, s4
	s_and_saveexec_b32 s4, s1
	s_cbranch_execz .LBB96_48
.LBB96_59:                              ;   in Loop: Header=BB96_8 Depth=1
	v_cvt_f32_u32_e32 v5, v5
	v_mul_lo_u32 v4, v12, s10
	v_mul_lo_u32 v12, v11, s11
	v_mad_u64_u32 v[26:27], null, v11, s10, 0
	s_delay_alu instid0(VALU_DEP_4) | instskip(NEXT) | instid1(VALU_DEP_1)
	v_fmaak_f32 v5, 0x2f800000, v5, 0x2f800000
	v_cmp_gt_f32_e32 vcc_lo, s28, v5
	s_delay_alu instid0(VALU_DEP_3) | instskip(NEXT) | instid1(VALU_DEP_4)
	v_add3_u32 v27, v27, v12, v4
	v_add_co_u32 v11, s0, s12, v26
	v_cndmask_b32_e64 v20, 0, 1.0, vcc_lo
	s_delay_alu instid0(VALU_DEP_3) | instskip(SKIP_4) | instid1(VALU_DEP_4)
	v_lshlrev_b64 v[4:5], 2, v[26:27]
	v_add_co_ci_u32_e64 v12, s0, s13, v27, s0
	v_cndmask_b32_e64 v26, 0, 1, vcc_lo
	s_waitcnt vmcnt(0)
	v_mul_f32_e32 v20, v1, v20
	v_add_co_u32 v4, s0, s14, v4
	s_delay_alu instid0(VALU_DEP_1) | instskip(NEXT) | instid1(VALU_DEP_3)
	v_add_co_ci_u32_e64 v5, s0, s15, v5, s0
	v_mul_f32_e32 v20, v52, v20
	global_store_b32 v[4:5], v20, off
	global_store_b8 v[11:12], v26, off
	s_or_b32 exec_lo, exec_lo, s4
	s_and_saveexec_b32 s1, s2
	s_cbranch_execz .LBB96_49
.LBB96_60:                              ;   in Loop: Header=BB96_8 Depth=1
	v_cvt_f32_u32_e32 v6, v6
	v_mul_lo_u32 v11, v14, s10
	v_mul_lo_u32 v12, v13, s11
	v_mad_u64_u32 v[4:5], null, v13, s10, 0
	s_delay_alu instid0(VALU_DEP_4) | instskip(NEXT) | instid1(VALU_DEP_1)
	v_fmaak_f32 v6, 0x2f800000, v6, 0x2f800000
	v_cmp_gt_f32_e32 vcc_lo, s28, v6
	s_delay_alu instid0(VALU_DEP_3) | instskip(SKIP_1) | instid1(VALU_DEP_2)
	v_add3_u32 v5, v5, v12, v11
	v_cndmask_b32_e64 v6, 0, 1.0, vcc_lo
	v_lshlrev_b64 v[11:12], 2, v[4:5]
	v_add_co_u32 v4, s0, s12, v4
	s_delay_alu instid0(VALU_DEP_1) | instskip(SKIP_2) | instid1(VALU_DEP_4)
	v_add_co_ci_u32_e64 v5, s0, s13, v5, s0
	s_waitcnt vmcnt(0)
	v_mul_f32_e32 v6, v2, v6
	v_add_co_u32 v11, s0, s14, v11
	s_delay_alu instid0(VALU_DEP_1) | instskip(NEXT) | instid1(VALU_DEP_3)
	v_add_co_ci_u32_e64 v12, s0, s15, v12, s0
	v_mul_f32_e32 v6, v52, v6
	v_cndmask_b32_e64 v13, 0, 1, vcc_lo
	global_store_b32 v[11:12], v6, off
	global_store_b8 v[4:5], v13, off
	s_or_b32 exec_lo, exec_lo, s1
	s_and_saveexec_b32 s1, s3
	s_cbranch_execz .LBB96_7
.LBB96_61:                              ;   in Loop: Header=BB96_8 Depth=1
	v_cvt_f32_u32_e32 v7, v7
	v_mul_lo_u32 v6, v25, s10
	v_mul_lo_u32 v11, v24, s11
	v_mad_u64_u32 v[4:5], null, v24, s10, 0
	s_delay_alu instid0(VALU_DEP_4) | instskip(NEXT) | instid1(VALU_DEP_1)
	v_fmaak_f32 v7, 0x2f800000, v7, 0x2f800000
	v_cmp_gt_f32_e32 vcc_lo, s28, v7
	s_delay_alu instid0(VALU_DEP_3) | instskip(SKIP_1) | instid1(VALU_DEP_2)
	v_add3_u32 v5, v5, v11, v6
	v_cndmask_b32_e64 v11, 0, 1.0, vcc_lo
	v_lshlrev_b64 v[6:7], 2, v[4:5]
	v_add_co_u32 v4, s0, s12, v4
	s_delay_alu instid0(VALU_DEP_1) | instskip(SKIP_2) | instid1(VALU_DEP_4)
	v_add_co_ci_u32_e64 v5, s0, s13, v5, s0
	s_waitcnt vmcnt(0)
	v_mul_f32_e32 v11, v3, v11
	v_add_co_u32 v6, s0, s14, v6
	s_delay_alu instid0(VALU_DEP_1) | instskip(NEXT) | instid1(VALU_DEP_3)
	v_add_co_ci_u32_e64 v7, s0, s15, v7, s0
	v_mul_f32_e32 v11, v52, v11
	v_cndmask_b32_e64 v12, 0, 1, vcc_lo
	global_store_b32 v[6:7], v11, off
	global_store_b8 v[4:5], v12, off
	s_branch .LBB96_7
.LBB96_62:
	s_endpgm
.LBB96_63:
                                        ; implicit-def: $sgpr2_sgpr3
	s_branch .LBB96_4
	.section	.rodata,"a",@progbits
	.p2align	6, 0x0
	.amdhsa_kernel _ZN2at6native12_GLOBAL__N_120fused_dropout_kernelIffmLin1ELi1EhEEvNS_4cuda6detail10TensorInfoIKT_T1_EENS5_IS6_S8_EENS5_IT4_S8_EES8_T0_NS_15PhiloxCudaStateE
		.amdhsa_group_segment_fixed_size 0
		.amdhsa_private_segment_fixed_size 0
		.amdhsa_kernarg_size 1552
		.amdhsa_user_sgpr_count 15
		.amdhsa_user_sgpr_dispatch_ptr 0
		.amdhsa_user_sgpr_queue_ptr 0
		.amdhsa_user_sgpr_kernarg_segment_ptr 1
		.amdhsa_user_sgpr_dispatch_id 0
		.amdhsa_user_sgpr_private_segment_size 0
		.amdhsa_wavefront_size32 1
		.amdhsa_uses_dynamic_stack 0
		.amdhsa_enable_private_segment 0
		.amdhsa_system_sgpr_workgroup_id_x 1
		.amdhsa_system_sgpr_workgroup_id_y 0
		.amdhsa_system_sgpr_workgroup_id_z 0
		.amdhsa_system_sgpr_workgroup_info 0
		.amdhsa_system_vgpr_workitem_id 0
		.amdhsa_next_free_vgpr 60
		.amdhsa_next_free_sgpr 38
		.amdhsa_reserve_vcc 1
		.amdhsa_float_round_mode_32 0
		.amdhsa_float_round_mode_16_64 0
		.amdhsa_float_denorm_mode_32 3
		.amdhsa_float_denorm_mode_16_64 3
		.amdhsa_dx10_clamp 1
		.amdhsa_ieee_mode 1
		.amdhsa_fp16_overflow 0
		.amdhsa_workgroup_processor_mode 1
		.amdhsa_memory_ordered 1
		.amdhsa_forward_progress 0
		.amdhsa_shared_vgpr_count 0
		.amdhsa_exception_fp_ieee_invalid_op 0
		.amdhsa_exception_fp_denorm_src 0
		.amdhsa_exception_fp_ieee_div_zero 0
		.amdhsa_exception_fp_ieee_overflow 0
		.amdhsa_exception_fp_ieee_underflow 0
		.amdhsa_exception_fp_ieee_inexact 0
		.amdhsa_exception_int_div_zero 0
	.end_amdhsa_kernel
	.section	.text._ZN2at6native12_GLOBAL__N_120fused_dropout_kernelIffmLin1ELi1EhEEvNS_4cuda6detail10TensorInfoIKT_T1_EENS5_IS6_S8_EENS5_IT4_S8_EES8_T0_NS_15PhiloxCudaStateE,"axG",@progbits,_ZN2at6native12_GLOBAL__N_120fused_dropout_kernelIffmLin1ELi1EhEEvNS_4cuda6detail10TensorInfoIKT_T1_EENS5_IS6_S8_EENS5_IT4_S8_EES8_T0_NS_15PhiloxCudaStateE,comdat
.Lfunc_end96:
	.size	_ZN2at6native12_GLOBAL__N_120fused_dropout_kernelIffmLin1ELi1EhEEvNS_4cuda6detail10TensorInfoIKT_T1_EENS5_IS6_S8_EENS5_IT4_S8_EES8_T0_NS_15PhiloxCudaStateE, .Lfunc_end96-_ZN2at6native12_GLOBAL__N_120fused_dropout_kernelIffmLin1ELi1EhEEvNS_4cuda6detail10TensorInfoIKT_T1_EENS5_IS6_S8_EENS5_IT4_S8_EES8_T0_NS_15PhiloxCudaStateE
                                        ; -- End function
	.section	.AMDGPU.csdata,"",@progbits
; Kernel info:
; codeLenInByte = 8164
; NumSgprs: 40
; NumVgprs: 60
; ScratchSize: 0
; MemoryBound: 0
; FloatMode: 240
; IeeeMode: 1
; LDSByteSize: 0 bytes/workgroup (compile time only)
; SGPRBlocks: 4
; VGPRBlocks: 7
; NumSGPRsForWavesPerEU: 40
; NumVGPRsForWavesPerEU: 60
; Occupancy: 16
; WaveLimiterHint : 1
; COMPUTE_PGM_RSRC2:SCRATCH_EN: 0
; COMPUTE_PGM_RSRC2:USER_SGPR: 15
; COMPUTE_PGM_RSRC2:TRAP_HANDLER: 0
; COMPUTE_PGM_RSRC2:TGID_X_EN: 1
; COMPUTE_PGM_RSRC2:TGID_Y_EN: 0
; COMPUTE_PGM_RSRC2:TGID_Z_EN: 0
; COMPUTE_PGM_RSRC2:TIDIG_COMP_CNT: 0
	.section	.text._ZN2at6native12_GLOBAL__N_120fused_dropout_kernelIffmLin1ELin1EhEEvNS_4cuda6detail10TensorInfoIKT_T1_EENS5_IS6_S8_EENS5_IT4_S8_EES8_T0_NS_15PhiloxCudaStateE,"axG",@progbits,_ZN2at6native12_GLOBAL__N_120fused_dropout_kernelIffmLin1ELin1EhEEvNS_4cuda6detail10TensorInfoIKT_T1_EENS5_IS6_S8_EENS5_IT4_S8_EES8_T0_NS_15PhiloxCudaStateE,comdat
	.globl	_ZN2at6native12_GLOBAL__N_120fused_dropout_kernelIffmLin1ELin1EhEEvNS_4cuda6detail10TensorInfoIKT_T1_EENS5_IS6_S8_EENS5_IT4_S8_EES8_T0_NS_15PhiloxCudaStateE ; -- Begin function _ZN2at6native12_GLOBAL__N_120fused_dropout_kernelIffmLin1ELin1EhEEvNS_4cuda6detail10TensorInfoIKT_T1_EENS5_IS6_S8_EENS5_IT4_S8_EES8_T0_NS_15PhiloxCudaStateE
	.p2align	8
	.type	_ZN2at6native12_GLOBAL__N_120fused_dropout_kernelIffmLin1ELin1EhEEvNS_4cuda6detail10TensorInfoIKT_T1_EENS5_IS6_S8_EENS5_IT4_S8_EES8_T0_NS_15PhiloxCudaStateE,@function
_ZN2at6native12_GLOBAL__N_120fused_dropout_kernelIffmLin1ELin1EhEEvNS_4cuda6detail10TensorInfoIKT_T1_EENS5_IS6_S8_EENS5_IT4_S8_EES8_T0_NS_15PhiloxCudaStateE: ; @_ZN2at6native12_GLOBAL__N_120fused_dropout_kernelIffmLin1ELin1EhEEvNS_4cuda6detail10TensorInfoIKT_T1_EENS5_IS6_S8_EENS5_IT4_S8_EES8_T0_NS_15PhiloxCudaStateE
; %bb.0:
	s_clause 0x1
	s_load_b128 s[4:7], s[0:1], 0x4f0
	s_load_b32 s2, s[0:1], 0x508
	s_waitcnt lgkmcnt(0)
	v_dual_mov_b32 v1, s6 :: v_dual_mov_b32 v2, s7
	v_dual_mov_b32 v16, s5 :: v_dual_mov_b32 v15, s4
	s_bitcmp0_b32 s2, 0
	s_mov_b32 s2, 0
	s_cbranch_scc1 .LBB97_2
; %bb.1:
	v_dual_mov_b32 v1, s6 :: v_dual_mov_b32 v2, s7
	v_dual_mov_b32 v3, s4 :: v_dual_mov_b32 v4, s5
	s_load_b64 s[4:5], s[0:1], 0x500
	flat_load_b64 v[1:2], v[1:2]
	flat_load_b64 v[15:16], v[3:4]
	s_waitcnt vmcnt(1) lgkmcnt(0)
	v_add_co_u32 v1, vcc_lo, v1, s4
	v_add_co_ci_u32_e32 v2, vcc_lo, s5, v2, vcc_lo
.LBB97_2:
	s_clause 0x2
	s_load_b32 s3, s[0:1], 0x51c
	s_load_b64 s[6:7], s[0:1], 0x4e0
	s_load_b32 s4, s[0:1], 0x510
	s_waitcnt lgkmcnt(0)
	s_and_b32 s5, s3, 0xffff
	s_add_u32 s8, s6, -1
	s_mul_i32 s28, s4, s5
	s_addc_u32 s3, s7, -1
	s_lshl_b32 s29, s28, 2
	s_cmp_lg_u64 s[2:3], 0
	s_cbranch_scc0 .LBB97_88
; %bb.3:
	v_cvt_f32_u32_e32 v3, s29
	s_sub_u32 s10, 0, s29
	s_subb_u32 s11, 0, 0
	s_delay_alu instid0(VALU_DEP_1) | instskip(NEXT) | instid1(VALU_DEP_1)
	v_fmamk_f32 v3, 0, 0x4f800000, v3
	v_rcp_f32_e32 v3, v3
	s_waitcnt_depctr 0xfff
	v_mul_f32_e32 v3, 0x5f7ffffc, v3
	s_delay_alu instid0(VALU_DEP_1) | instskip(NEXT) | instid1(VALU_DEP_1)
	v_mul_f32_e32 v4, 0x2f800000, v3
	v_trunc_f32_e32 v4, v4
	s_delay_alu instid0(VALU_DEP_1) | instskip(SKIP_1) | instid1(VALU_DEP_2)
	v_fmamk_f32 v3, v4, 0xcf800000, v3
	v_cvt_u32_f32_e32 v4, v4
	v_cvt_u32_f32_e32 v3, v3
	s_delay_alu instid0(VALU_DEP_2) | instskip(NEXT) | instid1(VALU_DEP_2)
	v_readfirstlane_b32 s2, v4
	v_readfirstlane_b32 s9, v3
	s_delay_alu instid0(VALU_DEP_2) | instskip(NEXT) | instid1(VALU_DEP_1)
	s_mul_i32 s12, s10, s2
	s_mul_hi_u32 s14, s10, s9
	s_mul_i32 s13, s11, s9
	s_add_i32 s12, s14, s12
	s_mul_i32 s16, s10, s9
	s_add_i32 s12, s12, s13
	s_mul_hi_u32 s14, s9, s16
	s_mul_hi_u32 s17, s2, s16
	s_mul_i32 s13, s2, s16
	s_mul_hi_u32 s16, s9, s12
	s_mul_i32 s9, s9, s12
	s_mul_hi_u32 s18, s2, s12
	s_add_u32 s9, s14, s9
	s_addc_u32 s14, 0, s16
	s_add_u32 s9, s9, s13
	s_mul_i32 s12, s2, s12
	s_addc_u32 s9, s14, s17
	s_addc_u32 s13, s18, 0
	s_add_u32 s9, s9, s12
	s_addc_u32 s12, 0, s13
	v_add_co_u32 v3, s9, v3, s9
	s_delay_alu instid0(VALU_DEP_1) | instskip(SKIP_1) | instid1(VALU_DEP_1)
	s_cmp_lg_u32 s9, 0
	s_addc_u32 s2, s2, s12
	v_readfirstlane_b32 s9, v3
	s_mul_i32 s12, s10, s2
	s_delay_alu instid0(VALU_DEP_1)
	s_mul_hi_u32 s13, s10, s9
	s_mul_i32 s11, s11, s9
	s_add_i32 s12, s13, s12
	s_mul_i32 s10, s10, s9
	s_add_i32 s12, s12, s11
	s_mul_hi_u32 s13, s2, s10
	s_mul_i32 s14, s2, s10
	s_mul_hi_u32 s10, s9, s10
	s_mul_hi_u32 s16, s9, s12
	s_mul_i32 s9, s9, s12
	s_mul_hi_u32 s11, s2, s12
	s_add_u32 s9, s10, s9
	s_addc_u32 s10, 0, s16
	s_add_u32 s9, s9, s14
	s_mul_i32 s12, s2, s12
	s_addc_u32 s9, s10, s13
	s_addc_u32 s10, s11, 0
	s_add_u32 s9, s9, s12
	s_addc_u32 s10, 0, s10
	v_add_co_u32 v3, s9, v3, s9
	s_delay_alu instid0(VALU_DEP_1) | instskip(SKIP_1) | instid1(VALU_DEP_1)
	s_cmp_lg_u32 s9, 0
	s_addc_u32 s2, s2, s10
	v_readfirstlane_b32 s9, v3
	s_mul_i32 s11, s8, s2
	s_mul_hi_u32 s10, s8, s2
	s_mul_hi_u32 s12, s3, s2
	s_mul_i32 s2, s3, s2
	s_mul_hi_u32 s13, s8, s9
	s_mul_hi_u32 s14, s3, s9
	s_mul_i32 s9, s3, s9
	s_add_u32 s11, s13, s11
	s_addc_u32 s10, 0, s10
	s_add_u32 s9, s11, s9
	s_addc_u32 s9, s10, s14
	s_addc_u32 s10, s12, 0
	s_add_u32 s2, s9, s2
	s_addc_u32 s10, 0, s10
	s_mul_i32 s11, s29, s2
	s_add_u32 s9, s2, 1
	v_sub_co_u32 v3, s11, s8, s11
	s_mul_hi_u32 s12, s29, s2
	s_addc_u32 s13, s10, 0
	s_mul_i32 s14, s29, s10
	s_delay_alu instid0(VALU_DEP_1)
	v_sub_co_u32 v4, s16, v3, s29
	s_add_u32 s17, s2, 2
	s_addc_u32 s18, s10, 0
	s_add_i32 s12, s12, s14
	s_cmp_lg_u32 s11, 0
	v_readfirstlane_b32 s11, v4
	s_subb_u32 s3, s3, s12
	s_cmp_lg_u32 s16, 0
	s_subb_u32 s12, s3, 0
	s_delay_alu instid0(VALU_DEP_1) | instskip(SKIP_4) | instid1(SALU_CYCLE_1)
	s_cmp_ge_u32 s11, s29
	s_cselect_b32 s11, -1, 0
	s_cmp_eq_u32 s12, 0
	v_readfirstlane_b32 s12, v3
	s_cselect_b32 s11, s11, -1
	s_cmp_lg_u32 s11, 0
	s_cselect_b32 s11, s17, s9
	s_cselect_b32 s13, s18, s13
	s_cmp_ge_u32 s12, s29
	s_cselect_b32 s9, -1, 0
	s_cmp_eq_u32 s3, 0
	s_cselect_b32 s3, s9, -1
	s_delay_alu instid0(SALU_CYCLE_1)
	s_cmp_lg_u32 s3, 0
	s_cselect_b32 s3, s13, s10
	s_cselect_b32 s2, s11, s2
	s_cbranch_execnz .LBB97_5
.LBB97_4:
	v_cvt_f32_u32_e32 v3, s29
	s_sub_i32 s3, 0, s29
	s_delay_alu instid0(VALU_DEP_1) | instskip(SKIP_2) | instid1(VALU_DEP_1)
	v_rcp_iflag_f32_e32 v3, v3
	s_waitcnt_depctr 0xfff
	v_mul_f32_e32 v3, 0x4f7ffffe, v3
	v_cvt_u32_f32_e32 v3, v3
	s_delay_alu instid0(VALU_DEP_1) | instskip(NEXT) | instid1(VALU_DEP_1)
	v_readfirstlane_b32 s2, v3
	s_mul_i32 s3, s3, s2
	s_delay_alu instid0(SALU_CYCLE_1) | instskip(NEXT) | instid1(SALU_CYCLE_1)
	s_mul_hi_u32 s3, s2, s3
	s_add_i32 s2, s2, s3
	s_delay_alu instid0(SALU_CYCLE_1) | instskip(NEXT) | instid1(SALU_CYCLE_1)
	s_mul_hi_u32 s2, s8, s2
	s_mul_i32 s3, s2, s29
	s_delay_alu instid0(SALU_CYCLE_1)
	s_sub_i32 s3, s8, s3
	s_add_i32 s8, s2, 1
	s_sub_i32 s9, s3, s29
	s_cmp_ge_u32 s3, s29
	s_cselect_b32 s2, s8, s2
	s_cselect_b32 s3, s9, s3
	s_add_i32 s8, s2, 1
	s_cmp_ge_u32 s3, s29
	s_mov_b32 s3, 0
	s_cselect_b32 s2, s8, s2
.LBB97_5:
	s_delay_alu instid0(SALU_CYCLE_1)
	s_add_u32 s2, s2, 1
	s_addc_u32 s3, s3, 0
	v_mov_b32_e32 v19, 0
	v_mad_u64_u32 v[17:18], null, s15, s5, v[0:1]
	s_mul_i32 s3, s28, s3
	s_mul_hi_u32 s8, s28, s2
	s_mul_hi_u32 s4, s4, s5
	s_add_i32 s3, s8, s3
	s_mul_i32 s4, s4, s2
	v_mov_b32_e32 v18, v19
	s_add_i32 s3, s3, s4
	s_mul_i32 s2, s28, s2
	s_delay_alu instid0(SALU_CYCLE_1)
	s_lshl_b64 s[8:9], s[2:3], 2
	s_mov_b32 s2, exec_lo
	v_cmpx_gt_u64_e64 s[8:9], v[17:18]
	s_cbranch_execz .LBB97_87
; %bb.6:
	v_alignbit_b32 v32, v2, v1, 2
	v_mad_u64_u32 v[3:4], null, 0xcd9e8d57, v17, 0
	v_lshrrev_b32_e32 v33, 2, v2
	s_waitcnt vmcnt(0)
	v_dual_mov_b32 v10, v16 :: v_dual_add_nc_u32 v39, 0x8ff34781, v15
	v_mad_u64_u32 v[5:6], null, 0xd2511f53, v32, 0
	v_add_co_u32 v35, null, 0x9e3779b9, v15
	v_xor3_b32 v0, v15, v4, v33
	s_delay_alu instid0(VALU_DEP_4) | instskip(SKIP_2) | instid1(VALU_DEP_4)
	v_add_co_u32 v34, null, 0xbb67ae85, v10
	v_add_co_u32 v36, null, 0x3c6ef372, v15
	v_xor_b32_e32 v2, v6, v16
	v_mad_u64_u32 v[6:7], null, 0xd2511f53, v0, 0
	v_add_co_u32 v37, null, 0x76cf5d0a, v10
	s_delay_alu instid0(VALU_DEP_3)
	v_mad_u64_u32 v[8:9], null, 0xcd9e8d57, v2, 0
	v_and_b32_e32 v38, 3, v1
	v_add_co_u32 v41, null, 0x32370b8f, v10
	v_xor3_b32 v0, v34, v7, v5
	v_add_co_u32 v42, null, 0xdaa66d2b, v15
	v_xor3_b32 v7, v9, v35, v3
	s_clause 0x1
	s_load_b32 s30, s[0:1], 0x4e8
	s_load_b64 s[18:19], s[0:1], 0x270
	v_mad_u64_u32 v[2:3], null, 0xcd9e8d57, v0, 0
	v_mad_u64_u32 v[4:5], null, 0xd2511f53, v7, 0
	v_add_co_u32 v44, null, 0x78dde6e4, v15
	v_add_co_u32 v45, null, 0xed9eba14, v10
	s_delay_alu instid0(VALU_DEP_4) | instskip(SKIP_3) | instid1(VALU_DEP_4)
	v_xor3_b32 v3, v36, v3, v8
	v_add_co_u32 v46, null, 0x1715609d, v15
	v_xor3_b32 v7, v5, v37, v6
	v_add_co_u32 v47, null, 0xa9066899, v10
	v_mad_u64_u32 v[0:1], null, 0xd2511f53, v3, 0
	s_delay_alu instid0(VALU_DEP_3) | instskip(SKIP_4) | instid1(VALU_DEP_4)
	v_mad_u64_u32 v[5:6], null, 0xcd9e8d57, v7, 0
	s_waitcnt lgkmcnt(0)
	v_div_scale_f32 v11, null, s30, s30, 1.0
	s_load_b64 s[12:13], s[0:1], 0x1a0
	v_add_co_u32 v43, null, 0xb54cda56, v15
	v_xor3_b32 v3, v41, v1, v4
	s_delay_alu instid0(VALU_DEP_4) | instskip(SKIP_2) | instid1(VALU_DEP_3)
	v_xor3_b32 v6, v6, v42, v2
	v_rcp_f32_e32 v12, v11
	v_add_co_u32 v50, null, 0x646e171e, v10
	v_mad_u64_u32 v[1:2], null, 0xcd9e8d57, v3, 0
	s_delay_alu instid0(VALU_DEP_3)
	v_mad_u64_u32 v[3:4], null, 0xd2511f53, v6, 0
	s_clause 0x2
	s_load_b32 s20, s[0:1], 0x198
	s_load_b64 s[10:11], s[0:1], 0x340
	s_load_b32 s23, s[0:1], 0x338
	v_add_co_u32 v48, null, 0x5384540f, v15
	s_delay_alu instid0(VALU_DEP_3) | instskip(SKIP_3) | instid1(VALU_DEP_4)
	v_xor3_b32 v2, v44, v2, v5
	v_add_co_u32 v51, null, 0x1fd5c5a3, v10
	v_xor3_b32 v0, v4, v45, v0
	v_add_co_u32 v49, null, 0xf1bbcdc8, v15
	v_mad_u64_u32 v[4:5], null, 0xd2511f53, v2, 0
	s_delay_alu instid0(VALU_DEP_3) | instskip(SKIP_3) | instid1(VALU_DEP_3)
	v_mad_u64_u32 v[6:7], null, 0xcd9e8d57, v0, 0
	v_add_co_u32 v52, null, 0xdb3d7428, v10
	s_add_u32 s22, s0, 0x1a0
	s_addc_u32 s24, s1, 0
	v_xor3_b32 v2, v47, v5, v3
	s_clause 0x1
	s_load_b64 s[14:15], s[0:1], 0xd0
	s_load_b64 s[16:17], s[0:1], 0x0
	v_xor3_b32 v5, v7, v46, v1
	v_div_scale_f32 v7, vcc_lo, 1.0, s30, 1.0
	v_mad_u64_u32 v[0:1], null, 0xcd9e8d57, v2, 0
	s_delay_alu instid0(VALU_DEP_3)
	v_mad_u64_u32 v[2:3], null, 0xd2511f53, v5, 0
	v_fma_f32 v5, -v11, v12, 1.0
	s_waitcnt lgkmcnt(0)
	s_cmp_gt_i32 s20, 1
	s_mov_b32 s5, 0
	s_cselect_b32 s31, -1, 0
	s_delay_alu instid0(VALU_DEP_3)
	v_xor3_b32 v1, v43, v1, v6
	v_fmac_f32_e32 v12, v5, v12
	v_xor3_b32 v8, v3, v50, v4
	s_cmp_gt_i32 s23, 1
	v_dual_mov_b32 v22, v18 :: v_dual_mov_b32 v21, v17
	v_mad_u64_u32 v[3:4], null, 0xd2511f53, v1, 0
	s_delay_alu instid0(VALU_DEP_3) | instskip(SKIP_4) | instid1(VALU_DEP_3)
	v_mad_u64_u32 v[5:6], null, 0xcd9e8d57, v8, 0
	v_mul_f32_e32 v13, v7, v12
	s_cselect_b32 s33, -1, 0
	s_add_i32 s4, s20, -1
	s_lshl_b32 s34, s28, 1
	v_xor3_b32 v2, v51, v4, v2
	v_mov_b32_e32 v18, 0
	s_delay_alu instid0(VALU_DEP_4) | instskip(SKIP_3) | instid1(VALU_DEP_3)
	v_xor3_b32 v4, v6, v48, v0
	v_fma_f32 v6, -v11, v13, v7
	s_lshl_b64 s[2:3], s[4:5], 3
	v_mad_u64_u32 v[0:1], null, 0xcd9e8d57, v2, 0
	v_mad_u64_u32 v[8:9], null, 0xd2511f53, v4, 0
	s_delay_alu instid0(VALU_DEP_3) | instskip(SKIP_3) | instid1(VALU_DEP_3)
	v_fmac_f32_e32 v13, v6, v12
	s_add_i32 s35, s20, 1
	s_add_u32 s0, s2, s0
	s_addc_u32 s1, s3, s1
	v_xor3_b32 v4, v49, v1, v5
	v_fma_f32 v7, -v11, v13, v7
	s_delay_alu instid0(VALU_DEP_4) | instskip(SKIP_3) | instid1(VALU_DEP_2)
	v_xor3_b32 v3, v9, v52, v3
	s_add_u32 s20, s0, 8
	s_addc_u32 s21, s1, 0
	v_mad_u64_u32 v[1:2], null, 0xd2511f53, v4, 0
	v_mad_u64_u32 v[5:6], null, 0xcd9e8d57, v3, 0
	v_add_nc_u32_e32 v40, 0x96a522ad, v16
	v_div_fmas_f32 v3, v7, v12, v13
	s_add_i32 s4, s23, -1
	s_add_i32 s37, s23, 1
	s_delay_alu instid0(VALU_DEP_4)
	v_mov_b32_e32 v7, v1
	s_lshl_b64 s[0:1], s[4:5], 3
	v_div_fixup_f32 v53, v3, s30, 1.0
	v_xor3_b32 v4, v0, v6, v39
	v_xor3_b32 v6, v2, v8, v40
	s_add_u32 s0, s0, s22
	s_addc_u32 s1, s1, s24
	s_add_u32 s22, s0, 8
	s_mul_i32 s36, s28, 3
	s_addc_u32 s23, s1, 0
                                        ; implicit-def: $vgpr0_vgpr1_vgpr2_vgpr3
	s_branch .LBB97_9
.LBB97_7:                               ;   in Loop: Header=BB97_9 Depth=1
	v_cvt_f32_u32_e32 v6, v7
	s_delay_alu instid0(VALU_DEP_3) | instskip(NEXT) | instid1(VALU_DEP_3)
	v_mad_u64_u32 v[13:14], null, s18, v11, v[4:5]
	v_mul_lo_u32 v4, s18, v12
	v_mul_lo_u32 v5, s19, v11
	s_delay_alu instid0(VALU_DEP_4) | instskip(NEXT) | instid1(VALU_DEP_1)
	v_fmaak_f32 v6, 0x2f800000, v6, 0x2f800000
	v_cmp_gt_f32_e32 vcc_lo, s30, v6
	v_add_co_u32 v6, s0, s10, v13
	s_delay_alu instid0(VALU_DEP_4) | instskip(SKIP_2) | instid1(VALU_DEP_3)
	v_add3_u32 v14, v5, v14, v4
	v_cndmask_b32_e64 v11, 0, 1.0, vcc_lo
	v_cndmask_b32_e64 v12, 0, 1, vcc_lo
	v_lshlrev_b64 v[4:5], 2, v[13:14]
	v_add_co_ci_u32_e64 v7, s0, s11, v14, s0
	s_waitcnt vmcnt(0)
	v_mul_f32_e32 v11, v3, v11
	s_delay_alu instid0(VALU_DEP_3) | instskip(NEXT) | instid1(VALU_DEP_1)
	v_add_co_u32 v4, s0, s12, v4
	v_add_co_ci_u32_e64 v5, s0, s13, v5, s0
	s_delay_alu instid0(VALU_DEP_3)
	v_mul_f32_e32 v11, v53, v11
	global_store_b32 v[4:5], v11, off
	global_store_b8 v[6:7], v12, off
.LBB97_8:                               ;   in Loop: Header=BB97_9 Depth=1
	s_or_b32 exec_lo, exec_lo, s1
	v_add_co_u32 v21, vcc_lo, v21, s29
	v_add_co_ci_u32_e32 v22, vcc_lo, 0, v22, vcc_lo
	v_mov_b32_e32 v11, v23
	v_dual_mov_b32 v4, v8 :: v_dual_mov_b32 v5, v9
	s_delay_alu instid0(VALU_DEP_3) | instskip(NEXT) | instid1(VALU_DEP_3)
	v_cmp_le_u64_e32 vcc_lo, s[8:9], v[21:22]
	v_dual_mov_b32 v6, v10 :: v_dual_mov_b32 v7, v11
	s_waitcnt vmcnt(0)
	s_waitcnt_vscnt null, 0x0
	s_barrier
	buffer_gl0_inv
	s_or_b32 s5, vcc_lo, s5
	s_delay_alu instid0(SALU_CYCLE_1)
	s_and_not1_b32 exec_lo, exec_lo, s5
	s_cbranch_execz .LBB97_87
.LBB97_9:                               ; =>This Loop Header: Depth=1
                                        ;     Child Loop BB97_21 Depth 2
                                        ;     Child Loop BB97_30 Depth 2
	;; [unrolled: 1-line block ×8, first 2 shown]
	v_add_co_u32 v32, vcc_lo, v32, 1
	s_delay_alu instid0(VALU_DEP_1) | instskip(SKIP_2) | instid1(VALU_DEP_1)
	v_cndmask_b32_e64 v8, 0, 1, vcc_lo
	v_add_co_ci_u32_e32 v33, vcc_lo, 0, v33, vcc_lo
	s_mov_b32 s0, exec_lo
	v_cmp_eq_u32_e32 vcc_lo, 0, v33
	s_delay_alu instid0(VALU_DEP_3) | instskip(NEXT) | instid1(VALU_DEP_1)
	v_cndmask_b32_e32 v8, 0, v8, vcc_lo
	v_add_nc_u32_e32 v17, v8, v17
	s_delay_alu instid0(VALU_DEP_1) | instskip(SKIP_2) | instid1(VALU_DEP_2)
	v_cmp_eq_u32_e32 vcc_lo, 0, v17
	v_cndmask_b32_e32 v8, 0, v8, vcc_lo
	v_mad_u64_u32 v[10:11], null, 0xcd9e8d57, v17, 0
	v_add_nc_u32_e32 v18, v8, v18
	v_mad_u64_u32 v[8:9], null, 0xd2511f53, v32, 0
	s_delay_alu instid0(VALU_DEP_3) | instskip(NEXT) | instid1(VALU_DEP_2)
	v_xor3_b32 v13, v11, v15, v33
	v_xor_b32_e32 v9, v9, v16
	s_delay_alu instid0(VALU_DEP_2) | instskip(NEXT) | instid1(VALU_DEP_2)
	v_mad_u64_u32 v[11:12], null, 0xd2511f53, v13, 0
	v_xor_b32_e32 v9, v18, v9
	s_delay_alu instid0(VALU_DEP_2) | instskip(NEXT) | instid1(VALU_DEP_2)
	v_xor3_b32 v12, v34, v12, v8
	v_mad_u64_u32 v[13:14], null, 0xcd9e8d57, v9, 0
	s_delay_alu instid0(VALU_DEP_2) | instskip(NEXT) | instid1(VALU_DEP_2)
	v_mad_u64_u32 v[8:9], null, 0xcd9e8d57, v12, 0
	v_xor3_b32 v10, v35, v14, v10
	s_delay_alu instid0(VALU_DEP_2) | instskip(NEXT) | instid1(VALU_DEP_2)
	v_xor3_b32 v12, v36, v9, v13
	v_mad_u64_u32 v[23:24], null, 0xd2511f53, v10, 0
	s_delay_alu instid0(VALU_DEP_2) | instskip(NEXT) | instid1(VALU_DEP_2)
	v_mad_u64_u32 v[9:10], null, 0xd2511f53, v12, 0
	v_xor3_b32 v13, v37, v24, v11
	s_delay_alu instid0(VALU_DEP_2) | instskip(NEXT) | instid1(VALU_DEP_2)
	v_xor3_b32 v10, v41, v10, v23
	v_mad_u64_u32 v[11:12], null, 0xcd9e8d57, v13, 0
	s_delay_alu instid0(VALU_DEP_1) | instskip(NEXT) | instid1(VALU_DEP_3)
	v_xor3_b32 v8, v42, v12, v8
	v_mad_u64_u32 v[12:13], null, 0xcd9e8d57, v10, 0
	s_delay_alu instid0(VALU_DEP_2) | instskip(NEXT) | instid1(VALU_DEP_2)
	v_mad_u64_u32 v[23:24], null, 0xd2511f53, v8, 0
	v_xor3_b32 v10, v44, v13, v11
	s_delay_alu instid0(VALU_DEP_2) | instskip(NEXT) | instid1(VALU_DEP_2)
	v_xor3_b32 v13, v45, v24, v9
	v_mad_u64_u32 v[8:9], null, 0xd2511f53, v10, 0
	s_delay_alu instid0(VALU_DEP_2) | instskip(NEXT) | instid1(VALU_DEP_2)
	v_mad_u64_u32 v[10:11], null, 0xcd9e8d57, v13, 0
	v_xor3_b32 v9, v47, v9, v23
	s_delay_alu instid0(VALU_DEP_2) | instskip(NEXT) | instid1(VALU_DEP_2)
	;; [unrolled: 6-line block ×6, first 2 shown]
	v_xor3_b32 v8, v10, v11, v39
	v_mov_b32_e32 v10, v14
	v_cmpx_lt_i32_e32 1, v38
	s_xor_b32 s0, exec_lo, s0
	s_cbranch_execnz .LBB97_12
; %bb.10:                               ;   in Loop: Header=BB97_9 Depth=1
	s_and_not1_saveexec_b32 s0, s0
	s_cbranch_execnz .LBB97_17
.LBB97_11:                              ;   in Loop: Header=BB97_9 Depth=1
	s_or_b32 exec_lo, exec_lo, s0
	v_cmp_gt_u64_e64 s3, s[6:7], v[21:22]
	s_delay_alu instid0(VALU_DEP_1)
	s_and_saveexec_b32 s1, s3
	s_cbranch_execnz .LBB97_20
	s_branch .LBB97_28
.LBB97_12:                              ;   in Loop: Header=BB97_9 Depth=1
	s_mov_b32 s1, exec_lo
	v_cmpx_lt_i32_e32 2, v38
	s_xor_b32 s1, exec_lo, s1
; %bb.13:                               ;   in Loop: Header=BB97_9 Depth=1
	v_dual_mov_b32 v11, v7 :: v_dual_mov_b32 v12, v8
	v_mov_b32_e32 v13, v9
	s_delay_alu instid0(VALU_DEP_2) | instskip(NEXT) | instid1(VALU_DEP_2)
	v_dual_mov_b32 v4, v11 :: v_dual_mov_b32 v5, v12
	v_dual_mov_b32 v6, v13 :: v_dual_mov_b32 v7, v14
; %bb.14:                               ;   in Loop: Header=BB97_9 Depth=1
	s_and_not1_saveexec_b32 s1, s1
; %bb.15:                               ;   in Loop: Header=BB97_9 Depth=1
	s_delay_alu instid0(VALU_DEP_1)
	v_dual_mov_b32 v4, v6 :: v_dual_mov_b32 v5, v7
	v_dual_mov_b32 v6, v8 :: v_dual_mov_b32 v7, v9
; %bb.16:                               ;   in Loop: Header=BB97_9 Depth=1
	s_or_b32 exec_lo, exec_lo, s1
	s_and_not1_saveexec_b32 s0, s0
	s_cbranch_execz .LBB97_11
.LBB97_17:                              ;   in Loop: Header=BB97_9 Depth=1
	s_mov_b32 s1, exec_lo
	v_cmpx_eq_u32_e32 1, v38
; %bb.18:                               ;   in Loop: Header=BB97_9 Depth=1
	v_dual_mov_b32 v4, v5 :: v_dual_mov_b32 v5, v6
	v_dual_mov_b32 v6, v7 :: v_dual_mov_b32 v7, v8
; %bb.19:                               ;   in Loop: Header=BB97_9 Depth=1
	s_or_b32 exec_lo, exec_lo, s1
	s_delay_alu instid0(SALU_CYCLE_1) | instskip(SKIP_1) | instid1(VALU_DEP_1)
	s_or_b32 exec_lo, exec_lo, s0
	v_cmp_gt_u64_e64 s3, s[6:7], v[21:22]
	s_and_saveexec_b32 s1, s3
	s_cbranch_execz .LBB97_28
.LBB97_20:                              ;   in Loop: Header=BB97_9 Depth=1
	v_mov_b32_e32 v11, 0
	v_dual_mov_b32 v12, 0 :: v_dual_mov_b32 v13, v21
	v_mov_b32_e32 v14, v22
	v_dual_mov_b32 v25, v22 :: v_dual_mov_b32 v24, v21
	s_and_not1_b32 vcc_lo, exec_lo, s31
	s_mov_b64 s[24:25], s[20:21]
	s_mov_b32 s2, s35
	s_cbranch_vccnz .LBB97_27
.LBB97_21:                              ;   Parent Loop BB97_9 Depth=1
                                        ; =>  This Inner Loop Header: Depth=2
	s_load_b64 s[26:27], s[24:25], 0x0
                                        ; implicit-def: $vgpr24_vgpr25
	s_mov_b32 s0, exec_lo
	s_waitcnt lgkmcnt(0)
	v_or_b32_e32 v20, s27, v14
	s_delay_alu instid0(VALU_DEP_1)
	v_cmpx_ne_u64_e32 0, v[19:20]
	s_xor_b32 s4, exec_lo, s0
	s_cbranch_execz .LBB97_23
; %bb.22:                               ;   in Loop: Header=BB97_21 Depth=2
	v_cvt_f32_u32_e32 v0, s26
	v_cvt_f32_u32_e32 v20, s27
	s_sub_u32 s0, 0, s26
	s_subb_u32 s38, 0, s27
	s_delay_alu instid0(VALU_DEP_1) | instskip(NEXT) | instid1(VALU_DEP_1)
	v_fmac_f32_e32 v0, 0x4f800000, v20
	v_rcp_f32_e32 v0, v0
	s_waitcnt_depctr 0xfff
	v_mul_f32_e32 v0, 0x5f7ffffc, v0
	s_delay_alu instid0(VALU_DEP_1) | instskip(NEXT) | instid1(VALU_DEP_1)
	v_mul_f32_e32 v20, 0x2f800000, v0
	v_trunc_f32_e32 v20, v20
	s_delay_alu instid0(VALU_DEP_1) | instskip(SKIP_1) | instid1(VALU_DEP_2)
	v_fmac_f32_e32 v0, 0xcf800000, v20
	v_cvt_u32_f32_e32 v20, v20
	v_cvt_u32_f32_e32 v0, v0
	s_delay_alu instid0(VALU_DEP_2) | instskip(NEXT) | instid1(VALU_DEP_2)
	v_mul_lo_u32 v24, s0, v20
	v_mul_hi_u32 v25, s0, v0
	v_mul_lo_u32 v26, s38, v0
	s_delay_alu instid0(VALU_DEP_2) | instskip(SKIP_1) | instid1(VALU_DEP_2)
	v_add_nc_u32_e32 v24, v25, v24
	v_mul_lo_u32 v25, s0, v0
	v_add_nc_u32_e32 v24, v24, v26
	s_delay_alu instid0(VALU_DEP_2) | instskip(NEXT) | instid1(VALU_DEP_2)
	v_mul_hi_u32 v26, v0, v25
	v_mul_lo_u32 v27, v0, v24
	v_mul_hi_u32 v28, v0, v24
	v_mul_hi_u32 v29, v20, v25
	v_mul_lo_u32 v25, v20, v25
	v_mul_hi_u32 v30, v20, v24
	v_mul_lo_u32 v24, v20, v24
	v_add_co_u32 v26, vcc_lo, v26, v27
	v_add_co_ci_u32_e32 v27, vcc_lo, 0, v28, vcc_lo
	s_delay_alu instid0(VALU_DEP_2) | instskip(NEXT) | instid1(VALU_DEP_2)
	v_add_co_u32 v25, vcc_lo, v26, v25
	v_add_co_ci_u32_e32 v25, vcc_lo, v27, v29, vcc_lo
	v_add_co_ci_u32_e32 v26, vcc_lo, 0, v30, vcc_lo
	s_delay_alu instid0(VALU_DEP_2) | instskip(NEXT) | instid1(VALU_DEP_2)
	v_add_co_u32 v24, vcc_lo, v25, v24
	v_add_co_ci_u32_e32 v25, vcc_lo, 0, v26, vcc_lo
	s_delay_alu instid0(VALU_DEP_2) | instskip(NEXT) | instid1(VALU_DEP_2)
	v_add_co_u32 v0, vcc_lo, v0, v24
	v_add_co_ci_u32_e32 v20, vcc_lo, v20, v25, vcc_lo
	s_delay_alu instid0(VALU_DEP_2) | instskip(SKIP_1) | instid1(VALU_DEP_3)
	v_mul_hi_u32 v24, s0, v0
	v_mul_lo_u32 v26, s38, v0
	v_mul_lo_u32 v25, s0, v20
	s_delay_alu instid0(VALU_DEP_1) | instskip(SKIP_1) | instid1(VALU_DEP_2)
	v_add_nc_u32_e32 v24, v24, v25
	v_mul_lo_u32 v25, s0, v0
	v_add_nc_u32_e32 v24, v24, v26
	s_delay_alu instid0(VALU_DEP_2) | instskip(NEXT) | instid1(VALU_DEP_2)
	v_mul_hi_u32 v26, v0, v25
	v_mul_lo_u32 v27, v0, v24
	v_mul_hi_u32 v28, v0, v24
	v_mul_hi_u32 v29, v20, v25
	v_mul_lo_u32 v25, v20, v25
	v_mul_hi_u32 v30, v20, v24
	v_mul_lo_u32 v24, v20, v24
	v_add_co_u32 v26, vcc_lo, v26, v27
	v_add_co_ci_u32_e32 v27, vcc_lo, 0, v28, vcc_lo
	s_delay_alu instid0(VALU_DEP_2) | instskip(NEXT) | instid1(VALU_DEP_2)
	v_add_co_u32 v25, vcc_lo, v26, v25
	v_add_co_ci_u32_e32 v25, vcc_lo, v27, v29, vcc_lo
	v_add_co_ci_u32_e32 v26, vcc_lo, 0, v30, vcc_lo
	s_delay_alu instid0(VALU_DEP_2) | instskip(NEXT) | instid1(VALU_DEP_2)
	v_add_co_u32 v24, vcc_lo, v25, v24
	v_add_co_ci_u32_e32 v25, vcc_lo, 0, v26, vcc_lo
	s_delay_alu instid0(VALU_DEP_2) | instskip(NEXT) | instid1(VALU_DEP_2)
	v_add_co_u32 v0, vcc_lo, v0, v24
	v_add_co_ci_u32_e32 v20, vcc_lo, v20, v25, vcc_lo
	s_delay_alu instid0(VALU_DEP_2) | instskip(SKIP_1) | instid1(VALU_DEP_3)
	v_mul_hi_u32 v30, v13, v0
	v_mad_u64_u32 v[26:27], null, v14, v0, 0
	v_mad_u64_u32 v[24:25], null, v13, v20, 0
	;; [unrolled: 1-line block ×3, first 2 shown]
	s_delay_alu instid0(VALU_DEP_2) | instskip(NEXT) | instid1(VALU_DEP_3)
	v_add_co_u32 v0, vcc_lo, v30, v24
	v_add_co_ci_u32_e32 v20, vcc_lo, 0, v25, vcc_lo
	s_delay_alu instid0(VALU_DEP_2) | instskip(NEXT) | instid1(VALU_DEP_2)
	v_add_co_u32 v0, vcc_lo, v0, v26
	v_add_co_ci_u32_e32 v0, vcc_lo, v20, v27, vcc_lo
	v_add_co_ci_u32_e32 v20, vcc_lo, 0, v29, vcc_lo
	s_delay_alu instid0(VALU_DEP_2) | instskip(NEXT) | instid1(VALU_DEP_2)
	v_add_co_u32 v0, vcc_lo, v0, v28
	v_add_co_ci_u32_e32 v20, vcc_lo, 0, v20, vcc_lo
	s_delay_alu instid0(VALU_DEP_2) | instskip(SKIP_1) | instid1(VALU_DEP_3)
	v_mul_lo_u32 v26, s27, v0
	v_mad_u64_u32 v[24:25], null, s26, v0, 0
	v_mul_lo_u32 v27, s26, v20
	s_delay_alu instid0(VALU_DEP_2) | instskip(NEXT) | instid1(VALU_DEP_2)
	v_sub_co_u32 v24, vcc_lo, v13, v24
	v_add3_u32 v25, v25, v27, v26
	s_delay_alu instid0(VALU_DEP_1) | instskip(NEXT) | instid1(VALU_DEP_1)
	v_sub_nc_u32_e32 v26, v14, v25
	v_subrev_co_ci_u32_e64 v26, s0, s27, v26, vcc_lo
	v_add_co_u32 v27, s0, v0, 2
	s_delay_alu instid0(VALU_DEP_1) | instskip(SKIP_3) | instid1(VALU_DEP_3)
	v_add_co_ci_u32_e64 v28, s0, 0, v20, s0
	v_sub_co_u32 v29, s0, v24, s26
	v_sub_co_ci_u32_e32 v25, vcc_lo, v14, v25, vcc_lo
	v_subrev_co_ci_u32_e64 v26, s0, 0, v26, s0
	v_cmp_le_u32_e32 vcc_lo, s26, v29
	s_delay_alu instid0(VALU_DEP_3) | instskip(SKIP_1) | instid1(VALU_DEP_4)
	v_cmp_eq_u32_e64 s0, s27, v25
	v_cndmask_b32_e64 v29, 0, -1, vcc_lo
	v_cmp_le_u32_e32 vcc_lo, s27, v26
	v_cndmask_b32_e64 v30, 0, -1, vcc_lo
	v_cmp_le_u32_e32 vcc_lo, s26, v24
	;; [unrolled: 2-line block ×3, first 2 shown]
	v_cndmask_b32_e64 v31, 0, -1, vcc_lo
	v_cmp_eq_u32_e32 vcc_lo, s27, v26
	s_delay_alu instid0(VALU_DEP_2) | instskip(SKIP_3) | instid1(VALU_DEP_3)
	v_cndmask_b32_e64 v24, v31, v24, s0
	v_cndmask_b32_e32 v26, v30, v29, vcc_lo
	v_add_co_u32 v29, vcc_lo, v0, 1
	v_add_co_ci_u32_e32 v30, vcc_lo, 0, v20, vcc_lo
	v_cmp_ne_u32_e32 vcc_lo, 0, v26
	s_delay_alu instid0(VALU_DEP_2) | instskip(SKIP_1) | instid1(VALU_DEP_2)
	v_dual_cndmask_b32 v25, v30, v28 :: v_dual_cndmask_b32 v26, v29, v27
	v_cmp_ne_u32_e32 vcc_lo, 0, v24
	v_cndmask_b32_e32 v25, v20, v25, vcc_lo
	s_delay_alu instid0(VALU_DEP_3)
	v_cndmask_b32_e32 v24, v0, v26, vcc_lo
.LBB97_23:                              ;   in Loop: Header=BB97_21 Depth=2
	s_and_not1_saveexec_b32 s0, s4
	s_cbranch_execz .LBB97_25
; %bb.24:                               ;   in Loop: Header=BB97_21 Depth=2
	v_cvt_f32_u32_e32 v0, s26
	s_sub_i32 s4, 0, s26
	s_delay_alu instid0(VALU_DEP_1) | instskip(SKIP_2) | instid1(VALU_DEP_1)
	v_rcp_iflag_f32_e32 v0, v0
	s_waitcnt_depctr 0xfff
	v_mul_f32_e32 v0, 0x4f7ffffe, v0
	v_cvt_u32_f32_e32 v0, v0
	s_delay_alu instid0(VALU_DEP_1) | instskip(NEXT) | instid1(VALU_DEP_1)
	v_mul_lo_u32 v20, s4, v0
	v_mul_hi_u32 v20, v0, v20
	s_delay_alu instid0(VALU_DEP_1) | instskip(NEXT) | instid1(VALU_DEP_1)
	v_add_nc_u32_e32 v0, v0, v20
	v_mul_hi_u32 v0, v13, v0
	s_delay_alu instid0(VALU_DEP_1) | instskip(SKIP_1) | instid1(VALU_DEP_2)
	v_mul_lo_u32 v20, v0, s26
	v_add_nc_u32_e32 v24, 1, v0
	v_sub_nc_u32_e32 v20, v13, v20
	s_delay_alu instid0(VALU_DEP_1) | instskip(SKIP_1) | instid1(VALU_DEP_2)
	v_subrev_nc_u32_e32 v25, s26, v20
	v_cmp_le_u32_e32 vcc_lo, s26, v20
	v_dual_cndmask_b32 v20, v20, v25 :: v_dual_mov_b32 v25, v19
	v_cndmask_b32_e32 v0, v0, v24, vcc_lo
	s_delay_alu instid0(VALU_DEP_2) | instskip(NEXT) | instid1(VALU_DEP_2)
	v_cmp_le_u32_e32 vcc_lo, s26, v20
	v_add_nc_u32_e32 v24, 1, v0
	s_delay_alu instid0(VALU_DEP_1)
	v_cndmask_b32_e32 v24, v0, v24, vcc_lo
.LBB97_25:                              ;   in Loop: Header=BB97_21 Depth=2
	s_or_b32 exec_lo, exec_lo, s0
	s_load_b64 s[38:39], s[24:25], 0xc8
	v_mul_lo_u32 v0, v25, s26
	s_delay_alu instid0(VALU_DEP_2)
	v_mul_lo_u32 v20, v24, s27
	v_mad_u64_u32 v[26:27], null, v24, s26, 0
	s_add_i32 s2, s2, -1
	s_add_u32 s24, s24, -8
	s_addc_u32 s25, s25, -1
	s_cmp_gt_u32 s2, 2
	s_delay_alu instid0(VALU_DEP_1) | instskip(NEXT) | instid1(VALU_DEP_2)
	v_add3_u32 v0, v27, v20, v0
	v_sub_co_u32 v20, vcc_lo, v13, v26
	s_delay_alu instid0(VALU_DEP_2) | instskip(SKIP_1) | instid1(VALU_DEP_2)
	v_sub_co_ci_u32_e32 v0, vcc_lo, v14, v0, vcc_lo
	s_waitcnt lgkmcnt(0)
	v_mul_lo_u32 v26, s39, v20
	s_delay_alu instid0(VALU_DEP_2) | instskip(SKIP_1) | instid1(VALU_DEP_1)
	v_mul_lo_u32 v0, s38, v0
	v_mad_u64_u32 v[13:14], null, s38, v20, v[11:12]
	v_add3_u32 v12, v26, v14, v0
	s_delay_alu instid0(VALU_DEP_2)
	v_mov_b32_e32 v11, v13
	s_cbranch_scc0 .LBB97_27
; %bb.26:                               ;   in Loop: Header=BB97_21 Depth=2
	v_dual_mov_b32 v13, v24 :: v_dual_mov_b32 v14, v25
	s_branch .LBB97_21
.LBB97_27:                              ;   in Loop: Header=BB97_9 Depth=1
	v_mul_lo_u32 v0, s15, v24
	v_mul_lo_u32 v20, s14, v25
	v_mad_u64_u32 v[13:14], null, s14, v24, 0
	v_lshlrev_b64 v[11:12], 2, v[11:12]
	s_delay_alu instid0(VALU_DEP_2) | instskip(NEXT) | instid1(VALU_DEP_1)
	v_add3_u32 v14, v14, v20, v0
	v_lshlrev_b64 v[13:14], 2, v[13:14]
	s_delay_alu instid0(VALU_DEP_1) | instskip(NEXT) | instid1(VALU_DEP_2)
	v_add_co_u32 v0, vcc_lo, s16, v13
	v_add_co_ci_u32_e32 v13, vcc_lo, s17, v14, vcc_lo
	s_delay_alu instid0(VALU_DEP_2) | instskip(NEXT) | instid1(VALU_DEP_2)
	v_add_co_u32 v11, vcc_lo, v0, v11
	v_add_co_ci_u32_e32 v12, vcc_lo, v13, v12, vcc_lo
	global_load_b32 v0, v[11:12], off
.LBB97_28:                              ;   in Loop: Header=BB97_9 Depth=1
	s_or_b32 exec_lo, exec_lo, s1
	v_add_co_u32 v24, vcc_lo, v21, s28
	v_add_co_ci_u32_e32 v25, vcc_lo, 0, v22, vcc_lo
	s_delay_alu instid0(VALU_DEP_1) | instskip(NEXT) | instid1(VALU_DEP_1)
	v_cmp_gt_u64_e64 s2, s[6:7], v[24:25]
	s_and_saveexec_b32 s1, s2
	s_cbranch_execz .LBB97_37
; %bb.29:                               ;   in Loop: Header=BB97_9 Depth=1
	v_mov_b32_e32 v11, 0
	v_dual_mov_b32 v12, 0 :: v_dual_mov_b32 v13, v24
	v_mov_b32_e32 v14, v25
	v_dual_mov_b32 v27, v25 :: v_dual_mov_b32 v26, v24
	s_and_not1_b32 vcc_lo, exec_lo, s31
	s_mov_b64 s[24:25], s[20:21]
	s_mov_b32 s4, s35
	s_cbranch_vccnz .LBB97_36
.LBB97_30:                              ;   Parent Loop BB97_9 Depth=1
                                        ; =>  This Inner Loop Header: Depth=2
	s_load_b64 s[26:27], s[24:25], 0x0
                                        ; implicit-def: $vgpr26_vgpr27
	s_mov_b32 s0, exec_lo
	s_waitcnt lgkmcnt(0)
	v_or_b32_e32 v20, s27, v14
	s_delay_alu instid0(VALU_DEP_1)
	v_cmpx_ne_u64_e32 0, v[19:20]
	s_xor_b32 s38, exec_lo, s0
	s_cbranch_execz .LBB97_32
; %bb.31:                               ;   in Loop: Header=BB97_30 Depth=2
	v_cvt_f32_u32_e32 v1, s26
	v_cvt_f32_u32_e32 v20, s27
	s_sub_u32 s0, 0, s26
	s_subb_u32 s39, 0, s27
	s_delay_alu instid0(VALU_DEP_1) | instskip(NEXT) | instid1(VALU_DEP_1)
	v_fmac_f32_e32 v1, 0x4f800000, v20
	v_rcp_f32_e32 v1, v1
	s_waitcnt_depctr 0xfff
	v_mul_f32_e32 v1, 0x5f7ffffc, v1
	s_delay_alu instid0(VALU_DEP_1) | instskip(NEXT) | instid1(VALU_DEP_1)
	v_mul_f32_e32 v20, 0x2f800000, v1
	v_trunc_f32_e32 v20, v20
	s_delay_alu instid0(VALU_DEP_1) | instskip(SKIP_1) | instid1(VALU_DEP_2)
	v_fmac_f32_e32 v1, 0xcf800000, v20
	v_cvt_u32_f32_e32 v20, v20
	v_cvt_u32_f32_e32 v1, v1
	s_delay_alu instid0(VALU_DEP_2) | instskip(NEXT) | instid1(VALU_DEP_2)
	v_mul_lo_u32 v26, s0, v20
	v_mul_hi_u32 v27, s0, v1
	v_mul_lo_u32 v28, s39, v1
	s_delay_alu instid0(VALU_DEP_2) | instskip(SKIP_1) | instid1(VALU_DEP_2)
	v_add_nc_u32_e32 v26, v27, v26
	v_mul_lo_u32 v27, s0, v1
	v_add_nc_u32_e32 v26, v26, v28
	s_delay_alu instid0(VALU_DEP_2) | instskip(NEXT) | instid1(VALU_DEP_2)
	v_mul_hi_u32 v28, v1, v27
	v_mul_lo_u32 v29, v1, v26
	v_mul_hi_u32 v30, v1, v26
	v_mul_hi_u32 v31, v20, v27
	v_mul_lo_u32 v27, v20, v27
	v_mul_hi_u32 v54, v20, v26
	v_mul_lo_u32 v26, v20, v26
	v_add_co_u32 v28, vcc_lo, v28, v29
	v_add_co_ci_u32_e32 v29, vcc_lo, 0, v30, vcc_lo
	s_delay_alu instid0(VALU_DEP_2) | instskip(NEXT) | instid1(VALU_DEP_2)
	v_add_co_u32 v27, vcc_lo, v28, v27
	v_add_co_ci_u32_e32 v27, vcc_lo, v29, v31, vcc_lo
	v_add_co_ci_u32_e32 v28, vcc_lo, 0, v54, vcc_lo
	s_delay_alu instid0(VALU_DEP_2) | instskip(NEXT) | instid1(VALU_DEP_2)
	v_add_co_u32 v26, vcc_lo, v27, v26
	v_add_co_ci_u32_e32 v27, vcc_lo, 0, v28, vcc_lo
	s_delay_alu instid0(VALU_DEP_2) | instskip(NEXT) | instid1(VALU_DEP_2)
	v_add_co_u32 v1, vcc_lo, v1, v26
	v_add_co_ci_u32_e32 v20, vcc_lo, v20, v27, vcc_lo
	s_delay_alu instid0(VALU_DEP_2) | instskip(SKIP_1) | instid1(VALU_DEP_3)
	v_mul_hi_u32 v26, s0, v1
	v_mul_lo_u32 v28, s39, v1
	v_mul_lo_u32 v27, s0, v20
	s_delay_alu instid0(VALU_DEP_1) | instskip(SKIP_1) | instid1(VALU_DEP_2)
	v_add_nc_u32_e32 v26, v26, v27
	v_mul_lo_u32 v27, s0, v1
	v_add_nc_u32_e32 v26, v26, v28
	s_delay_alu instid0(VALU_DEP_2) | instskip(NEXT) | instid1(VALU_DEP_2)
	v_mul_hi_u32 v28, v1, v27
	v_mul_lo_u32 v29, v1, v26
	v_mul_hi_u32 v30, v1, v26
	v_mul_hi_u32 v31, v20, v27
	v_mul_lo_u32 v27, v20, v27
	v_mul_hi_u32 v54, v20, v26
	v_mul_lo_u32 v26, v20, v26
	v_add_co_u32 v28, vcc_lo, v28, v29
	v_add_co_ci_u32_e32 v29, vcc_lo, 0, v30, vcc_lo
	s_delay_alu instid0(VALU_DEP_2) | instskip(NEXT) | instid1(VALU_DEP_2)
	v_add_co_u32 v27, vcc_lo, v28, v27
	v_add_co_ci_u32_e32 v27, vcc_lo, v29, v31, vcc_lo
	v_add_co_ci_u32_e32 v28, vcc_lo, 0, v54, vcc_lo
	s_delay_alu instid0(VALU_DEP_2) | instskip(NEXT) | instid1(VALU_DEP_2)
	v_add_co_u32 v26, vcc_lo, v27, v26
	v_add_co_ci_u32_e32 v27, vcc_lo, 0, v28, vcc_lo
	s_delay_alu instid0(VALU_DEP_2) | instskip(NEXT) | instid1(VALU_DEP_2)
	v_add_co_u32 v1, vcc_lo, v1, v26
	v_add_co_ci_u32_e32 v20, vcc_lo, v20, v27, vcc_lo
	s_delay_alu instid0(VALU_DEP_2) | instskip(SKIP_1) | instid1(VALU_DEP_3)
	v_mul_hi_u32 v54, v13, v1
	v_mad_u64_u32 v[28:29], null, v14, v1, 0
	v_mad_u64_u32 v[26:27], null, v13, v20, 0
	v_mad_u64_u32 v[30:31], null, v14, v20, 0
	s_delay_alu instid0(VALU_DEP_2) | instskip(NEXT) | instid1(VALU_DEP_3)
	v_add_co_u32 v1, vcc_lo, v54, v26
	v_add_co_ci_u32_e32 v20, vcc_lo, 0, v27, vcc_lo
	s_delay_alu instid0(VALU_DEP_2) | instskip(NEXT) | instid1(VALU_DEP_2)
	v_add_co_u32 v1, vcc_lo, v1, v28
	v_add_co_ci_u32_e32 v1, vcc_lo, v20, v29, vcc_lo
	v_add_co_ci_u32_e32 v20, vcc_lo, 0, v31, vcc_lo
	s_delay_alu instid0(VALU_DEP_2) | instskip(NEXT) | instid1(VALU_DEP_2)
	v_add_co_u32 v1, vcc_lo, v1, v30
	v_add_co_ci_u32_e32 v20, vcc_lo, 0, v20, vcc_lo
	s_delay_alu instid0(VALU_DEP_2) | instskip(SKIP_1) | instid1(VALU_DEP_3)
	v_mul_lo_u32 v28, s27, v1
	v_mad_u64_u32 v[26:27], null, s26, v1, 0
	v_mul_lo_u32 v29, s26, v20
	s_delay_alu instid0(VALU_DEP_2) | instskip(NEXT) | instid1(VALU_DEP_2)
	v_sub_co_u32 v26, vcc_lo, v13, v26
	v_add3_u32 v27, v27, v29, v28
	s_delay_alu instid0(VALU_DEP_1) | instskip(NEXT) | instid1(VALU_DEP_1)
	v_sub_nc_u32_e32 v28, v14, v27
	v_subrev_co_ci_u32_e64 v28, s0, s27, v28, vcc_lo
	v_add_co_u32 v29, s0, v1, 2
	s_delay_alu instid0(VALU_DEP_1) | instskip(SKIP_3) | instid1(VALU_DEP_3)
	v_add_co_ci_u32_e64 v30, s0, 0, v20, s0
	v_sub_co_u32 v31, s0, v26, s26
	v_sub_co_ci_u32_e32 v27, vcc_lo, v14, v27, vcc_lo
	v_subrev_co_ci_u32_e64 v28, s0, 0, v28, s0
	v_cmp_le_u32_e32 vcc_lo, s26, v31
	s_delay_alu instid0(VALU_DEP_3) | instskip(SKIP_1) | instid1(VALU_DEP_4)
	v_cmp_eq_u32_e64 s0, s27, v27
	v_cndmask_b32_e64 v31, 0, -1, vcc_lo
	v_cmp_le_u32_e32 vcc_lo, s27, v28
	v_cndmask_b32_e64 v54, 0, -1, vcc_lo
	v_cmp_le_u32_e32 vcc_lo, s26, v26
	v_cndmask_b32_e64 v26, 0, -1, vcc_lo
	v_cmp_le_u32_e32 vcc_lo, s27, v27
	v_cndmask_b32_e64 v55, 0, -1, vcc_lo
	v_cmp_eq_u32_e32 vcc_lo, s27, v28
	s_delay_alu instid0(VALU_DEP_2) | instskip(SKIP_3) | instid1(VALU_DEP_3)
	v_cndmask_b32_e64 v26, v55, v26, s0
	v_cndmask_b32_e32 v28, v54, v31, vcc_lo
	v_add_co_u32 v31, vcc_lo, v1, 1
	v_add_co_ci_u32_e32 v54, vcc_lo, 0, v20, vcc_lo
	v_cmp_ne_u32_e32 vcc_lo, 0, v28
	s_delay_alu instid0(VALU_DEP_2) | instskip(SKIP_1) | instid1(VALU_DEP_2)
	v_dual_cndmask_b32 v27, v54, v30 :: v_dual_cndmask_b32 v28, v31, v29
	v_cmp_ne_u32_e32 vcc_lo, 0, v26
	v_dual_cndmask_b32 v27, v20, v27 :: v_dual_cndmask_b32 v26, v1, v28
.LBB97_32:                              ;   in Loop: Header=BB97_30 Depth=2
	s_and_not1_saveexec_b32 s0, s38
	s_cbranch_execz .LBB97_34
; %bb.33:                               ;   in Loop: Header=BB97_30 Depth=2
	v_cvt_f32_u32_e32 v1, s26
	s_sub_i32 s38, 0, s26
	s_delay_alu instid0(VALU_DEP_1) | instskip(SKIP_2) | instid1(VALU_DEP_1)
	v_rcp_iflag_f32_e32 v1, v1
	s_waitcnt_depctr 0xfff
	v_mul_f32_e32 v1, 0x4f7ffffe, v1
	v_cvt_u32_f32_e32 v1, v1
	s_delay_alu instid0(VALU_DEP_1) | instskip(NEXT) | instid1(VALU_DEP_1)
	v_mul_lo_u32 v20, s38, v1
	v_mul_hi_u32 v20, v1, v20
	s_delay_alu instid0(VALU_DEP_1) | instskip(NEXT) | instid1(VALU_DEP_1)
	v_add_nc_u32_e32 v1, v1, v20
	v_mul_hi_u32 v1, v13, v1
	s_delay_alu instid0(VALU_DEP_1) | instskip(SKIP_1) | instid1(VALU_DEP_2)
	v_mul_lo_u32 v20, v1, s26
	v_add_nc_u32_e32 v26, 1, v1
	v_sub_nc_u32_e32 v20, v13, v20
	s_delay_alu instid0(VALU_DEP_1) | instskip(SKIP_1) | instid1(VALU_DEP_2)
	v_subrev_nc_u32_e32 v27, s26, v20
	v_cmp_le_u32_e32 vcc_lo, s26, v20
	v_dual_cndmask_b32 v20, v20, v27 :: v_dual_mov_b32 v27, v19
	v_cndmask_b32_e32 v1, v1, v26, vcc_lo
	s_delay_alu instid0(VALU_DEP_2) | instskip(NEXT) | instid1(VALU_DEP_2)
	v_cmp_le_u32_e32 vcc_lo, s26, v20
	v_add_nc_u32_e32 v26, 1, v1
	s_delay_alu instid0(VALU_DEP_1)
	v_cndmask_b32_e32 v26, v1, v26, vcc_lo
.LBB97_34:                              ;   in Loop: Header=BB97_30 Depth=2
	s_or_b32 exec_lo, exec_lo, s0
	s_load_b64 s[38:39], s[24:25], 0xc8
	v_mul_lo_u32 v1, v27, s26
	s_delay_alu instid0(VALU_DEP_2)
	v_mul_lo_u32 v20, v26, s27
	v_mad_u64_u32 v[28:29], null, v26, s26, 0
	s_add_i32 s4, s4, -1
	s_add_u32 s24, s24, -8
	s_addc_u32 s25, s25, -1
	s_cmp_gt_u32 s4, 2
	s_delay_alu instid0(VALU_DEP_1) | instskip(NEXT) | instid1(VALU_DEP_2)
	v_add3_u32 v1, v29, v20, v1
	v_sub_co_u32 v20, vcc_lo, v13, v28
	s_delay_alu instid0(VALU_DEP_2) | instskip(SKIP_1) | instid1(VALU_DEP_2)
	v_sub_co_ci_u32_e32 v1, vcc_lo, v14, v1, vcc_lo
	s_waitcnt lgkmcnt(0)
	v_mul_lo_u32 v28, s39, v20
	s_delay_alu instid0(VALU_DEP_2) | instskip(SKIP_1) | instid1(VALU_DEP_1)
	v_mul_lo_u32 v1, s38, v1
	v_mad_u64_u32 v[13:14], null, s38, v20, v[11:12]
	v_add3_u32 v12, v28, v14, v1
	s_delay_alu instid0(VALU_DEP_2)
	v_mov_b32_e32 v11, v13
	s_cbranch_scc0 .LBB97_36
; %bb.35:                               ;   in Loop: Header=BB97_30 Depth=2
	v_dual_mov_b32 v13, v26 :: v_dual_mov_b32 v14, v27
	s_branch .LBB97_30
.LBB97_36:                              ;   in Loop: Header=BB97_9 Depth=1
	v_mul_lo_u32 v1, s15, v26
	v_mul_lo_u32 v20, s14, v27
	v_mad_u64_u32 v[13:14], null, s14, v26, 0
	v_lshlrev_b64 v[11:12], 2, v[11:12]
	s_delay_alu instid0(VALU_DEP_2) | instskip(NEXT) | instid1(VALU_DEP_1)
	v_add3_u32 v14, v14, v20, v1
	v_lshlrev_b64 v[13:14], 2, v[13:14]
	s_delay_alu instid0(VALU_DEP_1) | instskip(NEXT) | instid1(VALU_DEP_2)
	v_add_co_u32 v1, vcc_lo, s16, v13
	v_add_co_ci_u32_e32 v13, vcc_lo, s17, v14, vcc_lo
	s_delay_alu instid0(VALU_DEP_2) | instskip(NEXT) | instid1(VALU_DEP_2)
	v_add_co_u32 v11, vcc_lo, v1, v11
	v_add_co_ci_u32_e32 v12, vcc_lo, v13, v12, vcc_lo
	global_load_b32 v1, v[11:12], off
.LBB97_37:                              ;   in Loop: Header=BB97_9 Depth=1
	s_or_b32 exec_lo, exec_lo, s1
	v_add_co_u32 v13, vcc_lo, v21, s34
	v_add_co_ci_u32_e32 v14, vcc_lo, 0, v22, vcc_lo
	s_delay_alu instid0(VALU_DEP_1) | instskip(NEXT) | instid1(VALU_DEP_1)
	v_cmp_gt_u64_e64 s1, s[6:7], v[13:14]
	s_and_saveexec_b32 s4, s1
	s_cbranch_execz .LBB97_46
; %bb.38:                               ;   in Loop: Header=BB97_9 Depth=1
	v_mov_b32_e32 v11, 0
	v_dual_mov_b32 v12, 0 :: v_dual_mov_b32 v27, v14
	v_dual_mov_b32 v26, v13 :: v_dual_mov_b32 v29, v14
	v_mov_b32_e32 v28, v13
	s_and_not1_b32 vcc_lo, exec_lo, s31
	s_mov_b64 s[24:25], s[20:21]
	s_mov_b32 s38, s35
	s_cbranch_vccnz .LBB97_45
.LBB97_39:                              ;   Parent Loop BB97_9 Depth=1
                                        ; =>  This Inner Loop Header: Depth=2
	s_load_b64 s[26:27], s[24:25], 0x0
                                        ; implicit-def: $vgpr28_vgpr29
	s_mov_b32 s0, exec_lo
	s_waitcnt lgkmcnt(0)
	v_or_b32_e32 v20, s27, v27
	s_delay_alu instid0(VALU_DEP_1)
	v_cmpx_ne_u64_e32 0, v[19:20]
	s_xor_b32 s39, exec_lo, s0
	s_cbranch_execz .LBB97_41
; %bb.40:                               ;   in Loop: Header=BB97_39 Depth=2
	v_cvt_f32_u32_e32 v2, s26
	v_cvt_f32_u32_e32 v20, s27
	s_sub_u32 s0, 0, s26
	s_subb_u32 s40, 0, s27
	s_delay_alu instid0(VALU_DEP_1) | instskip(NEXT) | instid1(VALU_DEP_1)
	v_fmac_f32_e32 v2, 0x4f800000, v20
	v_rcp_f32_e32 v2, v2
	s_waitcnt_depctr 0xfff
	v_mul_f32_e32 v2, 0x5f7ffffc, v2
	s_delay_alu instid0(VALU_DEP_1) | instskip(NEXT) | instid1(VALU_DEP_1)
	v_mul_f32_e32 v20, 0x2f800000, v2
	v_trunc_f32_e32 v20, v20
	s_delay_alu instid0(VALU_DEP_1) | instskip(SKIP_1) | instid1(VALU_DEP_2)
	v_fmac_f32_e32 v2, 0xcf800000, v20
	v_cvt_u32_f32_e32 v20, v20
	v_cvt_u32_f32_e32 v2, v2
	s_delay_alu instid0(VALU_DEP_2) | instskip(NEXT) | instid1(VALU_DEP_2)
	v_mul_lo_u32 v28, s0, v20
	v_mul_hi_u32 v29, s0, v2
	v_mul_lo_u32 v30, s40, v2
	s_delay_alu instid0(VALU_DEP_2) | instskip(SKIP_1) | instid1(VALU_DEP_2)
	v_add_nc_u32_e32 v28, v29, v28
	v_mul_lo_u32 v29, s0, v2
	v_add_nc_u32_e32 v28, v28, v30
	s_delay_alu instid0(VALU_DEP_2) | instskip(NEXT) | instid1(VALU_DEP_2)
	v_mul_hi_u32 v30, v2, v29
	v_mul_lo_u32 v31, v2, v28
	v_mul_hi_u32 v54, v2, v28
	v_mul_hi_u32 v55, v20, v29
	v_mul_lo_u32 v29, v20, v29
	v_mul_hi_u32 v56, v20, v28
	v_mul_lo_u32 v28, v20, v28
	v_add_co_u32 v30, vcc_lo, v30, v31
	v_add_co_ci_u32_e32 v31, vcc_lo, 0, v54, vcc_lo
	s_delay_alu instid0(VALU_DEP_2) | instskip(NEXT) | instid1(VALU_DEP_2)
	v_add_co_u32 v29, vcc_lo, v30, v29
	v_add_co_ci_u32_e32 v29, vcc_lo, v31, v55, vcc_lo
	v_add_co_ci_u32_e32 v30, vcc_lo, 0, v56, vcc_lo
	s_delay_alu instid0(VALU_DEP_2) | instskip(NEXT) | instid1(VALU_DEP_2)
	v_add_co_u32 v28, vcc_lo, v29, v28
	v_add_co_ci_u32_e32 v29, vcc_lo, 0, v30, vcc_lo
	s_delay_alu instid0(VALU_DEP_2) | instskip(NEXT) | instid1(VALU_DEP_2)
	v_add_co_u32 v2, vcc_lo, v2, v28
	v_add_co_ci_u32_e32 v20, vcc_lo, v20, v29, vcc_lo
	s_delay_alu instid0(VALU_DEP_2) | instskip(SKIP_1) | instid1(VALU_DEP_3)
	v_mul_hi_u32 v28, s0, v2
	v_mul_lo_u32 v30, s40, v2
	v_mul_lo_u32 v29, s0, v20
	s_delay_alu instid0(VALU_DEP_1) | instskip(SKIP_1) | instid1(VALU_DEP_2)
	v_add_nc_u32_e32 v28, v28, v29
	v_mul_lo_u32 v29, s0, v2
	v_add_nc_u32_e32 v28, v28, v30
	s_delay_alu instid0(VALU_DEP_2) | instskip(NEXT) | instid1(VALU_DEP_2)
	v_mul_hi_u32 v30, v2, v29
	v_mul_lo_u32 v31, v2, v28
	v_mul_hi_u32 v54, v2, v28
	v_mul_hi_u32 v55, v20, v29
	v_mul_lo_u32 v29, v20, v29
	v_mul_hi_u32 v56, v20, v28
	v_mul_lo_u32 v28, v20, v28
	v_add_co_u32 v30, vcc_lo, v30, v31
	v_add_co_ci_u32_e32 v31, vcc_lo, 0, v54, vcc_lo
	s_delay_alu instid0(VALU_DEP_2) | instskip(NEXT) | instid1(VALU_DEP_2)
	v_add_co_u32 v29, vcc_lo, v30, v29
	v_add_co_ci_u32_e32 v29, vcc_lo, v31, v55, vcc_lo
	v_add_co_ci_u32_e32 v30, vcc_lo, 0, v56, vcc_lo
	s_delay_alu instid0(VALU_DEP_2) | instskip(NEXT) | instid1(VALU_DEP_2)
	v_add_co_u32 v28, vcc_lo, v29, v28
	v_add_co_ci_u32_e32 v29, vcc_lo, 0, v30, vcc_lo
	s_delay_alu instid0(VALU_DEP_2) | instskip(NEXT) | instid1(VALU_DEP_2)
	v_add_co_u32 v2, vcc_lo, v2, v28
	v_add_co_ci_u32_e32 v20, vcc_lo, v20, v29, vcc_lo
	s_delay_alu instid0(VALU_DEP_2) | instskip(SKIP_1) | instid1(VALU_DEP_3)
	v_mul_hi_u32 v56, v26, v2
	v_mad_u64_u32 v[30:31], null, v27, v2, 0
	v_mad_u64_u32 v[28:29], null, v26, v20, 0
	;; [unrolled: 1-line block ×3, first 2 shown]
	s_delay_alu instid0(VALU_DEP_2) | instskip(NEXT) | instid1(VALU_DEP_3)
	v_add_co_u32 v2, vcc_lo, v56, v28
	v_add_co_ci_u32_e32 v20, vcc_lo, 0, v29, vcc_lo
	s_delay_alu instid0(VALU_DEP_2) | instskip(NEXT) | instid1(VALU_DEP_2)
	v_add_co_u32 v2, vcc_lo, v2, v30
	v_add_co_ci_u32_e32 v2, vcc_lo, v20, v31, vcc_lo
	v_add_co_ci_u32_e32 v20, vcc_lo, 0, v55, vcc_lo
	s_delay_alu instid0(VALU_DEP_2) | instskip(NEXT) | instid1(VALU_DEP_2)
	v_add_co_u32 v2, vcc_lo, v2, v54
	v_add_co_ci_u32_e32 v20, vcc_lo, 0, v20, vcc_lo
	s_delay_alu instid0(VALU_DEP_2) | instskip(SKIP_1) | instid1(VALU_DEP_3)
	v_mul_lo_u32 v30, s27, v2
	v_mad_u64_u32 v[28:29], null, s26, v2, 0
	v_mul_lo_u32 v31, s26, v20
	s_delay_alu instid0(VALU_DEP_2) | instskip(NEXT) | instid1(VALU_DEP_2)
	v_sub_co_u32 v28, vcc_lo, v26, v28
	v_add3_u32 v29, v29, v31, v30
	s_delay_alu instid0(VALU_DEP_1) | instskip(NEXT) | instid1(VALU_DEP_1)
	v_sub_nc_u32_e32 v30, v27, v29
	v_subrev_co_ci_u32_e64 v30, s0, s27, v30, vcc_lo
	v_add_co_u32 v31, s0, v2, 2
	s_delay_alu instid0(VALU_DEP_1) | instskip(SKIP_3) | instid1(VALU_DEP_3)
	v_add_co_ci_u32_e64 v54, s0, 0, v20, s0
	v_sub_co_u32 v55, s0, v28, s26
	v_sub_co_ci_u32_e32 v29, vcc_lo, v27, v29, vcc_lo
	v_subrev_co_ci_u32_e64 v30, s0, 0, v30, s0
	v_cmp_le_u32_e32 vcc_lo, s26, v55
	s_delay_alu instid0(VALU_DEP_3) | instskip(SKIP_1) | instid1(VALU_DEP_4)
	v_cmp_eq_u32_e64 s0, s27, v29
	v_cndmask_b32_e64 v55, 0, -1, vcc_lo
	v_cmp_le_u32_e32 vcc_lo, s27, v30
	v_cndmask_b32_e64 v56, 0, -1, vcc_lo
	v_cmp_le_u32_e32 vcc_lo, s26, v28
	;; [unrolled: 2-line block ×3, first 2 shown]
	v_cndmask_b32_e64 v57, 0, -1, vcc_lo
	v_cmp_eq_u32_e32 vcc_lo, s27, v30
	s_delay_alu instid0(VALU_DEP_2) | instskip(SKIP_3) | instid1(VALU_DEP_3)
	v_cndmask_b32_e64 v28, v57, v28, s0
	v_cndmask_b32_e32 v30, v56, v55, vcc_lo
	v_add_co_u32 v55, vcc_lo, v2, 1
	v_add_co_ci_u32_e32 v56, vcc_lo, 0, v20, vcc_lo
	v_cmp_ne_u32_e32 vcc_lo, 0, v30
	s_delay_alu instid0(VALU_DEP_2) | instskip(SKIP_1) | instid1(VALU_DEP_2)
	v_dual_cndmask_b32 v29, v56, v54 :: v_dual_cndmask_b32 v30, v55, v31
	v_cmp_ne_u32_e32 vcc_lo, 0, v28
	v_dual_cndmask_b32 v29, v20, v29 :: v_dual_cndmask_b32 v28, v2, v30
.LBB97_41:                              ;   in Loop: Header=BB97_39 Depth=2
	s_and_not1_saveexec_b32 s0, s39
	s_cbranch_execz .LBB97_43
; %bb.42:                               ;   in Loop: Header=BB97_39 Depth=2
	v_cvt_f32_u32_e32 v2, s26
	s_sub_i32 s39, 0, s26
	s_delay_alu instid0(VALU_DEP_1) | instskip(SKIP_2) | instid1(VALU_DEP_1)
	v_rcp_iflag_f32_e32 v2, v2
	s_waitcnt_depctr 0xfff
	v_mul_f32_e32 v2, 0x4f7ffffe, v2
	v_cvt_u32_f32_e32 v2, v2
	s_delay_alu instid0(VALU_DEP_1) | instskip(NEXT) | instid1(VALU_DEP_1)
	v_mul_lo_u32 v20, s39, v2
	v_mul_hi_u32 v20, v2, v20
	s_delay_alu instid0(VALU_DEP_1) | instskip(NEXT) | instid1(VALU_DEP_1)
	v_add_nc_u32_e32 v2, v2, v20
	v_mul_hi_u32 v2, v26, v2
	s_delay_alu instid0(VALU_DEP_1) | instskip(SKIP_1) | instid1(VALU_DEP_2)
	v_mul_lo_u32 v20, v2, s26
	v_add_nc_u32_e32 v28, 1, v2
	v_sub_nc_u32_e32 v20, v26, v20
	s_delay_alu instid0(VALU_DEP_1) | instskip(SKIP_1) | instid1(VALU_DEP_2)
	v_subrev_nc_u32_e32 v29, s26, v20
	v_cmp_le_u32_e32 vcc_lo, s26, v20
	v_dual_cndmask_b32 v20, v20, v29 :: v_dual_mov_b32 v29, v19
	v_cndmask_b32_e32 v2, v2, v28, vcc_lo
	s_delay_alu instid0(VALU_DEP_2) | instskip(NEXT) | instid1(VALU_DEP_2)
	v_cmp_le_u32_e32 vcc_lo, s26, v20
	v_add_nc_u32_e32 v28, 1, v2
	s_delay_alu instid0(VALU_DEP_1)
	v_cndmask_b32_e32 v28, v2, v28, vcc_lo
.LBB97_43:                              ;   in Loop: Header=BB97_39 Depth=2
	s_or_b32 exec_lo, exec_lo, s0
	s_load_b64 s[40:41], s[24:25], 0xc8
	v_mul_lo_u32 v2, v29, s26
	s_delay_alu instid0(VALU_DEP_2)
	v_mul_lo_u32 v20, v28, s27
	v_mad_u64_u32 v[30:31], null, v28, s26, 0
	s_add_i32 s38, s38, -1
	s_add_u32 s24, s24, -8
	s_addc_u32 s25, s25, -1
	s_cmp_gt_u32 s38, 2
	s_delay_alu instid0(VALU_DEP_1) | instskip(NEXT) | instid1(VALU_DEP_2)
	v_add3_u32 v2, v31, v20, v2
	v_sub_co_u32 v20, vcc_lo, v26, v30
	s_delay_alu instid0(VALU_DEP_2) | instskip(SKIP_1) | instid1(VALU_DEP_2)
	v_sub_co_ci_u32_e32 v2, vcc_lo, v27, v2, vcc_lo
	s_waitcnt lgkmcnt(0)
	v_mul_lo_u32 v30, s41, v20
	s_delay_alu instid0(VALU_DEP_2) | instskip(SKIP_1) | instid1(VALU_DEP_1)
	v_mul_lo_u32 v2, s40, v2
	v_mad_u64_u32 v[26:27], null, s40, v20, v[11:12]
	v_add3_u32 v12, v30, v27, v2
	s_delay_alu instid0(VALU_DEP_2)
	v_mov_b32_e32 v11, v26
	s_cbranch_scc0 .LBB97_45
; %bb.44:                               ;   in Loop: Header=BB97_39 Depth=2
	v_dual_mov_b32 v26, v28 :: v_dual_mov_b32 v27, v29
	s_branch .LBB97_39
.LBB97_45:                              ;   in Loop: Header=BB97_9 Depth=1
	v_mul_lo_u32 v2, s15, v28
	v_mul_lo_u32 v20, s14, v29
	v_mad_u64_u32 v[26:27], null, s14, v28, 0
	v_lshlrev_b64 v[11:12], 2, v[11:12]
	s_delay_alu instid0(VALU_DEP_2) | instskip(NEXT) | instid1(VALU_DEP_1)
	v_add3_u32 v27, v27, v20, v2
	v_lshlrev_b64 v[26:27], 2, v[26:27]
	s_delay_alu instid0(VALU_DEP_1) | instskip(NEXT) | instid1(VALU_DEP_2)
	v_add_co_u32 v2, vcc_lo, s16, v26
	v_add_co_ci_u32_e32 v20, vcc_lo, s17, v27, vcc_lo
	s_delay_alu instid0(VALU_DEP_2) | instskip(NEXT) | instid1(VALU_DEP_2)
	v_add_co_u32 v11, vcc_lo, v2, v11
	v_add_co_ci_u32_e32 v12, vcc_lo, v20, v12, vcc_lo
	global_load_b32 v2, v[11:12], off
.LBB97_46:                              ;   in Loop: Header=BB97_9 Depth=1
	s_or_b32 exec_lo, exec_lo, s4
	v_add_co_u32 v11, vcc_lo, v21, s36
	v_add_co_ci_u32_e32 v12, vcc_lo, 0, v22, vcc_lo
	s_delay_alu instid0(VALU_DEP_1) | instskip(NEXT) | instid1(VALU_DEP_1)
	v_cmp_gt_u64_e64 s0, s[6:7], v[11:12]
	s_and_saveexec_b32 s38, s0
	s_cbranch_execnz .LBB97_51
; %bb.47:                               ;   in Loop: Header=BB97_9 Depth=1
	s_or_b32 exec_lo, exec_lo, s38
	s_and_saveexec_b32 s4, s3
	s_cbranch_execnz .LBB97_59
.LBB97_48:                              ;   in Loop: Header=BB97_9 Depth=1
	s_or_b32 exec_lo, exec_lo, s4
	s_and_saveexec_b32 s3, s2
	s_cbranch_execnz .LBB97_67
.LBB97_49:                              ;   in Loop: Header=BB97_9 Depth=1
	s_or_b32 exec_lo, exec_lo, s3
	s_and_saveexec_b32 s4, s1
	s_cbranch_execnz .LBB97_69
.LBB97_50:                              ;   in Loop: Header=BB97_9 Depth=1
	s_or_b32 exec_lo, exec_lo, s4
	s_and_saveexec_b32 s1, s0
	s_cbranch_execz .LBB97_8
	s_branch .LBB97_71
.LBB97_51:                              ;   in Loop: Header=BB97_9 Depth=1
	v_dual_mov_b32 v26, 0 :: v_dual_mov_b32 v29, v12
	v_dual_mov_b32 v27, 0 :: v_dual_mov_b32 v28, v11
	;; [unrolled: 1-line block ×3, first 2 shown]
	s_and_not1_b32 vcc_lo, exec_lo, s31
	s_mov_b64 s[24:25], s[20:21]
	s_mov_b32 s39, s35
	s_cbranch_vccnz .LBB97_58
.LBB97_52:                              ;   Parent Loop BB97_9 Depth=1
                                        ; =>  This Inner Loop Header: Depth=2
	s_load_b64 s[26:27], s[24:25], 0x0
                                        ; implicit-def: $vgpr30_vgpr31
	s_mov_b32 s4, exec_lo
	s_waitcnt lgkmcnt(0)
	v_or_b32_e32 v20, s27, v29
	s_delay_alu instid0(VALU_DEP_1)
	v_cmpx_ne_u64_e32 0, v[19:20]
	s_xor_b32 s40, exec_lo, s4
	s_cbranch_execz .LBB97_54
; %bb.53:                               ;   in Loop: Header=BB97_52 Depth=2
	v_cvt_f32_u32_e32 v3, s26
	v_cvt_f32_u32_e32 v20, s27
	s_sub_u32 s4, 0, s26
	s_subb_u32 s41, 0, s27
	s_delay_alu instid0(VALU_DEP_1) | instskip(NEXT) | instid1(VALU_DEP_1)
	v_fmac_f32_e32 v3, 0x4f800000, v20
	v_rcp_f32_e32 v3, v3
	s_waitcnt_depctr 0xfff
	v_mul_f32_e32 v3, 0x5f7ffffc, v3
	s_delay_alu instid0(VALU_DEP_1) | instskip(NEXT) | instid1(VALU_DEP_1)
	v_mul_f32_e32 v20, 0x2f800000, v3
	v_trunc_f32_e32 v20, v20
	s_delay_alu instid0(VALU_DEP_1) | instskip(SKIP_1) | instid1(VALU_DEP_2)
	v_fmac_f32_e32 v3, 0xcf800000, v20
	v_cvt_u32_f32_e32 v20, v20
	v_cvt_u32_f32_e32 v3, v3
	s_delay_alu instid0(VALU_DEP_2) | instskip(NEXT) | instid1(VALU_DEP_2)
	v_mul_lo_u32 v30, s4, v20
	v_mul_hi_u32 v31, s4, v3
	v_mul_lo_u32 v54, s41, v3
	s_delay_alu instid0(VALU_DEP_2) | instskip(SKIP_1) | instid1(VALU_DEP_2)
	v_add_nc_u32_e32 v30, v31, v30
	v_mul_lo_u32 v31, s4, v3
	v_add_nc_u32_e32 v30, v30, v54
	s_delay_alu instid0(VALU_DEP_2) | instskip(NEXT) | instid1(VALU_DEP_2)
	v_mul_hi_u32 v54, v3, v31
	v_mul_lo_u32 v55, v3, v30
	v_mul_hi_u32 v56, v3, v30
	v_mul_hi_u32 v57, v20, v31
	v_mul_lo_u32 v31, v20, v31
	v_mul_hi_u32 v58, v20, v30
	v_mul_lo_u32 v30, v20, v30
	v_add_co_u32 v54, vcc_lo, v54, v55
	v_add_co_ci_u32_e32 v55, vcc_lo, 0, v56, vcc_lo
	s_delay_alu instid0(VALU_DEP_2) | instskip(NEXT) | instid1(VALU_DEP_2)
	v_add_co_u32 v31, vcc_lo, v54, v31
	v_add_co_ci_u32_e32 v31, vcc_lo, v55, v57, vcc_lo
	v_add_co_ci_u32_e32 v54, vcc_lo, 0, v58, vcc_lo
	s_delay_alu instid0(VALU_DEP_2) | instskip(NEXT) | instid1(VALU_DEP_2)
	v_add_co_u32 v30, vcc_lo, v31, v30
	v_add_co_ci_u32_e32 v31, vcc_lo, 0, v54, vcc_lo
	s_delay_alu instid0(VALU_DEP_2) | instskip(NEXT) | instid1(VALU_DEP_2)
	v_add_co_u32 v3, vcc_lo, v3, v30
	v_add_co_ci_u32_e32 v20, vcc_lo, v20, v31, vcc_lo
	s_delay_alu instid0(VALU_DEP_2) | instskip(SKIP_1) | instid1(VALU_DEP_3)
	v_mul_hi_u32 v30, s4, v3
	v_mul_lo_u32 v54, s41, v3
	v_mul_lo_u32 v31, s4, v20
	s_delay_alu instid0(VALU_DEP_1) | instskip(SKIP_1) | instid1(VALU_DEP_2)
	v_add_nc_u32_e32 v30, v30, v31
	v_mul_lo_u32 v31, s4, v3
	v_add_nc_u32_e32 v30, v30, v54
	s_delay_alu instid0(VALU_DEP_2) | instskip(NEXT) | instid1(VALU_DEP_2)
	v_mul_hi_u32 v54, v3, v31
	v_mul_lo_u32 v55, v3, v30
	v_mul_hi_u32 v56, v3, v30
	v_mul_hi_u32 v57, v20, v31
	v_mul_lo_u32 v31, v20, v31
	v_mul_hi_u32 v58, v20, v30
	v_mul_lo_u32 v30, v20, v30
	v_add_co_u32 v54, vcc_lo, v54, v55
	v_add_co_ci_u32_e32 v55, vcc_lo, 0, v56, vcc_lo
	s_delay_alu instid0(VALU_DEP_2) | instskip(NEXT) | instid1(VALU_DEP_2)
	v_add_co_u32 v31, vcc_lo, v54, v31
	v_add_co_ci_u32_e32 v31, vcc_lo, v55, v57, vcc_lo
	v_add_co_ci_u32_e32 v54, vcc_lo, 0, v58, vcc_lo
	s_delay_alu instid0(VALU_DEP_2) | instskip(NEXT) | instid1(VALU_DEP_2)
	v_add_co_u32 v30, vcc_lo, v31, v30
	v_add_co_ci_u32_e32 v31, vcc_lo, 0, v54, vcc_lo
	s_delay_alu instid0(VALU_DEP_2) | instskip(NEXT) | instid1(VALU_DEP_2)
	v_add_co_u32 v3, vcc_lo, v3, v30
	v_add_co_ci_u32_e32 v20, vcc_lo, v20, v31, vcc_lo
	s_delay_alu instid0(VALU_DEP_2) | instskip(SKIP_1) | instid1(VALU_DEP_3)
	v_mul_hi_u32 v58, v28, v3
	v_mad_u64_u32 v[54:55], null, v29, v3, 0
	v_mad_u64_u32 v[30:31], null, v28, v20, 0
	;; [unrolled: 1-line block ×3, first 2 shown]
	s_delay_alu instid0(VALU_DEP_2) | instskip(NEXT) | instid1(VALU_DEP_3)
	v_add_co_u32 v3, vcc_lo, v58, v30
	v_add_co_ci_u32_e32 v20, vcc_lo, 0, v31, vcc_lo
	s_delay_alu instid0(VALU_DEP_2) | instskip(NEXT) | instid1(VALU_DEP_2)
	v_add_co_u32 v3, vcc_lo, v3, v54
	v_add_co_ci_u32_e32 v3, vcc_lo, v20, v55, vcc_lo
	v_add_co_ci_u32_e32 v20, vcc_lo, 0, v57, vcc_lo
	s_delay_alu instid0(VALU_DEP_2) | instskip(NEXT) | instid1(VALU_DEP_2)
	v_add_co_u32 v3, vcc_lo, v3, v56
	v_add_co_ci_u32_e32 v20, vcc_lo, 0, v20, vcc_lo
	s_delay_alu instid0(VALU_DEP_2) | instskip(SKIP_1) | instid1(VALU_DEP_3)
	v_mul_lo_u32 v54, s27, v3
	v_mad_u64_u32 v[30:31], null, s26, v3, 0
	v_mul_lo_u32 v55, s26, v20
	s_delay_alu instid0(VALU_DEP_2) | instskip(NEXT) | instid1(VALU_DEP_2)
	v_sub_co_u32 v30, vcc_lo, v28, v30
	v_add3_u32 v31, v31, v55, v54
	s_delay_alu instid0(VALU_DEP_1) | instskip(NEXT) | instid1(VALU_DEP_1)
	v_sub_nc_u32_e32 v54, v29, v31
	v_subrev_co_ci_u32_e64 v54, s4, s27, v54, vcc_lo
	v_add_co_u32 v55, s4, v3, 2
	s_delay_alu instid0(VALU_DEP_1) | instskip(SKIP_3) | instid1(VALU_DEP_3)
	v_add_co_ci_u32_e64 v56, s4, 0, v20, s4
	v_sub_co_u32 v57, s4, v30, s26
	v_sub_co_ci_u32_e32 v31, vcc_lo, v29, v31, vcc_lo
	v_subrev_co_ci_u32_e64 v54, s4, 0, v54, s4
	v_cmp_le_u32_e32 vcc_lo, s26, v57
	s_delay_alu instid0(VALU_DEP_3) | instskip(SKIP_1) | instid1(VALU_DEP_4)
	v_cmp_eq_u32_e64 s4, s27, v31
	v_cndmask_b32_e64 v57, 0, -1, vcc_lo
	v_cmp_le_u32_e32 vcc_lo, s27, v54
	v_cndmask_b32_e64 v58, 0, -1, vcc_lo
	v_cmp_le_u32_e32 vcc_lo, s26, v30
	;; [unrolled: 2-line block ×3, first 2 shown]
	v_cndmask_b32_e64 v59, 0, -1, vcc_lo
	v_cmp_eq_u32_e32 vcc_lo, s27, v54
	s_delay_alu instid0(VALU_DEP_2) | instskip(SKIP_3) | instid1(VALU_DEP_3)
	v_cndmask_b32_e64 v30, v59, v30, s4
	v_cndmask_b32_e32 v54, v58, v57, vcc_lo
	v_add_co_u32 v57, vcc_lo, v3, 1
	v_add_co_ci_u32_e32 v58, vcc_lo, 0, v20, vcc_lo
	v_cmp_ne_u32_e32 vcc_lo, 0, v54
	s_delay_alu instid0(VALU_DEP_2) | instskip(SKIP_1) | instid1(VALU_DEP_2)
	v_dual_cndmask_b32 v31, v58, v56 :: v_dual_cndmask_b32 v54, v57, v55
	v_cmp_ne_u32_e32 vcc_lo, 0, v30
	v_dual_cndmask_b32 v31, v20, v31 :: v_dual_cndmask_b32 v30, v3, v54
.LBB97_54:                              ;   in Loop: Header=BB97_52 Depth=2
	s_and_not1_saveexec_b32 s4, s40
	s_cbranch_execz .LBB97_56
; %bb.55:                               ;   in Loop: Header=BB97_52 Depth=2
	v_cvt_f32_u32_e32 v3, s26
	s_sub_i32 s40, 0, s26
	s_delay_alu instid0(VALU_DEP_1) | instskip(SKIP_2) | instid1(VALU_DEP_1)
	v_rcp_iflag_f32_e32 v3, v3
	s_waitcnt_depctr 0xfff
	v_mul_f32_e32 v3, 0x4f7ffffe, v3
	v_cvt_u32_f32_e32 v3, v3
	s_delay_alu instid0(VALU_DEP_1) | instskip(NEXT) | instid1(VALU_DEP_1)
	v_mul_lo_u32 v20, s40, v3
	v_mul_hi_u32 v20, v3, v20
	s_delay_alu instid0(VALU_DEP_1) | instskip(NEXT) | instid1(VALU_DEP_1)
	v_add_nc_u32_e32 v3, v3, v20
	v_mul_hi_u32 v3, v28, v3
	s_delay_alu instid0(VALU_DEP_1) | instskip(SKIP_1) | instid1(VALU_DEP_2)
	v_mul_lo_u32 v20, v3, s26
	v_add_nc_u32_e32 v30, 1, v3
	v_sub_nc_u32_e32 v20, v28, v20
	s_delay_alu instid0(VALU_DEP_1) | instskip(SKIP_1) | instid1(VALU_DEP_2)
	v_subrev_nc_u32_e32 v31, s26, v20
	v_cmp_le_u32_e32 vcc_lo, s26, v20
	v_dual_cndmask_b32 v20, v20, v31 :: v_dual_mov_b32 v31, v19
	v_cndmask_b32_e32 v3, v3, v30, vcc_lo
	s_delay_alu instid0(VALU_DEP_2) | instskip(NEXT) | instid1(VALU_DEP_2)
	v_cmp_le_u32_e32 vcc_lo, s26, v20
	v_add_nc_u32_e32 v30, 1, v3
	s_delay_alu instid0(VALU_DEP_1)
	v_cndmask_b32_e32 v30, v3, v30, vcc_lo
.LBB97_56:                              ;   in Loop: Header=BB97_52 Depth=2
	s_or_b32 exec_lo, exec_lo, s4
	s_load_b64 s[40:41], s[24:25], 0xc8
	v_mul_lo_u32 v3, v31, s26
	s_delay_alu instid0(VALU_DEP_2)
	v_mul_lo_u32 v20, v30, s27
	v_mad_u64_u32 v[54:55], null, v30, s26, 0
	s_add_i32 s39, s39, -1
	s_add_u32 s24, s24, -8
	s_addc_u32 s25, s25, -1
	s_cmp_gt_u32 s39, 2
	s_delay_alu instid0(VALU_DEP_1) | instskip(NEXT) | instid1(VALU_DEP_2)
	v_add3_u32 v3, v55, v20, v3
	v_sub_co_u32 v20, vcc_lo, v28, v54
	s_delay_alu instid0(VALU_DEP_2) | instskip(SKIP_1) | instid1(VALU_DEP_2)
	v_sub_co_ci_u32_e32 v3, vcc_lo, v29, v3, vcc_lo
	s_waitcnt lgkmcnt(0)
	v_mul_lo_u32 v54, s41, v20
	s_delay_alu instid0(VALU_DEP_2) | instskip(SKIP_1) | instid1(VALU_DEP_1)
	v_mul_lo_u32 v3, s40, v3
	v_mad_u64_u32 v[28:29], null, s40, v20, v[26:27]
	v_add3_u32 v27, v54, v29, v3
	s_delay_alu instid0(VALU_DEP_2)
	v_mov_b32_e32 v26, v28
	s_cbranch_scc0 .LBB97_58
; %bb.57:                               ;   in Loop: Header=BB97_52 Depth=2
	v_dual_mov_b32 v28, v30 :: v_dual_mov_b32 v29, v31
	s_branch .LBB97_52
.LBB97_58:                              ;   in Loop: Header=BB97_9 Depth=1
	v_mul_lo_u32 v3, s15, v30
	v_mul_lo_u32 v20, s14, v31
	v_mad_u64_u32 v[28:29], null, s14, v30, 0
	v_lshlrev_b64 v[26:27], 2, v[26:27]
	s_delay_alu instid0(VALU_DEP_2) | instskip(NEXT) | instid1(VALU_DEP_1)
	v_add3_u32 v29, v29, v20, v3
	v_lshlrev_b64 v[28:29], 2, v[28:29]
	s_delay_alu instid0(VALU_DEP_1) | instskip(NEXT) | instid1(VALU_DEP_2)
	v_add_co_u32 v3, vcc_lo, s16, v28
	v_add_co_ci_u32_e32 v20, vcc_lo, s17, v29, vcc_lo
	s_delay_alu instid0(VALU_DEP_2) | instskip(NEXT) | instid1(VALU_DEP_2)
	v_add_co_u32 v26, vcc_lo, v3, v26
	v_add_co_ci_u32_e32 v27, vcc_lo, v20, v27, vcc_lo
	global_load_b32 v3, v[26:27], off
	s_or_b32 exec_lo, exec_lo, s38
	s_and_saveexec_b32 s4, s3
	s_cbranch_execz .LBB97_48
.LBB97_59:                              ;   in Loop: Header=BB97_9 Depth=1
	v_dual_mov_b32 v26, 0 :: v_dual_mov_b32 v29, v22
	v_dual_mov_b32 v27, 0 :: v_dual_mov_b32 v28, v21
	;; [unrolled: 1-line block ×3, first 2 shown]
	s_and_not1_b32 vcc_lo, exec_lo, s33
	s_mov_b64 s[24:25], s[22:23]
	s_mov_b32 s38, s37
	s_cbranch_vccnz .LBB97_66
.LBB97_60:                              ;   Parent Loop BB97_9 Depth=1
                                        ; =>  This Inner Loop Header: Depth=2
	s_load_b64 s[26:27], s[24:25], 0x0
                                        ; implicit-def: $vgpr30_vgpr31
	s_mov_b32 s3, exec_lo
	s_waitcnt lgkmcnt(0)
	v_or_b32_e32 v20, s27, v29
	s_delay_alu instid0(VALU_DEP_1)
	v_cmpx_ne_u64_e32 0, v[19:20]
	s_xor_b32 s39, exec_lo, s3
	s_cbranch_execz .LBB97_62
; %bb.61:                               ;   in Loop: Header=BB97_60 Depth=2
	v_cvt_f32_u32_e32 v20, s26
	v_cvt_f32_u32_e32 v30, s27
	s_sub_u32 s3, 0, s26
	s_subb_u32 s40, 0, s27
	s_delay_alu instid0(VALU_DEP_1) | instskip(NEXT) | instid1(VALU_DEP_1)
	v_fmac_f32_e32 v20, 0x4f800000, v30
	v_rcp_f32_e32 v20, v20
	s_waitcnt_depctr 0xfff
	v_mul_f32_e32 v20, 0x5f7ffffc, v20
	s_delay_alu instid0(VALU_DEP_1) | instskip(NEXT) | instid1(VALU_DEP_1)
	v_mul_f32_e32 v30, 0x2f800000, v20
	v_trunc_f32_e32 v30, v30
	s_delay_alu instid0(VALU_DEP_1) | instskip(SKIP_1) | instid1(VALU_DEP_2)
	v_fmac_f32_e32 v20, 0xcf800000, v30
	v_cvt_u32_f32_e32 v30, v30
	v_cvt_u32_f32_e32 v20, v20
	s_delay_alu instid0(VALU_DEP_2) | instskip(NEXT) | instid1(VALU_DEP_2)
	v_mul_lo_u32 v31, s3, v30
	v_mul_hi_u32 v54, s3, v20
	v_mul_lo_u32 v55, s40, v20
	s_delay_alu instid0(VALU_DEP_2) | instskip(SKIP_1) | instid1(VALU_DEP_2)
	v_add_nc_u32_e32 v31, v54, v31
	v_mul_lo_u32 v54, s3, v20
	v_add_nc_u32_e32 v31, v31, v55
	s_delay_alu instid0(VALU_DEP_2) | instskip(NEXT) | instid1(VALU_DEP_2)
	v_mul_hi_u32 v55, v20, v54
	v_mul_lo_u32 v56, v20, v31
	v_mul_hi_u32 v57, v20, v31
	v_mul_hi_u32 v58, v30, v54
	v_mul_lo_u32 v54, v30, v54
	v_mul_hi_u32 v59, v30, v31
	v_mul_lo_u32 v31, v30, v31
	v_add_co_u32 v55, vcc_lo, v55, v56
	v_add_co_ci_u32_e32 v56, vcc_lo, 0, v57, vcc_lo
	s_delay_alu instid0(VALU_DEP_2) | instskip(NEXT) | instid1(VALU_DEP_2)
	v_add_co_u32 v54, vcc_lo, v55, v54
	v_add_co_ci_u32_e32 v54, vcc_lo, v56, v58, vcc_lo
	v_add_co_ci_u32_e32 v55, vcc_lo, 0, v59, vcc_lo
	s_delay_alu instid0(VALU_DEP_2) | instskip(NEXT) | instid1(VALU_DEP_2)
	v_add_co_u32 v31, vcc_lo, v54, v31
	v_add_co_ci_u32_e32 v54, vcc_lo, 0, v55, vcc_lo
	s_delay_alu instid0(VALU_DEP_2) | instskip(NEXT) | instid1(VALU_DEP_2)
	v_add_co_u32 v20, vcc_lo, v20, v31
	v_add_co_ci_u32_e32 v30, vcc_lo, v30, v54, vcc_lo
	s_delay_alu instid0(VALU_DEP_2) | instskip(SKIP_1) | instid1(VALU_DEP_3)
	v_mul_hi_u32 v31, s3, v20
	v_mul_lo_u32 v55, s40, v20
	v_mul_lo_u32 v54, s3, v30
	s_delay_alu instid0(VALU_DEP_1) | instskip(SKIP_1) | instid1(VALU_DEP_2)
	v_add_nc_u32_e32 v31, v31, v54
	v_mul_lo_u32 v54, s3, v20
	v_add_nc_u32_e32 v31, v31, v55
	s_delay_alu instid0(VALU_DEP_2) | instskip(NEXT) | instid1(VALU_DEP_2)
	v_mul_hi_u32 v55, v20, v54
	v_mul_lo_u32 v56, v20, v31
	v_mul_hi_u32 v57, v20, v31
	v_mul_hi_u32 v58, v30, v54
	v_mul_lo_u32 v54, v30, v54
	v_mul_hi_u32 v59, v30, v31
	v_mul_lo_u32 v31, v30, v31
	v_add_co_u32 v55, vcc_lo, v55, v56
	v_add_co_ci_u32_e32 v56, vcc_lo, 0, v57, vcc_lo
	s_delay_alu instid0(VALU_DEP_2) | instskip(NEXT) | instid1(VALU_DEP_2)
	v_add_co_u32 v54, vcc_lo, v55, v54
	v_add_co_ci_u32_e32 v54, vcc_lo, v56, v58, vcc_lo
	v_add_co_ci_u32_e32 v55, vcc_lo, 0, v59, vcc_lo
	s_delay_alu instid0(VALU_DEP_2) | instskip(NEXT) | instid1(VALU_DEP_2)
	v_add_co_u32 v31, vcc_lo, v54, v31
	v_add_co_ci_u32_e32 v54, vcc_lo, 0, v55, vcc_lo
	s_delay_alu instid0(VALU_DEP_2) | instskip(NEXT) | instid1(VALU_DEP_2)
	v_add_co_u32 v20, vcc_lo, v20, v31
	v_add_co_ci_u32_e32 v58, vcc_lo, v30, v54, vcc_lo
	s_delay_alu instid0(VALU_DEP_2) | instskip(SKIP_1) | instid1(VALU_DEP_3)
	v_mul_hi_u32 v59, v28, v20
	v_mad_u64_u32 v[54:55], null, v29, v20, 0
	v_mad_u64_u32 v[30:31], null, v28, v58, 0
	;; [unrolled: 1-line block ×3, first 2 shown]
	s_delay_alu instid0(VALU_DEP_2) | instskip(NEXT) | instid1(VALU_DEP_3)
	v_add_co_u32 v20, vcc_lo, v59, v30
	v_add_co_ci_u32_e32 v30, vcc_lo, 0, v31, vcc_lo
	s_delay_alu instid0(VALU_DEP_2) | instskip(NEXT) | instid1(VALU_DEP_2)
	v_add_co_u32 v20, vcc_lo, v20, v54
	v_add_co_ci_u32_e32 v20, vcc_lo, v30, v55, vcc_lo
	v_add_co_ci_u32_e32 v30, vcc_lo, 0, v57, vcc_lo
	s_delay_alu instid0(VALU_DEP_2) | instskip(NEXT) | instid1(VALU_DEP_2)
	v_add_co_u32 v20, vcc_lo, v20, v56
	v_add_co_ci_u32_e32 v54, vcc_lo, 0, v30, vcc_lo
	s_delay_alu instid0(VALU_DEP_2) | instskip(SKIP_1) | instid1(VALU_DEP_3)
	v_mul_lo_u32 v55, s27, v20
	v_mad_u64_u32 v[30:31], null, s26, v20, 0
	v_mul_lo_u32 v56, s26, v54
	s_delay_alu instid0(VALU_DEP_2) | instskip(NEXT) | instid1(VALU_DEP_2)
	v_sub_co_u32 v30, vcc_lo, v28, v30
	v_add3_u32 v31, v31, v56, v55
	s_delay_alu instid0(VALU_DEP_1) | instskip(NEXT) | instid1(VALU_DEP_1)
	v_sub_nc_u32_e32 v55, v29, v31
	v_subrev_co_ci_u32_e64 v55, s3, s27, v55, vcc_lo
	v_add_co_u32 v56, s3, v20, 2
	s_delay_alu instid0(VALU_DEP_1) | instskip(SKIP_3) | instid1(VALU_DEP_3)
	v_add_co_ci_u32_e64 v57, s3, 0, v54, s3
	v_sub_co_u32 v58, s3, v30, s26
	v_sub_co_ci_u32_e32 v31, vcc_lo, v29, v31, vcc_lo
	v_subrev_co_ci_u32_e64 v55, s3, 0, v55, s3
	v_cmp_le_u32_e32 vcc_lo, s26, v58
	s_delay_alu instid0(VALU_DEP_3) | instskip(SKIP_1) | instid1(VALU_DEP_4)
	v_cmp_eq_u32_e64 s3, s27, v31
	v_cndmask_b32_e64 v58, 0, -1, vcc_lo
	v_cmp_le_u32_e32 vcc_lo, s27, v55
	v_cndmask_b32_e64 v59, 0, -1, vcc_lo
	v_cmp_le_u32_e32 vcc_lo, s26, v30
	;; [unrolled: 2-line block ×3, first 2 shown]
	v_cndmask_b32_e64 v60, 0, -1, vcc_lo
	v_cmp_eq_u32_e32 vcc_lo, s27, v55
	s_delay_alu instid0(VALU_DEP_2) | instskip(SKIP_3) | instid1(VALU_DEP_3)
	v_cndmask_b32_e64 v30, v60, v30, s3
	v_cndmask_b32_e32 v55, v59, v58, vcc_lo
	v_add_co_u32 v58, vcc_lo, v20, 1
	v_add_co_ci_u32_e32 v59, vcc_lo, 0, v54, vcc_lo
	v_cmp_ne_u32_e32 vcc_lo, 0, v55
	s_delay_alu instid0(VALU_DEP_3) | instskip(NEXT) | instid1(VALU_DEP_3)
	v_cndmask_b32_e32 v55, v58, v56, vcc_lo
	v_cndmask_b32_e32 v31, v59, v57, vcc_lo
	v_cmp_ne_u32_e32 vcc_lo, 0, v30
	s_delay_alu instid0(VALU_DEP_3) | instskip(NEXT) | instid1(VALU_DEP_3)
	v_cndmask_b32_e32 v30, v20, v55, vcc_lo
	v_cndmask_b32_e32 v31, v54, v31, vcc_lo
.LBB97_62:                              ;   in Loop: Header=BB97_60 Depth=2
	s_and_not1_saveexec_b32 s3, s39
	s_cbranch_execz .LBB97_64
; %bb.63:                               ;   in Loop: Header=BB97_60 Depth=2
	v_cvt_f32_u32_e32 v20, s26
	s_sub_i32 s39, 0, s26
	s_delay_alu instid0(VALU_DEP_1) | instskip(SKIP_2) | instid1(VALU_DEP_1)
	v_rcp_iflag_f32_e32 v20, v20
	s_waitcnt_depctr 0xfff
	v_mul_f32_e32 v20, 0x4f7ffffe, v20
	v_cvt_u32_f32_e32 v20, v20
	s_delay_alu instid0(VALU_DEP_1) | instskip(NEXT) | instid1(VALU_DEP_1)
	v_mul_lo_u32 v30, s39, v20
	v_mul_hi_u32 v30, v20, v30
	s_delay_alu instid0(VALU_DEP_1) | instskip(NEXT) | instid1(VALU_DEP_1)
	v_add_nc_u32_e32 v20, v20, v30
	v_mul_hi_u32 v20, v28, v20
	s_delay_alu instid0(VALU_DEP_1) | instskip(NEXT) | instid1(VALU_DEP_1)
	v_mul_lo_u32 v30, v20, s26
	v_sub_nc_u32_e32 v30, v28, v30
	s_delay_alu instid0(VALU_DEP_1) | instskip(SKIP_1) | instid1(VALU_DEP_2)
	v_subrev_nc_u32_e32 v54, s26, v30
	v_cmp_le_u32_e32 vcc_lo, s26, v30
	v_dual_cndmask_b32 v30, v30, v54 :: v_dual_add_nc_u32 v31, 1, v20
	s_delay_alu instid0(VALU_DEP_1) | instskip(NEXT) | instid1(VALU_DEP_2)
	v_cndmask_b32_e32 v20, v20, v31, vcc_lo
	v_cmp_le_u32_e32 vcc_lo, s26, v30
	s_delay_alu instid0(VALU_DEP_2) | instskip(NEXT) | instid1(VALU_DEP_1)
	v_add_nc_u32_e32 v31, 1, v20
	v_dual_cndmask_b32 v30, v20, v31 :: v_dual_mov_b32 v31, v19
.LBB97_64:                              ;   in Loop: Header=BB97_60 Depth=2
	s_or_b32 exec_lo, exec_lo, s3
	s_load_b64 s[40:41], s[24:25], 0xc8
	s_delay_alu instid0(VALU_DEP_1) | instskip(NEXT) | instid1(VALU_DEP_2)
	v_mul_lo_u32 v20, v31, s26
	v_mul_lo_u32 v56, v30, s27
	v_mad_u64_u32 v[54:55], null, v30, s26, 0
	s_add_i32 s38, s38, -1
	s_add_u32 s24, s24, -8
	s_addc_u32 s25, s25, -1
	s_cmp_gt_u32 s38, 2
	s_delay_alu instid0(VALU_DEP_1) | instskip(NEXT) | instid1(VALU_DEP_2)
	v_add3_u32 v20, v55, v56, v20
	v_sub_co_u32 v54, vcc_lo, v28, v54
	s_delay_alu instid0(VALU_DEP_2) | instskip(SKIP_1) | instid1(VALU_DEP_2)
	v_sub_co_ci_u32_e32 v20, vcc_lo, v29, v20, vcc_lo
	s_waitcnt lgkmcnt(0)
	v_mul_lo_u32 v55, s41, v54
	s_delay_alu instid0(VALU_DEP_2) | instskip(SKIP_1) | instid1(VALU_DEP_1)
	v_mul_lo_u32 v20, s40, v20
	v_mad_u64_u32 v[28:29], null, s40, v54, v[26:27]
	v_add3_u32 v27, v55, v29, v20
	s_delay_alu instid0(VALU_DEP_2)
	v_mov_b32_e32 v26, v28
	s_cbranch_scc0 .LBB97_66
; %bb.65:                               ;   in Loop: Header=BB97_60 Depth=2
	v_dual_mov_b32 v28, v30 :: v_dual_mov_b32 v29, v31
	s_branch .LBB97_60
.LBB97_66:                              ;   in Loop: Header=BB97_9 Depth=1
	v_cvt_f32_u32_e32 v4, v4
	s_delay_alu instid0(VALU_DEP_2) | instskip(SKIP_2) | instid1(VALU_DEP_4)
	v_mad_u64_u32 v[28:29], null, s18, v30, v[26:27]
	v_mul_lo_u32 v20, s18, v31
	v_mul_lo_u32 v26, s19, v30
	v_fmaak_f32 v4, 0x2f800000, v4, 0x2f800000
	s_delay_alu instid0(VALU_DEP_1) | instskip(NEXT) | instid1(VALU_DEP_3)
	v_cmp_gt_f32_e32 vcc_lo, s30, v4
	v_add3_u32 v29, v26, v29, v20
	v_cndmask_b32_e64 v4, 0, 1.0, vcc_lo
	v_cndmask_b32_e64 v20, 0, 1, vcc_lo
	s_delay_alu instid0(VALU_DEP_3) | instskip(SKIP_4) | instid1(VALU_DEP_4)
	v_lshlrev_b64 v[26:27], 2, v[28:29]
	v_add_co_u32 v28, s3, s10, v28
	s_waitcnt vmcnt(0)
	v_mul_f32_e32 v4, v0, v4
	v_add_co_ci_u32_e64 v29, s3, s11, v29, s3
	v_add_co_u32 v26, s3, s12, v26
	s_delay_alu instid0(VALU_DEP_1) | instskip(NEXT) | instid1(VALU_DEP_4)
	v_add_co_ci_u32_e64 v27, s3, s13, v27, s3
	v_mul_f32_e32 v4, v53, v4
	global_store_b32 v[26:27], v4, off
	global_store_b8 v[28:29], v20, off
	s_or_b32 exec_lo, exec_lo, s4
	s_and_saveexec_b32 s3, s2
	s_cbranch_execz .LBB97_49
.LBB97_67:                              ;   in Loop: Header=BB97_9 Depth=1
	v_mov_b32_e32 v26, 0
	v_mov_b32_e32 v27, 0
	s_and_not1_b32 vcc_lo, exec_lo, s33
	s_mov_b64 s[24:25], s[22:23]
	s_mov_b32 s4, s37
	s_cbranch_vccz .LBB97_73
.LBB97_68:                              ;   in Loop: Header=BB97_9 Depth=1
	v_cvt_f32_u32_e32 v5, v5
	s_delay_alu instid0(VALU_DEP_2) | instskip(NEXT) | instid1(VALU_DEP_3)
	v_mad_u64_u32 v[28:29], null, s18, v24, v[26:27]
	v_mul_lo_u32 v4, s18, v25
	v_mul_lo_u32 v20, s19, v24
	s_delay_alu instid0(VALU_DEP_4) | instskip(NEXT) | instid1(VALU_DEP_4)
	v_fmaak_f32 v5, 0x2f800000, v5, 0x2f800000
	v_add_co_u32 v24, s2, s10, v28
	s_delay_alu instid0(VALU_DEP_2) | instskip(NEXT) | instid1(VALU_DEP_4)
	v_cmp_gt_f32_e32 vcc_lo, s30, v5
	v_add3_u32 v29, v20, v29, v4
	v_cndmask_b32_e64 v20, 0, 1.0, vcc_lo
	s_delay_alu instid0(VALU_DEP_2) | instskip(SKIP_4) | instid1(VALU_DEP_4)
	v_lshlrev_b64 v[4:5], 2, v[28:29]
	v_add_co_ci_u32_e64 v25, s2, s11, v29, s2
	v_cndmask_b32_e64 v26, 0, 1, vcc_lo
	s_waitcnt vmcnt(0)
	v_mul_f32_e32 v20, v1, v20
	v_add_co_u32 v4, s2, s12, v4
	s_delay_alu instid0(VALU_DEP_1) | instskip(NEXT) | instid1(VALU_DEP_3)
	v_add_co_ci_u32_e64 v5, s2, s13, v5, s2
	v_mul_f32_e32 v20, v53, v20
	global_store_b32 v[4:5], v20, off
	global_store_b8 v[24:25], v26, off
	s_or_b32 exec_lo, exec_lo, s3
	s_and_saveexec_b32 s4, s1
	s_cbranch_execz .LBB97_50
.LBB97_69:                              ;   in Loop: Header=BB97_9 Depth=1
	v_mov_b32_e32 v4, 0
	v_mov_b32_e32 v5, 0
	s_and_not1_b32 vcc_lo, exec_lo, s33
	s_mov_b64 s[2:3], s[22:23]
	s_mov_b32 s26, s37
	s_cbranch_vccz .LBB97_78
.LBB97_70:                              ;   in Loop: Header=BB97_9 Depth=1
	v_cvt_f32_u32_e32 v6, v6
	s_delay_alu instid0(VALU_DEP_3) | instskip(NEXT) | instid1(VALU_DEP_3)
	v_mad_u64_u32 v[24:25], null, s18, v13, v[4:5]
	v_mul_lo_u32 v4, s18, v14
	v_mul_lo_u32 v5, s19, v13
	s_delay_alu instid0(VALU_DEP_4) | instskip(NEXT) | instid1(VALU_DEP_4)
	v_fmaak_f32 v6, 0x2f800000, v6, 0x2f800000
	v_add_co_u32 v13, s1, s10, v24
	s_delay_alu instid0(VALU_DEP_2) | instskip(NEXT) | instid1(VALU_DEP_4)
	v_cmp_gt_f32_e32 vcc_lo, s30, v6
	v_add3_u32 v25, v5, v25, v4
	v_cndmask_b32_e64 v6, 0, 1.0, vcc_lo
	s_delay_alu instid0(VALU_DEP_2) | instskip(SKIP_4) | instid1(VALU_DEP_4)
	v_lshlrev_b64 v[4:5], 2, v[24:25]
	v_add_co_ci_u32_e64 v14, s1, s11, v25, s1
	v_cndmask_b32_e64 v20, 0, 1, vcc_lo
	s_waitcnt vmcnt(0)
	v_mul_f32_e32 v6, v2, v6
	v_add_co_u32 v4, s1, s12, v4
	s_delay_alu instid0(VALU_DEP_1) | instskip(NEXT) | instid1(VALU_DEP_3)
	v_add_co_ci_u32_e64 v5, s1, s13, v5, s1
	v_mul_f32_e32 v6, v53, v6
	global_store_b32 v[4:5], v6, off
	global_store_b8 v[13:14], v20, off
	s_or_b32 exec_lo, exec_lo, s4
	s_and_saveexec_b32 s1, s0
	s_cbranch_execz .LBB97_8
.LBB97_71:                              ;   in Loop: Header=BB97_9 Depth=1
	v_mov_b32_e32 v4, 0
	v_mov_b32_e32 v5, 0
	s_and_not1_b32 vcc_lo, exec_lo, s33
	s_mov_b64 s[2:3], s[22:23]
	s_mov_b32 s4, s37
	s_cbranch_vccz .LBB97_83
	s_branch .LBB97_7
.LBB97_72:                              ;   in Loop: Header=BB97_73 Depth=2
	s_or_b32 exec_lo, exec_lo, s2
	s_load_b64 s[38:39], s[24:25], 0xc8
	v_mul_lo_u32 v4, v29, s26
	v_mul_lo_u32 v20, v28, s27
	v_mad_u64_u32 v[30:31], null, v28, s26, 0
	s_add_i32 s4, s4, -1
	s_add_u32 s24, s24, -8
	s_addc_u32 s25, s25, -1
	s_cmp_gt_u32 s4, 2
	s_delay_alu instid0(VALU_DEP_1) | instskip(NEXT) | instid1(VALU_DEP_2)
	v_add3_u32 v4, v31, v20, v4
	v_sub_co_u32 v20, vcc_lo, v24, v30
	s_delay_alu instid0(VALU_DEP_2) | instskip(SKIP_1) | instid1(VALU_DEP_2)
	v_sub_co_ci_u32_e32 v4, vcc_lo, v25, v4, vcc_lo
	s_waitcnt lgkmcnt(0)
	v_mul_lo_u32 v30, s39, v20
	s_delay_alu instid0(VALU_DEP_2) | instskip(SKIP_1) | instid1(VALU_DEP_1)
	v_mul_lo_u32 v4, s38, v4
	v_mad_u64_u32 v[24:25], null, s38, v20, v[26:27]
	v_add3_u32 v27, v30, v25, v4
	s_delay_alu instid0(VALU_DEP_2)
	v_mov_b32_e32 v26, v24
	v_dual_mov_b32 v24, v28 :: v_dual_mov_b32 v25, v29
	s_cbranch_scc0 .LBB97_68
.LBB97_73:                              ;   Parent Loop BB97_9 Depth=1
                                        ; =>  This Inner Loop Header: Depth=2
	s_load_b64 s[26:27], s[24:25], 0x0
                                        ; implicit-def: $vgpr28_vgpr29
	s_mov_b32 s2, exec_lo
	s_waitcnt lgkmcnt(0)
	v_or_b32_e32 v20, s27, v25
	s_delay_alu instid0(VALU_DEP_1)
	v_cmpx_ne_u64_e32 0, v[19:20]
	s_xor_b32 s38, exec_lo, s2
	s_cbranch_execz .LBB97_75
; %bb.74:                               ;   in Loop: Header=BB97_73 Depth=2
	v_cvt_f32_u32_e32 v4, s26
	v_cvt_f32_u32_e32 v20, s27
	s_sub_u32 s2, 0, s26
	s_subb_u32 s39, 0, s27
	s_delay_alu instid0(VALU_DEP_1) | instskip(NEXT) | instid1(VALU_DEP_1)
	v_fmac_f32_e32 v4, 0x4f800000, v20
	v_rcp_f32_e32 v4, v4
	s_waitcnt_depctr 0xfff
	v_mul_f32_e32 v4, 0x5f7ffffc, v4
	s_delay_alu instid0(VALU_DEP_1) | instskip(NEXT) | instid1(VALU_DEP_1)
	v_mul_f32_e32 v20, 0x2f800000, v4
	v_trunc_f32_e32 v20, v20
	s_delay_alu instid0(VALU_DEP_1) | instskip(SKIP_1) | instid1(VALU_DEP_2)
	v_fmac_f32_e32 v4, 0xcf800000, v20
	v_cvt_u32_f32_e32 v20, v20
	v_cvt_u32_f32_e32 v4, v4
	s_delay_alu instid0(VALU_DEP_2) | instskip(NEXT) | instid1(VALU_DEP_2)
	v_mul_lo_u32 v28, s2, v20
	v_mul_hi_u32 v29, s2, v4
	v_mul_lo_u32 v30, s39, v4
	s_delay_alu instid0(VALU_DEP_2) | instskip(SKIP_1) | instid1(VALU_DEP_2)
	v_add_nc_u32_e32 v28, v29, v28
	v_mul_lo_u32 v29, s2, v4
	v_add_nc_u32_e32 v28, v28, v30
	s_delay_alu instid0(VALU_DEP_2) | instskip(NEXT) | instid1(VALU_DEP_2)
	v_mul_hi_u32 v30, v4, v29
	v_mul_lo_u32 v31, v4, v28
	v_mul_hi_u32 v54, v4, v28
	v_mul_hi_u32 v55, v20, v29
	v_mul_lo_u32 v29, v20, v29
	v_mul_hi_u32 v56, v20, v28
	v_mul_lo_u32 v28, v20, v28
	v_add_co_u32 v30, vcc_lo, v30, v31
	v_add_co_ci_u32_e32 v31, vcc_lo, 0, v54, vcc_lo
	s_delay_alu instid0(VALU_DEP_2) | instskip(NEXT) | instid1(VALU_DEP_2)
	v_add_co_u32 v29, vcc_lo, v30, v29
	v_add_co_ci_u32_e32 v29, vcc_lo, v31, v55, vcc_lo
	v_add_co_ci_u32_e32 v30, vcc_lo, 0, v56, vcc_lo
	s_delay_alu instid0(VALU_DEP_2) | instskip(NEXT) | instid1(VALU_DEP_2)
	v_add_co_u32 v28, vcc_lo, v29, v28
	v_add_co_ci_u32_e32 v29, vcc_lo, 0, v30, vcc_lo
	s_delay_alu instid0(VALU_DEP_2) | instskip(NEXT) | instid1(VALU_DEP_2)
	v_add_co_u32 v4, vcc_lo, v4, v28
	v_add_co_ci_u32_e32 v20, vcc_lo, v20, v29, vcc_lo
	s_delay_alu instid0(VALU_DEP_2) | instskip(SKIP_1) | instid1(VALU_DEP_3)
	v_mul_hi_u32 v28, s2, v4
	v_mul_lo_u32 v30, s39, v4
	v_mul_lo_u32 v29, s2, v20
	s_delay_alu instid0(VALU_DEP_1) | instskip(SKIP_1) | instid1(VALU_DEP_2)
	v_add_nc_u32_e32 v28, v28, v29
	v_mul_lo_u32 v29, s2, v4
	v_add_nc_u32_e32 v28, v28, v30
	s_delay_alu instid0(VALU_DEP_2) | instskip(NEXT) | instid1(VALU_DEP_2)
	v_mul_hi_u32 v30, v4, v29
	v_mul_lo_u32 v31, v4, v28
	v_mul_hi_u32 v54, v4, v28
	v_mul_hi_u32 v55, v20, v29
	v_mul_lo_u32 v29, v20, v29
	v_mul_hi_u32 v56, v20, v28
	v_mul_lo_u32 v28, v20, v28
	v_add_co_u32 v30, vcc_lo, v30, v31
	v_add_co_ci_u32_e32 v31, vcc_lo, 0, v54, vcc_lo
	s_delay_alu instid0(VALU_DEP_2) | instskip(NEXT) | instid1(VALU_DEP_2)
	v_add_co_u32 v29, vcc_lo, v30, v29
	v_add_co_ci_u32_e32 v29, vcc_lo, v31, v55, vcc_lo
	v_add_co_ci_u32_e32 v30, vcc_lo, 0, v56, vcc_lo
	s_delay_alu instid0(VALU_DEP_2) | instskip(NEXT) | instid1(VALU_DEP_2)
	v_add_co_u32 v28, vcc_lo, v29, v28
	v_add_co_ci_u32_e32 v29, vcc_lo, 0, v30, vcc_lo
	s_delay_alu instid0(VALU_DEP_2) | instskip(NEXT) | instid1(VALU_DEP_2)
	v_add_co_u32 v4, vcc_lo, v4, v28
	v_add_co_ci_u32_e32 v20, vcc_lo, v20, v29, vcc_lo
	s_delay_alu instid0(VALU_DEP_2) | instskip(SKIP_1) | instid1(VALU_DEP_3)
	v_mul_hi_u32 v56, v24, v4
	v_mad_u64_u32 v[30:31], null, v25, v4, 0
	v_mad_u64_u32 v[28:29], null, v24, v20, 0
	;; [unrolled: 1-line block ×3, first 2 shown]
	s_delay_alu instid0(VALU_DEP_2) | instskip(NEXT) | instid1(VALU_DEP_3)
	v_add_co_u32 v4, vcc_lo, v56, v28
	v_add_co_ci_u32_e32 v20, vcc_lo, 0, v29, vcc_lo
	s_delay_alu instid0(VALU_DEP_2) | instskip(NEXT) | instid1(VALU_DEP_2)
	v_add_co_u32 v4, vcc_lo, v4, v30
	v_add_co_ci_u32_e32 v4, vcc_lo, v20, v31, vcc_lo
	v_add_co_ci_u32_e32 v20, vcc_lo, 0, v55, vcc_lo
	s_delay_alu instid0(VALU_DEP_2) | instskip(NEXT) | instid1(VALU_DEP_2)
	v_add_co_u32 v4, vcc_lo, v4, v54
	v_add_co_ci_u32_e32 v20, vcc_lo, 0, v20, vcc_lo
	s_delay_alu instid0(VALU_DEP_2) | instskip(SKIP_1) | instid1(VALU_DEP_3)
	v_mul_lo_u32 v30, s27, v4
	v_mad_u64_u32 v[28:29], null, s26, v4, 0
	v_mul_lo_u32 v31, s26, v20
	s_delay_alu instid0(VALU_DEP_2) | instskip(NEXT) | instid1(VALU_DEP_2)
	v_sub_co_u32 v28, vcc_lo, v24, v28
	v_add3_u32 v29, v29, v31, v30
	s_delay_alu instid0(VALU_DEP_1) | instskip(NEXT) | instid1(VALU_DEP_1)
	v_sub_nc_u32_e32 v30, v25, v29
	v_subrev_co_ci_u32_e64 v30, s2, s27, v30, vcc_lo
	v_add_co_u32 v31, s2, v4, 2
	s_delay_alu instid0(VALU_DEP_1) | instskip(SKIP_3) | instid1(VALU_DEP_3)
	v_add_co_ci_u32_e64 v54, s2, 0, v20, s2
	v_sub_co_u32 v55, s2, v28, s26
	v_sub_co_ci_u32_e32 v29, vcc_lo, v25, v29, vcc_lo
	v_subrev_co_ci_u32_e64 v30, s2, 0, v30, s2
	v_cmp_le_u32_e32 vcc_lo, s26, v55
	s_delay_alu instid0(VALU_DEP_3) | instskip(SKIP_1) | instid1(VALU_DEP_4)
	v_cmp_eq_u32_e64 s2, s27, v29
	v_cndmask_b32_e64 v55, 0, -1, vcc_lo
	v_cmp_le_u32_e32 vcc_lo, s27, v30
	v_cndmask_b32_e64 v56, 0, -1, vcc_lo
	v_cmp_le_u32_e32 vcc_lo, s26, v28
	;; [unrolled: 2-line block ×3, first 2 shown]
	v_cndmask_b32_e64 v57, 0, -1, vcc_lo
	v_cmp_eq_u32_e32 vcc_lo, s27, v30
	s_delay_alu instid0(VALU_DEP_2) | instskip(SKIP_3) | instid1(VALU_DEP_3)
	v_cndmask_b32_e64 v28, v57, v28, s2
	v_cndmask_b32_e32 v30, v56, v55, vcc_lo
	v_add_co_u32 v55, vcc_lo, v4, 1
	v_add_co_ci_u32_e32 v56, vcc_lo, 0, v20, vcc_lo
	v_cmp_ne_u32_e32 vcc_lo, 0, v30
	s_delay_alu instid0(VALU_DEP_2) | instskip(SKIP_1) | instid1(VALU_DEP_2)
	v_dual_cndmask_b32 v29, v56, v54 :: v_dual_cndmask_b32 v30, v55, v31
	v_cmp_ne_u32_e32 vcc_lo, 0, v28
	v_cndmask_b32_e32 v29, v20, v29, vcc_lo
	s_delay_alu instid0(VALU_DEP_3)
	v_cndmask_b32_e32 v28, v4, v30, vcc_lo
.LBB97_75:                              ;   in Loop: Header=BB97_73 Depth=2
	s_and_not1_saveexec_b32 s2, s38
	s_cbranch_execz .LBB97_72
; %bb.76:                               ;   in Loop: Header=BB97_73 Depth=2
	v_cvt_f32_u32_e32 v4, s26
	s_sub_i32 s38, 0, s26
	s_delay_alu instid0(VALU_DEP_1) | instskip(SKIP_2) | instid1(VALU_DEP_1)
	v_rcp_iflag_f32_e32 v4, v4
	s_waitcnt_depctr 0xfff
	v_mul_f32_e32 v4, 0x4f7ffffe, v4
	v_cvt_u32_f32_e32 v4, v4
	s_delay_alu instid0(VALU_DEP_1) | instskip(NEXT) | instid1(VALU_DEP_1)
	v_mul_lo_u32 v20, s38, v4
	v_mul_hi_u32 v20, v4, v20
	s_delay_alu instid0(VALU_DEP_1) | instskip(NEXT) | instid1(VALU_DEP_1)
	v_add_nc_u32_e32 v4, v4, v20
	v_mul_hi_u32 v4, v24, v4
	s_delay_alu instid0(VALU_DEP_1) | instskip(SKIP_1) | instid1(VALU_DEP_2)
	v_mul_lo_u32 v20, v4, s26
	v_add_nc_u32_e32 v28, 1, v4
	v_sub_nc_u32_e32 v20, v24, v20
	s_delay_alu instid0(VALU_DEP_1) | instskip(SKIP_1) | instid1(VALU_DEP_2)
	v_subrev_nc_u32_e32 v29, s26, v20
	v_cmp_le_u32_e32 vcc_lo, s26, v20
	v_dual_cndmask_b32 v20, v20, v29 :: v_dual_mov_b32 v29, v19
	v_cndmask_b32_e32 v4, v4, v28, vcc_lo
	s_delay_alu instid0(VALU_DEP_2) | instskip(NEXT) | instid1(VALU_DEP_2)
	v_cmp_le_u32_e32 vcc_lo, s26, v20
	v_add_nc_u32_e32 v28, 1, v4
	s_delay_alu instid0(VALU_DEP_1)
	v_cndmask_b32_e32 v28, v4, v28, vcc_lo
	s_branch .LBB97_72
.LBB97_77:                              ;   in Loop: Header=BB97_78 Depth=2
	s_or_b32 exec_lo, exec_lo, s1
	s_load_b64 s[38:39], s[2:3], 0xc8
	s_delay_alu instid0(VALU_DEP_1)
	v_mul_lo_u32 v20, v25, s24
	v_mul_lo_u32 v28, v24, s25
	v_mad_u64_u32 v[26:27], null, v24, s24, 0
	s_add_i32 s26, s26, -1
	s_add_u32 s2, s2, -8
	s_addc_u32 s3, s3, -1
	s_cmp_gt_u32 s26, 2
	s_delay_alu instid0(VALU_DEP_1) | instskip(NEXT) | instid1(VALU_DEP_2)
	v_add3_u32 v20, v27, v28, v20
	v_sub_co_u32 v26, vcc_lo, v13, v26
	s_delay_alu instid0(VALU_DEP_2) | instskip(SKIP_1) | instid1(VALU_DEP_2)
	v_sub_co_ci_u32_e32 v13, vcc_lo, v14, v20, vcc_lo
	s_waitcnt lgkmcnt(0)
	v_mul_lo_u32 v27, s39, v26
	s_delay_alu instid0(VALU_DEP_2) | instskip(SKIP_1) | instid1(VALU_DEP_1)
	v_mul_lo_u32 v20, s38, v13
	v_mad_u64_u32 v[13:14], null, s38, v26, v[4:5]
	v_add3_u32 v5, v27, v14, v20
	s_delay_alu instid0(VALU_DEP_2)
	v_dual_mov_b32 v4, v13 :: v_dual_mov_b32 v13, v24
	v_mov_b32_e32 v14, v25
	s_cbranch_scc0 .LBB97_70
.LBB97_78:                              ;   Parent Loop BB97_9 Depth=1
                                        ; =>  This Inner Loop Header: Depth=2
	s_load_b64 s[24:25], s[2:3], 0x0
                                        ; implicit-def: $vgpr24_vgpr25
	s_mov_b32 s1, exec_lo
	s_waitcnt lgkmcnt(0)
	v_or_b32_e32 v20, s25, v14
	s_delay_alu instid0(VALU_DEP_1)
	v_cmpx_ne_u64_e32 0, v[19:20]
	s_xor_b32 s27, exec_lo, s1
	s_cbranch_execz .LBB97_80
; %bb.79:                               ;   in Loop: Header=BB97_78 Depth=2
	v_cvt_f32_u32_e32 v20, s24
	v_cvt_f32_u32_e32 v24, s25
	s_sub_u32 s1, 0, s24
	s_subb_u32 s38, 0, s25
	s_delay_alu instid0(VALU_DEP_1) | instskip(NEXT) | instid1(VALU_DEP_1)
	v_fmac_f32_e32 v20, 0x4f800000, v24
	v_rcp_f32_e32 v20, v20
	s_waitcnt_depctr 0xfff
	v_mul_f32_e32 v20, 0x5f7ffffc, v20
	s_delay_alu instid0(VALU_DEP_1) | instskip(NEXT) | instid1(VALU_DEP_1)
	v_mul_f32_e32 v24, 0x2f800000, v20
	v_trunc_f32_e32 v24, v24
	s_delay_alu instid0(VALU_DEP_1) | instskip(SKIP_1) | instid1(VALU_DEP_2)
	v_fmac_f32_e32 v20, 0xcf800000, v24
	v_cvt_u32_f32_e32 v24, v24
	v_cvt_u32_f32_e32 v20, v20
	s_delay_alu instid0(VALU_DEP_2) | instskip(NEXT) | instid1(VALU_DEP_2)
	v_mul_lo_u32 v25, s1, v24
	v_mul_hi_u32 v26, s1, v20
	v_mul_lo_u32 v27, s38, v20
	s_delay_alu instid0(VALU_DEP_2) | instskip(SKIP_1) | instid1(VALU_DEP_2)
	v_add_nc_u32_e32 v25, v26, v25
	v_mul_lo_u32 v26, s1, v20
	v_add_nc_u32_e32 v25, v25, v27
	s_delay_alu instid0(VALU_DEP_2) | instskip(NEXT) | instid1(VALU_DEP_2)
	v_mul_hi_u32 v27, v20, v26
	v_mul_lo_u32 v28, v20, v25
	v_mul_hi_u32 v29, v20, v25
	v_mul_hi_u32 v30, v24, v26
	v_mul_lo_u32 v26, v24, v26
	v_mul_hi_u32 v31, v24, v25
	v_mul_lo_u32 v25, v24, v25
	v_add_co_u32 v27, vcc_lo, v27, v28
	v_add_co_ci_u32_e32 v28, vcc_lo, 0, v29, vcc_lo
	s_delay_alu instid0(VALU_DEP_2) | instskip(NEXT) | instid1(VALU_DEP_2)
	v_add_co_u32 v26, vcc_lo, v27, v26
	v_add_co_ci_u32_e32 v26, vcc_lo, v28, v30, vcc_lo
	v_add_co_ci_u32_e32 v27, vcc_lo, 0, v31, vcc_lo
	s_delay_alu instid0(VALU_DEP_2) | instskip(NEXT) | instid1(VALU_DEP_2)
	v_add_co_u32 v25, vcc_lo, v26, v25
	v_add_co_ci_u32_e32 v26, vcc_lo, 0, v27, vcc_lo
	s_delay_alu instid0(VALU_DEP_2) | instskip(NEXT) | instid1(VALU_DEP_2)
	v_add_co_u32 v20, vcc_lo, v20, v25
	v_add_co_ci_u32_e32 v24, vcc_lo, v24, v26, vcc_lo
	s_delay_alu instid0(VALU_DEP_2) | instskip(SKIP_1) | instid1(VALU_DEP_3)
	v_mul_hi_u32 v25, s1, v20
	v_mul_lo_u32 v27, s38, v20
	v_mul_lo_u32 v26, s1, v24
	s_delay_alu instid0(VALU_DEP_1) | instskip(SKIP_1) | instid1(VALU_DEP_2)
	v_add_nc_u32_e32 v25, v25, v26
	v_mul_lo_u32 v26, s1, v20
	v_add_nc_u32_e32 v25, v25, v27
	s_delay_alu instid0(VALU_DEP_2) | instskip(NEXT) | instid1(VALU_DEP_2)
	v_mul_hi_u32 v27, v20, v26
	v_mul_lo_u32 v28, v20, v25
	v_mul_hi_u32 v29, v20, v25
	v_mul_hi_u32 v30, v24, v26
	v_mul_lo_u32 v26, v24, v26
	v_mul_hi_u32 v31, v24, v25
	v_mul_lo_u32 v25, v24, v25
	v_add_co_u32 v27, vcc_lo, v27, v28
	v_add_co_ci_u32_e32 v28, vcc_lo, 0, v29, vcc_lo
	s_delay_alu instid0(VALU_DEP_2) | instskip(NEXT) | instid1(VALU_DEP_2)
	v_add_co_u32 v26, vcc_lo, v27, v26
	v_add_co_ci_u32_e32 v26, vcc_lo, v28, v30, vcc_lo
	v_add_co_ci_u32_e32 v27, vcc_lo, 0, v31, vcc_lo
	s_delay_alu instid0(VALU_DEP_2) | instskip(NEXT) | instid1(VALU_DEP_2)
	v_add_co_u32 v25, vcc_lo, v26, v25
	v_add_co_ci_u32_e32 v26, vcc_lo, 0, v27, vcc_lo
	s_delay_alu instid0(VALU_DEP_2) | instskip(NEXT) | instid1(VALU_DEP_2)
	v_add_co_u32 v20, vcc_lo, v20, v25
	v_add_co_ci_u32_e32 v30, vcc_lo, v24, v26, vcc_lo
	s_delay_alu instid0(VALU_DEP_2) | instskip(SKIP_1) | instid1(VALU_DEP_3)
	v_mul_hi_u32 v31, v13, v20
	v_mad_u64_u32 v[26:27], null, v14, v20, 0
	v_mad_u64_u32 v[24:25], null, v13, v30, 0
	;; [unrolled: 1-line block ×3, first 2 shown]
	s_delay_alu instid0(VALU_DEP_2) | instskip(NEXT) | instid1(VALU_DEP_3)
	v_add_co_u32 v20, vcc_lo, v31, v24
	v_add_co_ci_u32_e32 v24, vcc_lo, 0, v25, vcc_lo
	s_delay_alu instid0(VALU_DEP_2) | instskip(NEXT) | instid1(VALU_DEP_2)
	v_add_co_u32 v20, vcc_lo, v20, v26
	v_add_co_ci_u32_e32 v20, vcc_lo, v24, v27, vcc_lo
	v_add_co_ci_u32_e32 v24, vcc_lo, 0, v29, vcc_lo
	s_delay_alu instid0(VALU_DEP_2) | instskip(NEXT) | instid1(VALU_DEP_2)
	v_add_co_u32 v20, vcc_lo, v20, v28
	v_add_co_ci_u32_e32 v26, vcc_lo, 0, v24, vcc_lo
	s_delay_alu instid0(VALU_DEP_2) | instskip(SKIP_1) | instid1(VALU_DEP_3)
	v_mul_lo_u32 v27, s25, v20
	v_mad_u64_u32 v[24:25], null, s24, v20, 0
	v_mul_lo_u32 v28, s24, v26
	s_delay_alu instid0(VALU_DEP_2) | instskip(NEXT) | instid1(VALU_DEP_2)
	v_sub_co_u32 v24, vcc_lo, v13, v24
	v_add3_u32 v25, v25, v28, v27
	s_delay_alu instid0(VALU_DEP_1) | instskip(NEXT) | instid1(VALU_DEP_1)
	v_sub_nc_u32_e32 v27, v14, v25
	v_subrev_co_ci_u32_e64 v27, s1, s25, v27, vcc_lo
	v_add_co_u32 v28, s1, v20, 2
	s_delay_alu instid0(VALU_DEP_1) | instskip(SKIP_3) | instid1(VALU_DEP_3)
	v_add_co_ci_u32_e64 v29, s1, 0, v26, s1
	v_sub_co_u32 v30, s1, v24, s24
	v_sub_co_ci_u32_e32 v25, vcc_lo, v14, v25, vcc_lo
	v_subrev_co_ci_u32_e64 v27, s1, 0, v27, s1
	v_cmp_le_u32_e32 vcc_lo, s24, v30
	s_delay_alu instid0(VALU_DEP_3) | instskip(SKIP_1) | instid1(VALU_DEP_4)
	v_cmp_eq_u32_e64 s1, s25, v25
	v_cndmask_b32_e64 v30, 0, -1, vcc_lo
	v_cmp_le_u32_e32 vcc_lo, s25, v27
	v_cndmask_b32_e64 v31, 0, -1, vcc_lo
	v_cmp_le_u32_e32 vcc_lo, s24, v24
	v_cndmask_b32_e64 v24, 0, -1, vcc_lo
	v_cmp_le_u32_e32 vcc_lo, s25, v25
	v_cndmask_b32_e64 v54, 0, -1, vcc_lo
	v_cmp_eq_u32_e32 vcc_lo, s25, v27
	s_delay_alu instid0(VALU_DEP_2) | instskip(SKIP_3) | instid1(VALU_DEP_3)
	v_cndmask_b32_e64 v24, v54, v24, s1
	v_cndmask_b32_e32 v27, v31, v30, vcc_lo
	v_add_co_u32 v30, vcc_lo, v20, 1
	v_add_co_ci_u32_e32 v31, vcc_lo, 0, v26, vcc_lo
	v_cmp_ne_u32_e32 vcc_lo, 0, v27
	s_delay_alu instid0(VALU_DEP_3) | instskip(NEXT) | instid1(VALU_DEP_3)
	v_cndmask_b32_e32 v27, v30, v28, vcc_lo
	v_cndmask_b32_e32 v25, v31, v29, vcc_lo
	v_cmp_ne_u32_e32 vcc_lo, 0, v24
	s_delay_alu instid0(VALU_DEP_2)
	v_dual_cndmask_b32 v24, v20, v27 :: v_dual_cndmask_b32 v25, v26, v25
.LBB97_80:                              ;   in Loop: Header=BB97_78 Depth=2
	s_and_not1_saveexec_b32 s1, s27
	s_cbranch_execz .LBB97_77
; %bb.81:                               ;   in Loop: Header=BB97_78 Depth=2
	v_cvt_f32_u32_e32 v20, s24
	s_sub_i32 s27, 0, s24
	s_delay_alu instid0(VALU_DEP_1) | instskip(SKIP_2) | instid1(VALU_DEP_1)
	v_rcp_iflag_f32_e32 v20, v20
	s_waitcnt_depctr 0xfff
	v_mul_f32_e32 v20, 0x4f7ffffe, v20
	v_cvt_u32_f32_e32 v20, v20
	s_delay_alu instid0(VALU_DEP_1) | instskip(NEXT) | instid1(VALU_DEP_1)
	v_mul_lo_u32 v24, s27, v20
	v_mul_hi_u32 v24, v20, v24
	s_delay_alu instid0(VALU_DEP_1) | instskip(NEXT) | instid1(VALU_DEP_1)
	v_add_nc_u32_e32 v20, v20, v24
	v_mul_hi_u32 v20, v13, v20
	s_delay_alu instid0(VALU_DEP_1) | instskip(NEXT) | instid1(VALU_DEP_1)
	v_mul_lo_u32 v24, v20, s24
	v_sub_nc_u32_e32 v24, v13, v24
	s_delay_alu instid0(VALU_DEP_1) | instskip(SKIP_1) | instid1(VALU_DEP_2)
	v_subrev_nc_u32_e32 v26, s24, v24
	v_cmp_le_u32_e32 vcc_lo, s24, v24
	v_dual_cndmask_b32 v24, v24, v26 :: v_dual_add_nc_u32 v25, 1, v20
	s_delay_alu instid0(VALU_DEP_1) | instskip(NEXT) | instid1(VALU_DEP_2)
	v_cndmask_b32_e32 v20, v20, v25, vcc_lo
	v_cmp_le_u32_e32 vcc_lo, s24, v24
	s_delay_alu instid0(VALU_DEP_2) | instskip(NEXT) | instid1(VALU_DEP_1)
	v_add_nc_u32_e32 v25, 1, v20
	v_dual_cndmask_b32 v24, v20, v25 :: v_dual_mov_b32 v25, v19
	s_branch .LBB97_77
.LBB97_82:                              ;   in Loop: Header=BB97_83 Depth=2
	s_or_b32 exec_lo, exec_lo, s0
	s_load_b64 s[26:27], s[2:3], 0xc8
	s_delay_alu instid0(VALU_DEP_1)
	v_mul_lo_u32 v6, v14, s24
	v_mul_lo_u32 v20, v13, s25
	v_mad_u64_u32 v[24:25], null, v13, s24, 0
	s_add_i32 s4, s4, -1
	s_add_u32 s2, s2, -8
	s_addc_u32 s3, s3, -1
	s_cmp_gt_u32 s4, 2
	s_delay_alu instid0(VALU_DEP_1) | instskip(NEXT) | instid1(VALU_DEP_2)
	v_add3_u32 v6, v25, v20, v6
	v_sub_co_u32 v20, vcc_lo, v11, v24
	s_delay_alu instid0(VALU_DEP_2) | instskip(SKIP_1) | instid1(VALU_DEP_2)
	v_sub_co_ci_u32_e32 v6, vcc_lo, v12, v6, vcc_lo
	s_waitcnt lgkmcnt(0)
	v_mul_lo_u32 v24, s27, v20
	s_delay_alu instid0(VALU_DEP_2) | instskip(SKIP_1) | instid1(VALU_DEP_1)
	v_mul_lo_u32 v6, s26, v6
	v_mad_u64_u32 v[11:12], null, s26, v20, v[4:5]
	v_add3_u32 v5, v24, v12, v6
	s_delay_alu instid0(VALU_DEP_2)
	v_dual_mov_b32 v4, v11 :: v_dual_mov_b32 v11, v13
	v_mov_b32_e32 v12, v14
	s_cbranch_scc0 .LBB97_7
.LBB97_83:                              ;   Parent Loop BB97_9 Depth=1
                                        ; =>  This Inner Loop Header: Depth=2
	s_load_b64 s[24:25], s[2:3], 0x0
                                        ; implicit-def: $vgpr13_vgpr14
	s_mov_b32 s0, exec_lo
	s_waitcnt lgkmcnt(0)
	v_or_b32_e32 v20, s25, v12
	s_delay_alu instid0(VALU_DEP_1)
	v_cmpx_ne_u64_e32 0, v[19:20]
	s_xor_b32 s26, exec_lo, s0
	s_cbranch_execz .LBB97_85
; %bb.84:                               ;   in Loop: Header=BB97_83 Depth=2
	v_cvt_f32_u32_e32 v6, s24
	v_cvt_f32_u32_e32 v13, s25
	s_sub_u32 s0, 0, s24
	s_subb_u32 s27, 0, s25
	s_delay_alu instid0(VALU_DEP_1) | instskip(NEXT) | instid1(VALU_DEP_1)
	v_fmac_f32_e32 v6, 0x4f800000, v13
	v_rcp_f32_e32 v6, v6
	s_waitcnt_depctr 0xfff
	v_mul_f32_e32 v6, 0x5f7ffffc, v6
	s_delay_alu instid0(VALU_DEP_1) | instskip(NEXT) | instid1(VALU_DEP_1)
	v_mul_f32_e32 v13, 0x2f800000, v6
	v_trunc_f32_e32 v13, v13
	s_delay_alu instid0(VALU_DEP_1) | instskip(SKIP_1) | instid1(VALU_DEP_2)
	v_fmac_f32_e32 v6, 0xcf800000, v13
	v_cvt_u32_f32_e32 v13, v13
	v_cvt_u32_f32_e32 v6, v6
	s_delay_alu instid0(VALU_DEP_2) | instskip(NEXT) | instid1(VALU_DEP_2)
	v_mul_lo_u32 v14, s0, v13
	v_mul_hi_u32 v20, s0, v6
	v_mul_lo_u32 v24, s27, v6
	s_delay_alu instid0(VALU_DEP_2) | instskip(SKIP_1) | instid1(VALU_DEP_2)
	v_add_nc_u32_e32 v14, v20, v14
	v_mul_lo_u32 v20, s0, v6
	v_add_nc_u32_e32 v14, v14, v24
	s_delay_alu instid0(VALU_DEP_2) | instskip(NEXT) | instid1(VALU_DEP_2)
	v_mul_hi_u32 v24, v6, v20
	v_mul_lo_u32 v25, v6, v14
	v_mul_hi_u32 v26, v6, v14
	v_mul_hi_u32 v27, v13, v20
	v_mul_lo_u32 v20, v13, v20
	v_mul_hi_u32 v28, v13, v14
	v_mul_lo_u32 v14, v13, v14
	v_add_co_u32 v24, vcc_lo, v24, v25
	v_add_co_ci_u32_e32 v25, vcc_lo, 0, v26, vcc_lo
	s_delay_alu instid0(VALU_DEP_2) | instskip(NEXT) | instid1(VALU_DEP_2)
	v_add_co_u32 v20, vcc_lo, v24, v20
	v_add_co_ci_u32_e32 v20, vcc_lo, v25, v27, vcc_lo
	v_add_co_ci_u32_e32 v24, vcc_lo, 0, v28, vcc_lo
	s_delay_alu instid0(VALU_DEP_2) | instskip(NEXT) | instid1(VALU_DEP_2)
	v_add_co_u32 v14, vcc_lo, v20, v14
	v_add_co_ci_u32_e32 v20, vcc_lo, 0, v24, vcc_lo
	s_delay_alu instid0(VALU_DEP_2) | instskip(NEXT) | instid1(VALU_DEP_2)
	v_add_co_u32 v6, vcc_lo, v6, v14
	v_add_co_ci_u32_e32 v13, vcc_lo, v13, v20, vcc_lo
	s_delay_alu instid0(VALU_DEP_2) | instskip(SKIP_1) | instid1(VALU_DEP_3)
	v_mul_hi_u32 v14, s0, v6
	v_mul_lo_u32 v24, s27, v6
	v_mul_lo_u32 v20, s0, v13
	s_delay_alu instid0(VALU_DEP_1) | instskip(SKIP_1) | instid1(VALU_DEP_2)
	v_add_nc_u32_e32 v14, v14, v20
	v_mul_lo_u32 v20, s0, v6
	v_add_nc_u32_e32 v14, v14, v24
	s_delay_alu instid0(VALU_DEP_2) | instskip(NEXT) | instid1(VALU_DEP_2)
	v_mul_hi_u32 v24, v6, v20
	v_mul_lo_u32 v25, v6, v14
	v_mul_hi_u32 v26, v6, v14
	v_mul_hi_u32 v27, v13, v20
	v_mul_lo_u32 v20, v13, v20
	v_mul_hi_u32 v28, v13, v14
	v_mul_lo_u32 v14, v13, v14
	v_add_co_u32 v24, vcc_lo, v24, v25
	v_add_co_ci_u32_e32 v25, vcc_lo, 0, v26, vcc_lo
	s_delay_alu instid0(VALU_DEP_2) | instskip(NEXT) | instid1(VALU_DEP_2)
	v_add_co_u32 v20, vcc_lo, v24, v20
	v_add_co_ci_u32_e32 v20, vcc_lo, v25, v27, vcc_lo
	v_add_co_ci_u32_e32 v24, vcc_lo, 0, v28, vcc_lo
	s_delay_alu instid0(VALU_DEP_2) | instskip(NEXT) | instid1(VALU_DEP_2)
	v_add_co_u32 v14, vcc_lo, v20, v14
	v_add_co_ci_u32_e32 v20, vcc_lo, 0, v24, vcc_lo
	s_delay_alu instid0(VALU_DEP_2) | instskip(NEXT) | instid1(VALU_DEP_2)
	v_add_co_u32 v6, vcc_lo, v6, v14
	v_add_co_ci_u32_e32 v20, vcc_lo, v13, v20, vcc_lo
	s_delay_alu instid0(VALU_DEP_2) | instskip(SKIP_1) | instid1(VALU_DEP_3)
	v_mul_hi_u32 v28, v11, v6
	v_mad_u64_u32 v[24:25], null, v12, v6, 0
	v_mad_u64_u32 v[13:14], null, v11, v20, 0
	;; [unrolled: 1-line block ×3, first 2 shown]
	s_delay_alu instid0(VALU_DEP_2) | instskip(NEXT) | instid1(VALU_DEP_3)
	v_add_co_u32 v6, vcc_lo, v28, v13
	v_add_co_ci_u32_e32 v13, vcc_lo, 0, v14, vcc_lo
	s_delay_alu instid0(VALU_DEP_2) | instskip(NEXT) | instid1(VALU_DEP_2)
	v_add_co_u32 v6, vcc_lo, v6, v24
	v_add_co_ci_u32_e32 v6, vcc_lo, v13, v25, vcc_lo
	v_add_co_ci_u32_e32 v13, vcc_lo, 0, v27, vcc_lo
	s_delay_alu instid0(VALU_DEP_2) | instskip(NEXT) | instid1(VALU_DEP_2)
	v_add_co_u32 v6, vcc_lo, v6, v26
	v_add_co_ci_u32_e32 v20, vcc_lo, 0, v13, vcc_lo
	s_delay_alu instid0(VALU_DEP_2) | instskip(SKIP_1) | instid1(VALU_DEP_3)
	v_mul_lo_u32 v24, s25, v6
	v_mad_u64_u32 v[13:14], null, s24, v6, 0
	v_mul_lo_u32 v25, s24, v20
	s_delay_alu instid0(VALU_DEP_2) | instskip(NEXT) | instid1(VALU_DEP_2)
	v_sub_co_u32 v13, vcc_lo, v11, v13
	v_add3_u32 v14, v14, v25, v24
	s_delay_alu instid0(VALU_DEP_1) | instskip(NEXT) | instid1(VALU_DEP_1)
	v_sub_nc_u32_e32 v24, v12, v14
	v_subrev_co_ci_u32_e64 v24, s0, s25, v24, vcc_lo
	v_add_co_u32 v25, s0, v6, 2
	s_delay_alu instid0(VALU_DEP_1) | instskip(SKIP_3) | instid1(VALU_DEP_3)
	v_add_co_ci_u32_e64 v26, s0, 0, v20, s0
	v_sub_co_u32 v27, s0, v13, s24
	v_sub_co_ci_u32_e32 v14, vcc_lo, v12, v14, vcc_lo
	v_subrev_co_ci_u32_e64 v24, s0, 0, v24, s0
	v_cmp_le_u32_e32 vcc_lo, s24, v27
	s_delay_alu instid0(VALU_DEP_3) | instskip(SKIP_1) | instid1(VALU_DEP_4)
	v_cmp_eq_u32_e64 s0, s25, v14
	v_cndmask_b32_e64 v27, 0, -1, vcc_lo
	v_cmp_le_u32_e32 vcc_lo, s25, v24
	v_cndmask_b32_e64 v28, 0, -1, vcc_lo
	v_cmp_le_u32_e32 vcc_lo, s24, v13
	;; [unrolled: 2-line block ×3, first 2 shown]
	v_cndmask_b32_e64 v29, 0, -1, vcc_lo
	v_cmp_eq_u32_e32 vcc_lo, s25, v24
	s_delay_alu instid0(VALU_DEP_2) | instskip(SKIP_3) | instid1(VALU_DEP_3)
	v_cndmask_b32_e64 v13, v29, v13, s0
	v_cndmask_b32_e32 v24, v28, v27, vcc_lo
	v_add_co_u32 v27, vcc_lo, v6, 1
	v_add_co_ci_u32_e32 v28, vcc_lo, 0, v20, vcc_lo
	v_cmp_ne_u32_e32 vcc_lo, 0, v24
	s_delay_alu instid0(VALU_DEP_2) | instskip(NEXT) | instid1(VALU_DEP_4)
	v_cndmask_b32_e32 v14, v28, v26, vcc_lo
	v_cndmask_b32_e32 v24, v27, v25, vcc_lo
	v_cmp_ne_u32_e32 vcc_lo, 0, v13
	s_delay_alu instid0(VALU_DEP_2)
	v_dual_cndmask_b32 v13, v6, v24 :: v_dual_cndmask_b32 v14, v20, v14
.LBB97_85:                              ;   in Loop: Header=BB97_83 Depth=2
	s_and_not1_saveexec_b32 s0, s26
	s_cbranch_execz .LBB97_82
; %bb.86:                               ;   in Loop: Header=BB97_83 Depth=2
	v_cvt_f32_u32_e32 v6, s24
	s_sub_i32 s26, 0, s24
	s_delay_alu instid0(VALU_DEP_1) | instskip(SKIP_2) | instid1(VALU_DEP_1)
	v_rcp_iflag_f32_e32 v6, v6
	s_waitcnt_depctr 0xfff
	v_mul_f32_e32 v6, 0x4f7ffffe, v6
	v_cvt_u32_f32_e32 v6, v6
	s_delay_alu instid0(VALU_DEP_1) | instskip(NEXT) | instid1(VALU_DEP_1)
	v_mul_lo_u32 v13, s26, v6
	v_mul_hi_u32 v13, v6, v13
	s_delay_alu instid0(VALU_DEP_1) | instskip(NEXT) | instid1(VALU_DEP_1)
	v_add_nc_u32_e32 v6, v6, v13
	v_mul_hi_u32 v6, v11, v6
	s_delay_alu instid0(VALU_DEP_1) | instskip(SKIP_1) | instid1(VALU_DEP_2)
	v_mul_lo_u32 v13, v6, s24
	v_add_nc_u32_e32 v14, 1, v6
	v_sub_nc_u32_e32 v13, v11, v13
	s_delay_alu instid0(VALU_DEP_1) | instskip(SKIP_1) | instid1(VALU_DEP_2)
	v_subrev_nc_u32_e32 v20, s24, v13
	v_cmp_le_u32_e32 vcc_lo, s24, v13
	v_dual_cndmask_b32 v13, v13, v20 :: v_dual_cndmask_b32 v6, v6, v14
	s_delay_alu instid0(VALU_DEP_1) | instskip(NEXT) | instid1(VALU_DEP_2)
	v_cmp_le_u32_e32 vcc_lo, s24, v13
	v_add_nc_u32_e32 v14, 1, v6
	s_delay_alu instid0(VALU_DEP_1)
	v_dual_cndmask_b32 v13, v6, v14 :: v_dual_mov_b32 v14, v19
	s_branch .LBB97_82
.LBB97_87:
	s_endpgm
.LBB97_88:
                                        ; implicit-def: $sgpr2_sgpr3
	s_branch .LBB97_4
	.section	.rodata,"a",@progbits
	.p2align	6, 0x0
	.amdhsa_kernel _ZN2at6native12_GLOBAL__N_120fused_dropout_kernelIffmLin1ELin1EhEEvNS_4cuda6detail10TensorInfoIKT_T1_EENS5_IS6_S8_EENS5_IT4_S8_EES8_T0_NS_15PhiloxCudaStateE
		.amdhsa_group_segment_fixed_size 0
		.amdhsa_private_segment_fixed_size 0
		.amdhsa_kernarg_size 1552
		.amdhsa_user_sgpr_count 15
		.amdhsa_user_sgpr_dispatch_ptr 0
		.amdhsa_user_sgpr_queue_ptr 0
		.amdhsa_user_sgpr_kernarg_segment_ptr 1
		.amdhsa_user_sgpr_dispatch_id 0
		.amdhsa_user_sgpr_private_segment_size 0
		.amdhsa_wavefront_size32 1
		.amdhsa_uses_dynamic_stack 0
		.amdhsa_enable_private_segment 0
		.amdhsa_system_sgpr_workgroup_id_x 1
		.amdhsa_system_sgpr_workgroup_id_y 0
		.amdhsa_system_sgpr_workgroup_id_z 0
		.amdhsa_system_sgpr_workgroup_info 0
		.amdhsa_system_vgpr_workitem_id 0
		.amdhsa_next_free_vgpr 61
		.amdhsa_next_free_sgpr 42
		.amdhsa_reserve_vcc 1
		.amdhsa_float_round_mode_32 0
		.amdhsa_float_round_mode_16_64 0
		.amdhsa_float_denorm_mode_32 3
		.amdhsa_float_denorm_mode_16_64 3
		.amdhsa_dx10_clamp 1
		.amdhsa_ieee_mode 1
		.amdhsa_fp16_overflow 0
		.amdhsa_workgroup_processor_mode 1
		.amdhsa_memory_ordered 1
		.amdhsa_forward_progress 0
		.amdhsa_shared_vgpr_count 0
		.amdhsa_exception_fp_ieee_invalid_op 0
		.amdhsa_exception_fp_denorm_src 0
		.amdhsa_exception_fp_ieee_div_zero 0
		.amdhsa_exception_fp_ieee_overflow 0
		.amdhsa_exception_fp_ieee_underflow 0
		.amdhsa_exception_fp_ieee_inexact 0
		.amdhsa_exception_int_div_zero 0
	.end_amdhsa_kernel
	.section	.text._ZN2at6native12_GLOBAL__N_120fused_dropout_kernelIffmLin1ELin1EhEEvNS_4cuda6detail10TensorInfoIKT_T1_EENS5_IS6_S8_EENS5_IT4_S8_EES8_T0_NS_15PhiloxCudaStateE,"axG",@progbits,_ZN2at6native12_GLOBAL__N_120fused_dropout_kernelIffmLin1ELin1EhEEvNS_4cuda6detail10TensorInfoIKT_T1_EENS5_IS6_S8_EENS5_IT4_S8_EES8_T0_NS_15PhiloxCudaStateE,comdat
.Lfunc_end97:
	.size	_ZN2at6native12_GLOBAL__N_120fused_dropout_kernelIffmLin1ELin1EhEEvNS_4cuda6detail10TensorInfoIKT_T1_EENS5_IS6_S8_EENS5_IT4_S8_EES8_T0_NS_15PhiloxCudaStateE, .Lfunc_end97-_ZN2at6native12_GLOBAL__N_120fused_dropout_kernelIffmLin1ELin1EhEEvNS_4cuda6detail10TensorInfoIKT_T1_EENS5_IS6_S8_EENS5_IT4_S8_EES8_T0_NS_15PhiloxCudaStateE
                                        ; -- End function
	.section	.AMDGPU.csdata,"",@progbits
; Kernel info:
; codeLenInByte = 12592
; NumSgprs: 44
; NumVgprs: 61
; ScratchSize: 0
; MemoryBound: 0
; FloatMode: 240
; IeeeMode: 1
; LDSByteSize: 0 bytes/workgroup (compile time only)
; SGPRBlocks: 5
; VGPRBlocks: 7
; NumSGPRsForWavesPerEU: 44
; NumVGPRsForWavesPerEU: 61
; Occupancy: 16
; WaveLimiterHint : 1
; COMPUTE_PGM_RSRC2:SCRATCH_EN: 0
; COMPUTE_PGM_RSRC2:USER_SGPR: 15
; COMPUTE_PGM_RSRC2:TRAP_HANDLER: 0
; COMPUTE_PGM_RSRC2:TGID_X_EN: 1
; COMPUTE_PGM_RSRC2:TGID_Y_EN: 0
; COMPUTE_PGM_RSRC2:TGID_Z_EN: 0
; COMPUTE_PGM_RSRC2:TIDIG_COMP_CNT: 0
	.section	.text._ZN2at6native12_GLOBAL__N_124fused_dropout_kernel_vecIN3c104HalfEfmLi1ELi16EhEEvNS_4cuda6detail10TensorInfoIKT_T1_EENS7_IS8_SA_EENS7_IT4_SA_EESA_T0_NS_15PhiloxCudaStateE,"axG",@progbits,_ZN2at6native12_GLOBAL__N_124fused_dropout_kernel_vecIN3c104HalfEfmLi1ELi16EhEEvNS_4cuda6detail10TensorInfoIKT_T1_EENS7_IS8_SA_EENS7_IT4_SA_EESA_T0_NS_15PhiloxCudaStateE,comdat
	.globl	_ZN2at6native12_GLOBAL__N_124fused_dropout_kernel_vecIN3c104HalfEfmLi1ELi16EhEEvNS_4cuda6detail10TensorInfoIKT_T1_EENS7_IS8_SA_EENS7_IT4_SA_EESA_T0_NS_15PhiloxCudaStateE ; -- Begin function _ZN2at6native12_GLOBAL__N_124fused_dropout_kernel_vecIN3c104HalfEfmLi1ELi16EhEEvNS_4cuda6detail10TensorInfoIKT_T1_EENS7_IS8_SA_EENS7_IT4_SA_EESA_T0_NS_15PhiloxCudaStateE
	.p2align	8
	.type	_ZN2at6native12_GLOBAL__N_124fused_dropout_kernel_vecIN3c104HalfEfmLi1ELi16EhEEvNS_4cuda6detail10TensorInfoIKT_T1_EENS7_IS8_SA_EENS7_IT4_SA_EESA_T0_NS_15PhiloxCudaStateE,@function
_ZN2at6native12_GLOBAL__N_124fused_dropout_kernel_vecIN3c104HalfEfmLi1ELi16EhEEvNS_4cuda6detail10TensorInfoIKT_T1_EENS7_IS8_SA_EENS7_IT4_SA_EESA_T0_NS_15PhiloxCudaStateE: ; @_ZN2at6native12_GLOBAL__N_124fused_dropout_kernel_vecIN3c104HalfEfmLi1ELi16EhEEvNS_4cuda6detail10TensorInfoIKT_T1_EENS7_IS8_SA_EENS7_IT4_SA_EESA_T0_NS_15PhiloxCudaStateE
; %bb.0:
	s_clause 0x1
	s_load_b128 s[4:7], s[0:1], 0x4f0
	s_load_b32 s2, s[0:1], 0x508
	s_waitcnt lgkmcnt(0)
	v_dual_mov_b32 v1, s6 :: v_dual_mov_b32 v2, s7
	v_dual_mov_b32 v11, s5 :: v_dual_mov_b32 v10, s4
	s_bitcmp0_b32 s2, 0
	s_cbranch_scc1 .LBB98_2
; %bb.1:
	v_dual_mov_b32 v1, s6 :: v_dual_mov_b32 v2, s7
	v_dual_mov_b32 v3, s4 :: v_dual_mov_b32 v4, s5
	s_load_b64 s[2:3], s[0:1], 0x500
	flat_load_b64 v[1:2], v[1:2]
	flat_load_b64 v[10:11], v[3:4]
	s_waitcnt vmcnt(1) lgkmcnt(0)
	v_add_co_u32 v1, vcc_lo, v1, s2
	v_add_co_ci_u32_e32 v2, vcc_lo, s3, v2, vcc_lo
.LBB98_2:
	s_clause 0x1
	s_load_b32 s4, s[0:1], 0x51c
	s_load_b64 s[16:17], s[0:1], 0x4e0
	s_add_u32 s2, s0, 0x510
	s_addc_u32 s3, s1, 0
	s_mov_b32 s5, exec_lo
	s_waitcnt lgkmcnt(0)
	s_and_b32 s4, s4, 0xffff
	s_delay_alu instid0(SALU_CYCLE_1) | instskip(SKIP_1) | instid1(VALU_DEP_1)
	v_mad_u64_u32 v[8:9], null, s15, s4, v[0:1]
	v_mov_b32_e32 v9, 0
	v_lshlrev_b64 v[12:13], 4, v[8:9]
	s_delay_alu instid0(VALU_DEP_1)
	v_cmpx_gt_u64_e64 s[16:17], v[12:13]
	s_cbranch_execz .LBB98_45
; %bb.3:
	v_alignbit_b32 v21, v2, v1, 2
	v_mad_u64_u32 v[3:4], null, 0xcd9e8d57, v8, 0
	v_lshrrev_b32_e32 v42, 2, v2
	s_waitcnt vmcnt(0)
	v_mov_b32_e32 v18, v11
	v_mad_u64_u32 v[5:6], null, 0xd2511f53, v21, 0
	v_add_co_u32 v23, null, 0x9e3779b9, v10
	v_xor3_b32 v0, v10, v4, v42
	s_delay_alu instid0(VALU_DEP_4) | instskip(SKIP_2) | instid1(VALU_DEP_4)
	v_add_co_u32 v22, null, 0xbb67ae85, v18
	v_add_co_u32 v24, null, 0x3c6ef372, v10
	v_xor_b32_e32 v2, v6, v11
	v_mad_u64_u32 v[6:7], null, 0xd2511f53, v0, 0
	v_add_co_u32 v25, null, 0x76cf5d0a, v18
	s_delay_alu instid0(VALU_DEP_3) | instskip(SKIP_1) | instid1(VALU_DEP_4)
	v_mad_u64_u32 v[14:15], null, 0xcd9e8d57, v2, 0
	v_add_co_u32 v26, null, 0x32370b8f, v18
	v_xor3_b32 v0, v22, v7, v5
	v_add_co_u32 v27, null, 0xdaa66d2b, v10
	s_load_b32 s28, s[0:1], 0x4e8
	s_delay_alu instid0(VALU_DEP_4) | instskip(NEXT) | instid1(VALU_DEP_3)
	v_xor3_b32 v7, v15, v23, v3
	v_mad_u64_u32 v[2:3], null, 0xcd9e8d57, v0, 0
	v_add_co_u32 v28, null, 0x78dde6e4, v10
	s_delay_alu instid0(VALU_DEP_3) | instskip(SKIP_1) | instid1(VALU_DEP_4)
	v_mad_u64_u32 v[4:5], null, 0xd2511f53, v7, 0
	v_add_co_u32 v29, null, 0xed9eba14, v18
	v_xor3_b32 v0, v24, v3, v14
	v_add_co_u32 v30, null, 0xa9066899, v18
	v_add_co_u32 v31, null, 0x1715609d, v10
	v_xor3_b32 v3, v5, v25, v6
	s_delay_alu instid0(VALU_DEP_4) | instskip(SKIP_1) | instid1(VALU_DEP_3)
	v_mad_u64_u32 v[5:6], null, 0xd2511f53, v0, 0
	v_add_co_u32 v32, null, 0xb54cda56, v10
	v_mad_u64_u32 v[14:15], null, 0xcd9e8d57, v3, 0
	v_add_co_u32 v33, null, 0x5384540f, v10
	s_delay_alu instid0(VALU_DEP_4)
	v_xor3_b32 v0, v26, v6, v4
	s_waitcnt lgkmcnt(0)
	v_div_scale_f32 v20, vcc_lo, 1.0, s28, 1.0
	s_clause 0x2
	s_load_b64 s[18:19], s[0:1], 0x0
	s_load_b64 s[20:21], s[0:1], 0x1a0
	;; [unrolled: 1-line block ×3, first 2 shown]
	v_xor3_b32 v4, v15, v27, v2
	v_mad_u64_u32 v[2:3], null, 0xcd9e8d57, v0, 0
	s_load_b32 s0, s[2:3], 0x0
	v_add_co_u32 v36, null, 0xf1bbcdc8, v10
	s_delay_alu instid0(VALU_DEP_3) | instskip(SKIP_1) | instid1(VALU_DEP_4)
	v_mad_u64_u32 v[6:7], null, 0xd2511f53, v4, 0
	v_add_nc_u32_e32 v39, 0x8ff34781, v10
	v_xor3_b32 v0, v28, v3, v14
	s_mov_b32 s25, 0
	v_and_b32_e32 v38, 3, v1
	s_delay_alu instid0(VALU_DEP_4) | instskip(NEXT) | instid1(VALU_DEP_3)
	v_xor3_b32 v5, v7, v29, v5
	v_mad_u64_u32 v[3:4], null, 0xd2511f53, v0, 0
	v_div_scale_f32 v0, null, s28, s28, 1.0
	s_delay_alu instid0(VALU_DEP_3) | instskip(NEXT) | instid1(VALU_DEP_2)
	v_mad_u64_u32 v[14:15], null, 0xcd9e8d57, v5, 0
	v_rcp_f32_e32 v19, v0
	s_delay_alu instid0(VALU_DEP_3) | instskip(SKIP_2) | instid1(SALU_CYCLE_1)
	v_xor3_b32 v6, v30, v4, v6
	s_waitcnt lgkmcnt(0)
	s_mul_i32 s0, s0, s4
	s_lshl_b32 s24, s0, 4
	s_delay_alu instid0(VALU_DEP_2) | instskip(SKIP_2) | instid1(VALU_DEP_2)
	v_xor3_b32 v2, v15, v31, v2
	v_mad_u64_u32 v[4:5], null, 0xcd9e8d57, v6, 0
	s_lshl_b64 s[26:27], s[24:25], 1
	v_mad_u64_u32 v[6:7], null, 0xd2511f53, v2, 0
	s_waitcnt_depctr 0xfff
	v_fma_f32 v2, -v0, v19, 1.0
	v_xor3_b32 v5, v32, v5, v14
	s_delay_alu instid0(VALU_DEP_2) | instskip(SKIP_3) | instid1(VALU_DEP_3)
	v_fmac_f32_e32 v19, v2, v19
	v_add_co_u32 v34, null, 0x646e171e, v18
	v_add_co_u32 v35, null, 0x1fd5c5a3, v18
	;; [unrolled: 1-line block ×3, first 2 shown]
	v_xor3_b32 v7, v7, v34, v3
	v_mad_u64_u32 v[2:3], null, 0xd2511f53, v5, 0
	s_delay_alu instid0(VALU_DEP_2) | instskip(SKIP_1) | instid1(VALU_DEP_3)
	v_mad_u64_u32 v[14:15], null, 0xcd9e8d57, v7, 0
	v_mul_f32_e32 v7, v20, v19
	v_xor3_b32 v5, v35, v3, v6
	s_delay_alu instid0(VALU_DEP_3) | instskip(NEXT) | instid1(VALU_DEP_2)
	v_xor3_b32 v6, v15, v33, v4
	v_mad_u64_u32 v[3:4], null, 0xcd9e8d57, v5, 0
	s_delay_alu instid0(VALU_DEP_4) | instskip(NEXT) | instid1(VALU_DEP_3)
	v_fma_f32 v15, -v0, v7, v20
	v_mad_u64_u32 v[16:17], null, 0xd2511f53, v6, 0
	s_delay_alu instid0(VALU_DEP_2) | instskip(NEXT) | instid1(VALU_DEP_4)
	v_fmac_f32_e32 v7, v15, v19
	v_xor3_b32 v4, v36, v4, v14
	s_delay_alu instid0(VALU_DEP_3) | instskip(NEXT) | instid1(VALU_DEP_3)
	v_xor3_b32 v2, v17, v37, v2
	v_fma_f32 v14, -v0, v7, v20
	s_delay_alu instid0(VALU_DEP_3) | instskip(SKIP_1) | instid1(VALU_DEP_4)
	v_mad_u64_u32 v[0:1], null, 0xd2511f53, v4, 0
	v_add_nc_u32_e32 v40, 0x96a522ad, v11
	v_mad_u64_u32 v[5:6], null, 0xcd9e8d57, v2, 0
	s_delay_alu instid0(VALU_DEP_4) | instskip(SKIP_2) | instid1(VALU_DEP_3)
	v_div_fmas_f32 v2, v14, v19, v7
	v_lshlrev_b64 v[14:15], 5, v[8:9]
	v_mov_b32_e32 v7, v0
	v_div_fixup_f32 v41, v2, s28, 1.0
	v_xor3_b32 v4, v3, v6, v39
	v_xor3_b32 v6, v1, v16, v40
	s_branch .LBB98_6
.LBB98_4:                               ;   in Loop: Header=BB98_6 Depth=1
	s_or_b32 exec_lo, exec_lo, s1
	s_delay_alu instid0(VALU_DEP_1)
	v_mov_b32_e32 v18, v50
.LBB98_5:                               ;   in Loop: Header=BB98_6 Depth=1
	s_or_b32 exec_lo, exec_lo, s0
	v_add_co_u32 v49, vcc_lo, s18, v14
	v_add_co_ci_u32_e32 v50, vcc_lo, s19, v15, vcc_lo
	v_cvt_f32_u32_e32 v61, v48
	v_mov_b32_e32 v7, v19
	v_cvt_f32_u32_e32 v19, v45
	s_clause 0x1
	global_load_b128 v[53:56], v[49:50], off
	global_load_b128 v[57:60], v[49:50], off offset:16
	v_cvt_f32_u32_e32 v43, v43
	v_cvt_f32_u32_e32 v17, v17
	;; [unrolled: 1-line block ×8, first 2 shown]
	v_fmaak_f32 v19, 0x2f800000, v19, 0x2f800000
	v_fmaak_f32 v43, 0x2f800000, v43, 0x2f800000
	v_cvt_f32_u32_e32 v2, v2
	v_fmaak_f32 v0, 0x2f800000, v0, 0x2f800000
	v_cvt_f32_u32_e32 v3, v3
	v_cvt_f32_u32_e32 v45, v52
	;; [unrolled: 1-line block ×3, first 2 shown]
	v_dual_fmaak_f32 v17, 0x2f800000, v17, 0x2f800000 :: v_dual_fmaak_f32 v46, 0x2f800000, v46, 0x2f800000
	v_dual_fmaak_f32 v52, 0x2f800000, v61, 0x2f800000 :: v_dual_fmaak_f32 v61, 0x2f800000, v62, 0x2f800000
	v_fmaak_f32 v16, 0x2f800000, v16, 0x2f800000
	v_dual_fmaak_f32 v44, 0x2f800000, v44, 0x2f800000 :: v_dual_fmaak_f32 v1, 0x2f800000, v1, 0x2f800000
	v_fmaak_f32 v2, 0x2f800000, v2, 0x2f800000
	v_cmp_gt_f32_e64 s5, s28, v19
	v_cmp_gt_f32_e64 s7, s28, v43
	v_cvt_f32_u32_e32 v18, v18
	v_cvt_f32_u32_e32 v51, v51
	v_fmaak_f32 v3, 0x2f800000, v3, 0x2f800000
	v_dual_fmaak_f32 v45, 0x2f800000, v45, 0x2f800000 :: v_dual_fmaak_f32 v20, 0x2f800000, v20, 0x2f800000
	v_cmp_gt_f32_e64 s0, s28, v0
	v_cmp_gt_f32_e64 s1, s28, v1
	;; [unrolled: 1-line block ×6, first 2 shown]
	v_cndmask_b32_e64 v67, 0, 1, s5
	v_cndmask_b32_e64 v69, 0, 1, s7
	v_fmaak_f32 v18, 0x2f800000, v18, 0x2f800000
	v_cndmask_b32_e64 v0, 0, 1.0, s0
	v_fmaak_f32 v51, 0x2f800000, v51, 0x2f800000
	v_cmp_gt_f32_e64 s2, s28, v2
	v_cmp_gt_f32_e64 s3, s28, v3
	v_cmp_gt_f32_e64 s8, s28, v17
	v_cmp_gt_f32_e64 s10, s28, v61
	v_cmp_gt_f32_e64 s13, s28, v45
	v_cmp_gt_f32_e64 s15, s28, v20
	v_cndmask_b32_e64 v2, 0, 1, s1
	v_cndmask_b32_e64 v66, 0, 1, s4
	;; [unrolled: 1-line block ×5, first 2 shown]
	v_lshlrev_b16 v67, 8, v67
	v_lshlrev_b16 v69, 8, v69
	v_cmp_gt_f32_e64 s12, s28, v18
	v_cmp_gt_f32_e64 s14, s28, v51
	v_cndmask_b32_e64 v1, 0, 1, s0
	v_cndmask_b32_e64 v51, 0, 1, s3
	;; [unrolled: 1-line block ×6, first 2 shown]
	v_lshlrev_b16 v71, 8, v71
	v_lshlrev_b16 v75, 8, v75
	;; [unrolled: 1-line block ×3, first 2 shown]
	v_or_b32_e32 v66, v66, v67
	v_or_b32_e32 v67, v68, v69
	v_cndmask_b32_e64 v43, 0, 1.0, s7
	v_cndmask_b32_e64 v17, 0, 1.0, s8
	v_cndmask_b32_e64 v3, 0, 1, s2
	v_cndmask_b32_e64 v76, 0, 1, s12
	;; [unrolled: 1-line block ×3, first 2 shown]
	v_lshlrev_b16 v73, 8, v73
	v_lshlrev_b16 v74, 8, v74
	;; [unrolled: 1-line block ×3, first 2 shown]
	v_or_b32_e32 v70, v70, v71
	v_or_b32_e32 v71, v72, v75
	;; [unrolled: 1-line block ×3, first 2 shown]
	v_and_b32_e32 v66, 0xffff, v66
	v_lshlrev_b32_e32 v67, 16, v67
	v_cndmask_b32_e64 v63, 0, 1.0, s2
	v_cndmask_b32_e64 v16, 0, 1.0, s4
	;; [unrolled: 1-line block ×3, first 2 shown]
	v_or_b32_e32 v73, v76, v73
	v_or_b32_e32 v74, v77, v74
	;; [unrolled: 1-line block ×3, first 2 shown]
	v_and_b32_e32 v68, 0xffff, v70
	v_and_b32_e32 v70, 0xffff, v1
	v_or_b32_e32 v1, v66, v67
	v_cndmask_b32_e64 v62, 0, 1.0, s1
	v_cndmask_b32_e64 v44, 0, 1.0, s6
	;; [unrolled: 1-line block ×3, first 2 shown]
	v_lshlrev_b32_e32 v51, 16, v74
	v_add_co_u32 v47, vcc_lo, s20, v14
	v_add_co_ci_u32_e32 v48, vcc_lo, s21, v15, vcc_lo
	v_cndmask_b32_e64 v18, 0, 1.0, s12
	v_add_co_u32 v49, vcc_lo, s22, v12
	v_add_co_ci_u32_e32 v50, vcc_lo, s23, v13, vcc_lo
	v_add_co_u32 v12, vcc_lo, v12, s24
	v_cndmask_b32_e64 v64, 0, 1.0, s3
	v_cndmask_b32_e64 v19, 0, 1.0, s5
	;; [unrolled: 1-line block ×6, first 2 shown]
	v_add_co_ci_u32_e32 v13, vcc_lo, 0, v13, vcc_lo
	s_add_u32 s18, s18, s26
	s_addc_u32 s19, s19, s27
	s_add_u32 s20, s20, s26
	s_delay_alu instid0(VALU_DEP_1)
	v_cmp_le_u64_e32 vcc_lo, s[16:17], v[12:13]
	s_addc_u32 s21, s21, s27
	s_or_b32 s25, vcc_lo, s25
	s_waitcnt vmcnt(1)
	v_lshrrev_b32_e32 v67, 16, v55
	s_waitcnt vmcnt(0)
	v_lshrrev_b32_e32 v72, 16, v58
	v_cvt_f32_f16_e32 v55, v55
	v_cvt_f32_f16_e32 v58, v58
	v_lshlrev_b32_e32 v69, 16, v71
	v_lshlrev_b32_e32 v71, 16, v2
	v_lshrrev_b32_e32 v74, 16, v60
	v_cvt_f32_f16_e32 v60, v60
	v_dual_mul_f32 v55, v16, v55 :: v_dual_mul_f32 v58, v61, v58
	v_or_b32_e32 v2, v68, v69
	v_lshrrev_b32_e32 v68, 16, v56
	v_cvt_f32_f16_e32 v56, v56
	v_and_b32_e32 v3, 0xffff, v73
	v_lshrrev_b32_e32 v66, 16, v54
	v_cvt_f32_f16_e32 v54, v54
	v_mul_f32_e32 v60, v45, v60
	v_mul_f32_e32 v44, v44, v56
	v_or_b32_e32 v3, v3, v51
	v_lshrrev_b32_e32 v51, 16, v53
	v_cvt_f32_f16_e32 v53, v53
	v_lshrrev_b32_e32 v69, 16, v57
	v_lshrrev_b32_e32 v73, 16, v59
	v_cvt_f32_f16_e32 v57, v57
	v_cvt_f32_f16_e32 v59, v59
	v_mul_f32_e32 v0, v0, v53
	v_cvt_f32_f16_e32 v51, v51
	v_mul_f32_e32 v53, v63, v54
	v_cvt_f32_f16_e32 v54, v66
	v_cvt_f32_f16_e32 v63, v67
	;; [unrolled: 1-line block ×3, first 2 shown]
	v_mul_f32_e32 v57, v17, v57
	v_cvt_f32_f16_e32 v66, v69
	v_cvt_f32_f16_e32 v61, v72
	v_mul_f32_e32 v59, v18, v59
	v_cvt_f32_f16_e32 v67, v73
	v_cvt_f32_f16_e32 v68, v74
	v_mul_f32_e32 v52, v52, v66
	v_fma_mixlo_f16 v16, v41, v0, 0
	v_mul_f32_e32 v0, v62, v51
	v_fma_mixlo_f16 v17, v41, v53, 0
	;; [unrolled: 2-line block ×3, first 2 shown]
	v_dual_mul_f32 v53, v19, v63 :: v_dual_mul_f32 v20, v20, v68
	v_fma_mixlo_f16 v19, v41, v44, 0
	v_mul_f32_e32 v54, v43, v56
	v_fma_mixlo_f16 v43, v41, v57, 0
	v_fma_mixlo_f16 v44, v41, v58, 0
	v_mul_f32_e32 v55, v46, v61
	v_fma_mixlo_f16 v45, v41, v59, 0
	v_mul_f32_e32 v56, v65, v67
	v_fma_mixlo_f16 v46, v41, v60, 0
	v_fma_mixhi_f16 v19, v41, v54, 0
	v_fma_mixhi_f16 v18, v41, v53, 0
	;; [unrolled: 1-line block ×8, first 2 shown]
	v_or_b32_e32 v0, v70, v71
	s_clause 0x1
	global_store_b128 v[47:48], v[16:19], off
	global_store_b128 v[47:48], v[43:46], off offset:16
	global_store_b128 v[49:50], v[0:3], off
	s_waitcnt_vscnt null, 0x0
	s_barrier
	buffer_gl0_inv
	s_and_not1_b32 exec_lo, exec_lo, s25
	s_cbranch_execz .LBB98_45
.LBB98_6:                               ; =>This Inner Loop Header: Depth=1
	v_add_co_u32 v2, vcc_lo, v21, 1
	s_delay_alu instid0(VALU_DEP_1) | instskip(SKIP_2) | instid1(VALU_DEP_1)
	v_cndmask_b32_e64 v0, 0, 1, vcc_lo
	v_add_co_ci_u32_e32 v18, vcc_lo, 0, v42, vcc_lo
	s_mov_b32 s0, exec_lo
	v_cmp_eq_u32_e32 vcc_lo, 0, v18
	s_delay_alu instid0(VALU_DEP_3) | instskip(SKIP_1) | instid1(VALU_DEP_2)
	v_cndmask_b32_e32 v3, 0, v0, vcc_lo
	v_mad_u64_u32 v[0:1], null, 0xd2511f53, v2, 0
	v_add_nc_u32_e32 v20, v3, v8
	s_delay_alu instid0(VALU_DEP_2) | instskip(NEXT) | instid1(VALU_DEP_2)
	v_xor_b32_e32 v8, v1, v11
	v_cmp_eq_u32_e32 vcc_lo, 0, v20
	v_cndmask_b32_e32 v3, 0, v3, vcc_lo
	v_mad_u64_u32 v[1:2], null, 0xcd9e8d57, v20, 0
	s_delay_alu instid0(VALU_DEP_2) | instskip(NEXT) | instid1(VALU_DEP_2)
	v_add_nc_u32_e32 v42, v3, v9
	v_xor3_b32 v16, v2, v10, v18
	s_delay_alu instid0(VALU_DEP_2) | instskip(NEXT) | instid1(VALU_DEP_1)
	v_xor_b32_e32 v8, v42, v8
	v_mad_u64_u32 v[2:3], null, 0xcd9e8d57, v8, 0
	s_delay_alu instid0(VALU_DEP_3) | instskip(NEXT) | instid1(VALU_DEP_2)
	v_mad_u64_u32 v[8:9], null, 0xd2511f53, v16, 0
	v_xor3_b32 v3, v23, v3, v1
	s_delay_alu instid0(VALU_DEP_2) | instskip(NEXT) | instid1(VALU_DEP_2)
	v_xor3_b32 v9, v22, v9, v0
	v_mad_u64_u32 v[0:1], null, 0xd2511f53, v3, 0
	s_delay_alu instid0(VALU_DEP_2) | instskip(NEXT) | instid1(VALU_DEP_2)
	v_mad_u64_u32 v[16:17], null, 0xcd9e8d57, v9, 0
	v_xor3_b32 v3, v25, v1, v8
	s_delay_alu instid0(VALU_DEP_2) | instskip(NEXT) | instid1(VALU_DEP_2)
	v_xor3_b32 v17, v24, v17, v2
	v_mad_u64_u32 v[1:2], null, 0xcd9e8d57, v3, 0
	s_delay_alu instid0(VALU_DEP_2) | instskip(NEXT) | instid1(VALU_DEP_2)
	;; [unrolled: 6-line block ×8, first 2 shown]
	v_mad_u64_u32 v[16:17], null, 0xd2511f53, v2, 0
	v_xor3_b32 v19, v9, v43, v39
	s_delay_alu instid0(VALU_DEP_2)
	v_xor3_b32 v9, v17, v0, v40
                                        ; implicit-def: $vgpr0_vgpr1_vgpr2_vgpr3
	v_cmpx_lt_i32_e32 1, v38
	s_xor_b32 s0, exec_lo, s0
	s_cbranch_execz .LBB98_12
; %bb.7:                                ;   in Loop: Header=BB98_6 Depth=1
	s_mov_b32 s1, exec_lo
                                        ; implicit-def: $vgpr0_vgpr1_vgpr2_vgpr3
	v_cmpx_lt_i32_e32 2, v38
	s_xor_b32 s1, exec_lo, s1
; %bb.8:                                ;   in Loop: Header=BB98_6 Depth=1
	v_mov_b32_e32 v6, v7
	v_mov_b32_e32 v7, v19
	s_delay_alu instid0(VALU_DEP_1)
	v_dual_mov_b32 v0, v6 :: v_dual_mov_b32 v1, v7
	v_dual_mov_b32 v2, v8 :: v_dual_mov_b32 v3, v9
                                        ; implicit-def: $vgpr4_vgpr5_vgpr6_vgpr7
; %bb.9:                                ;   in Loop: Header=BB98_6 Depth=1
	s_and_not1_saveexec_b32 s1, s1
; %bb.10:                               ;   in Loop: Header=BB98_6 Depth=1
	v_dual_mov_b32 v0, v6 :: v_dual_mov_b32 v1, v7
	v_dual_mov_b32 v2, v19 :: v_dual_mov_b32 v3, v8
; %bb.11:                               ;   in Loop: Header=BB98_6 Depth=1
	s_or_b32 exec_lo, exec_lo, s1
                                        ; implicit-def: $vgpr4_vgpr5_vgpr6_vgpr7
.LBB98_12:                              ;   in Loop: Header=BB98_6 Depth=1
	s_and_not1_saveexec_b32 s0, s0
	s_cbranch_execz .LBB98_16
; %bb.13:                               ;   in Loop: Header=BB98_6 Depth=1
	s_mov_b32 s1, exec_lo
	v_cmpx_eq_u32_e32 1, v38
; %bb.14:                               ;   in Loop: Header=BB98_6 Depth=1
	v_dual_mov_b32 v4, v5 :: v_dual_mov_b32 v5, v6
	v_mov_b32_e32 v6, v7
	v_mov_b32_e32 v7, v19
; %bb.15:                               ;   in Loop: Header=BB98_6 Depth=1
	s_or_b32 exec_lo, exec_lo, s1
	s_delay_alu instid0(VALU_DEP_3) | instskip(NEXT) | instid1(VALU_DEP_2)
	v_dual_mov_b32 v0, v4 :: v_dual_mov_b32 v1, v5
	v_dual_mov_b32 v2, v6 :: v_dual_mov_b32 v3, v7
.LBB98_16:                              ;   in Loop: Header=BB98_6 Depth=1
	s_or_b32 exec_lo, exec_lo, s0
	v_add_nc_u32_e32 v6, 2, v21
	s_mov_b32 s0, exec_lo
	s_delay_alu instid0(VALU_DEP_1) | instskip(SKIP_2) | instid1(VALU_DEP_1)
	v_cmp_eq_u32_e32 vcc_lo, 0, v6
	v_cndmask_b32_e64 v4, 0, 1, vcc_lo
	v_add_co_ci_u32_e32 v7, vcc_lo, 0, v18, vcc_lo
	v_cmp_eq_u32_e32 vcc_lo, 0, v7
	s_delay_alu instid0(VALU_DEP_3) | instskip(SKIP_1) | instid1(VALU_DEP_2)
	v_cndmask_b32_e32 v17, 0, v4, vcc_lo
	v_mad_u64_u32 v[4:5], null, 0xd2511f53, v6, 0
	v_add_nc_u32_e32 v20, v17, v20
	s_delay_alu instid0(VALU_DEP_2) | instskip(NEXT) | instid1(VALU_DEP_2)
	v_xor_b32_e32 v5, v5, v11
	v_cmp_eq_u32_e32 vcc_lo, 0, v20
	v_cndmask_b32_e32 v6, 0, v17, vcc_lo
	v_mad_u64_u32 v[17:18], null, 0xcd9e8d57, v20, 0
	s_delay_alu instid0(VALU_DEP_2) | instskip(NEXT) | instid1(VALU_DEP_2)
	v_add_nc_u32_e32 v42, v6, v42
	v_xor3_b32 v18, v18, v10, v7
	s_delay_alu instid0(VALU_DEP_2) | instskip(NEXT) | instid1(VALU_DEP_2)
	v_xor_b32_e32 v45, v42, v5
	v_mad_u64_u32 v[5:6], null, 0xd2511f53, v18, 0
	s_delay_alu instid0(VALU_DEP_2) | instskip(NEXT) | instid1(VALU_DEP_2)
	v_mad_u64_u32 v[43:44], null, 0xcd9e8d57, v45, 0
	v_xor3_b32 v4, v22, v6, v4
	s_delay_alu instid0(VALU_DEP_2) | instskip(NEXT) | instid1(VALU_DEP_2)
	v_xor3_b32 v6, v23, v44, v17
	v_mad_u64_u32 v[17:18], null, 0xcd9e8d57, v4, 0
	s_delay_alu instid0(VALU_DEP_2) | instskip(NEXT) | instid1(VALU_DEP_2)
	v_mad_u64_u32 v[44:45], null, 0xd2511f53, v6, 0
	v_xor3_b32 v6, v24, v18, v43
	s_delay_alu instid0(VALU_DEP_2) | instskip(NEXT) | instid1(VALU_DEP_2)
	v_xor3_b32 v18, v25, v45, v5
	;; [unrolled: 6-line block ×7, first 2 shown]
	v_mad_u64_u32 v[44:45], null, 0xcd9e8d57, v6, 0
	s_delay_alu instid0(VALU_DEP_2) | instskip(NEXT) | instid1(VALU_DEP_2)
	v_mad_u64_u32 v[46:47], null, 0xd2511f53, v4, 0
	v_xor3_b32 v4, v36, v45, v43
                                        ; implicit-def: $vgpr43
                                        ; implicit-def: $vgpr45
	s_delay_alu instid0(VALU_DEP_2) | instskip(NEXT) | instid1(VALU_DEP_2)
	v_xor3_b32 v6, v37, v47, v5
	v_mad_u64_u32 v[17:18], null, 0xd2511f53, v4, 0
	s_delay_alu instid0(VALU_DEP_2) | instskip(NEXT) | instid1(VALU_DEP_2)
	v_mad_u64_u32 v[4:5], null, 0xcd9e8d57, v6, 0
	v_xor3_b32 v6, v18, v46, v40
	s_delay_alu instid0(VALU_DEP_2)
	v_xor3_b32 v5, v5, v44, v39
                                        ; implicit-def: $vgpr44
	v_cmpx_lt_i32_e32 1, v38
	s_xor_b32 s0, exec_lo, s0
	s_cbranch_execz .LBB98_22
; %bb.17:                               ;   in Loop: Header=BB98_6 Depth=1
	s_mov_b32 s1, exec_lo
	v_cmpx_lt_i32_e32 2, v38
	s_xor_b32 s1, exec_lo, s1
; %bb.18:                               ;   in Loop: Header=BB98_6 Depth=1
                                        ; implicit-def: $vgpr9
; %bb.19:                               ;   in Loop: Header=BB98_6 Depth=1
	s_delay_alu instid0(SALU_CYCLE_1)
	s_or_saveexec_b32 s1, s1
	v_dual_mov_b32 v43, v6 :: v_dual_mov_b32 v44, v4
	v_mov_b32_e32 v45, v5
	s_xor_b32 exec_lo, exec_lo, s1
; %bb.20:                               ;   in Loop: Header=BB98_6 Depth=1
	v_dual_mov_b32 v43, v4 :: v_dual_mov_b32 v44, v5
	v_dual_mov_b32 v45, v16 :: v_dual_mov_b32 v16, v9
; %bb.21:                               ;   in Loop: Header=BB98_6 Depth=1
	s_or_b32 exec_lo, exec_lo, s1
                                        ; implicit-def: $vgpr9
                                        ; implicit-def: $vgpr19
.LBB98_22:                              ;   in Loop: Header=BB98_6 Depth=1
	s_and_not1_saveexec_b32 s0, s0
	s_cbranch_execz .LBB98_26
; %bb.23:                               ;   in Loop: Header=BB98_6 Depth=1
	s_delay_alu instid0(VALU_DEP_1)
	v_dual_mov_b32 v43, v16 :: v_dual_mov_b32 v44, v9
	v_mov_b32_e32 v45, v8
	s_mov_b32 s1, exec_lo
	v_cmpx_eq_u32_e32 1, v38
; %bb.24:                               ;   in Loop: Header=BB98_6 Depth=1
	v_dual_mov_b32 v43, v5 :: v_dual_mov_b32 v44, v16
	v_mov_b32_e32 v45, v9
	v_mov_b32_e32 v19, v8
; %bb.25:                               ;   in Loop: Header=BB98_6 Depth=1
	s_or_b32 exec_lo, exec_lo, s1
	s_delay_alu instid0(VALU_DEP_1)
	v_mov_b32_e32 v16, v19
.LBB98_26:                              ;   in Loop: Header=BB98_6 Depth=1
	s_or_b32 exec_lo, exec_lo, s0
	v_add_nc_u32_e32 v18, 3, v21
	s_mov_b32 s0, exec_lo
	s_delay_alu instid0(VALU_DEP_1) | instskip(SKIP_2) | instid1(VALU_DEP_1)
	v_cmp_eq_u32_e32 vcc_lo, 0, v18
	v_cndmask_b32_e64 v8, 0, 1, vcc_lo
	v_add_co_ci_u32_e32 v9, vcc_lo, 0, v7, vcc_lo
	v_cmp_eq_u32_e32 vcc_lo, 0, v9
	s_delay_alu instid0(VALU_DEP_3) | instskip(SKIP_1) | instid1(VALU_DEP_2)
	v_cndmask_b32_e32 v19, 0, v8, vcc_lo
	v_mad_u64_u32 v[7:8], null, 0xd2511f53, v18, 0
	v_add_nc_u32_e32 v20, v19, v20
	s_delay_alu instid0(VALU_DEP_2) | instskip(NEXT) | instid1(VALU_DEP_2)
	v_xor_b32_e32 v8, v8, v11
	v_cmp_eq_u32_e32 vcc_lo, 0, v20
	v_cndmask_b32_e32 v46, 0, v19, vcc_lo
	v_mad_u64_u32 v[18:19], null, 0xcd9e8d57, v20, 0
	s_delay_alu instid0(VALU_DEP_2) | instskip(NEXT) | instid1(VALU_DEP_2)
	v_add_nc_u32_e32 v51, v46, v42
	v_xor3_b32 v19, v19, v10, v9
	s_delay_alu instid0(VALU_DEP_2) | instskip(NEXT) | instid1(VALU_DEP_2)
	v_xor_b32_e32 v8, v51, v8
	v_mad_u64_u32 v[46:47], null, 0xd2511f53, v19, 0
	s_delay_alu instid0(VALU_DEP_2) | instskip(NEXT) | instid1(VALU_DEP_2)
	v_mad_u64_u32 v[48:49], null, 0xcd9e8d57, v8, 0
	v_xor3_b32 v19, v22, v47, v7
	s_delay_alu instid0(VALU_DEP_2) | instskip(NEXT) | instid1(VALU_DEP_2)
	v_xor3_b32 v42, v23, v49, v18
	v_mad_u64_u32 v[7:8], null, 0xcd9e8d57, v19, 0
	s_delay_alu instid0(VALU_DEP_2) | instskip(NEXT) | instid1(VALU_DEP_2)
	v_mad_u64_u32 v[18:19], null, 0xd2511f53, v42, 0
	v_xor3_b32 v8, v24, v8, v48
	s_delay_alu instid0(VALU_DEP_2) | instskip(NEXT) | instid1(VALU_DEP_2)
	v_xor3_b32 v19, v25, v19, v46
	;; [unrolled: 6-line block ×6, first 2 shown]
	v_mad_u64_u32 v[46:47], null, 0xd2511f53, v8, 0
	s_delay_alu instid0(VALU_DEP_2) | instskip(NEXT) | instid1(VALU_DEP_2)
	v_mad_u64_u32 v[48:49], null, 0xcd9e8d57, v19, 0
	v_xor3_b32 v8, v35, v47, v18
                                        ; implicit-def: $vgpr47
	s_delay_alu instid0(VALU_DEP_2) | instskip(NEXT) | instid1(VALU_DEP_2)
	v_xor3_b32 v7, v33, v49, v7
	v_mad_u64_u32 v[52:53], null, 0xcd9e8d57, v8, 0
	s_delay_alu instid0(VALU_DEP_2) | instskip(NEXT) | instid1(VALU_DEP_2)
	v_mad_u64_u32 v[49:50], null, 0xd2511f53, v7, 0
	v_xor3_b32 v7, v36, v53, v48
                                        ; implicit-def: $vgpr48
	s_delay_alu instid0(VALU_DEP_2) | instskip(NEXT) | instid1(VALU_DEP_2)
	v_xor3_b32 v42, v37, v50, v46
                                        ; implicit-def: $vgpr46
	v_mad_u64_u32 v[18:19], null, 0xd2511f53, v7, 0
	s_delay_alu instid0(VALU_DEP_2) | instskip(NEXT) | instid1(VALU_DEP_2)
	v_mad_u64_u32 v[7:8], null, 0xcd9e8d57, v42, 0
	v_xor3_b32 v49, v19, v49, v40
	s_delay_alu instid0(VALU_DEP_2)
	v_xor3_b32 v50, v8, v52, v39
	v_cmpx_lt_i32_e32 1, v38
	s_xor_b32 s0, exec_lo, s0
	s_cbranch_execz .LBB98_32
; %bb.27:                               ;   in Loop: Header=BB98_6 Depth=1
	s_mov_b32 s1, exec_lo
	v_cmpx_lt_i32_e32 2, v38
	s_xor_b32 s1, exec_lo, s1
; %bb.28:                               ;   in Loop: Header=BB98_6 Depth=1
                                        ; implicit-def: $vgpr6
; %bb.29:                               ;   in Loop: Header=BB98_6 Depth=1
	s_delay_alu instid0(SALU_CYCLE_1)
	s_or_saveexec_b32 s1, s1
	v_dual_mov_b32 v46, v49 :: v_dual_mov_b32 v47, v7
	v_mov_b32_e32 v48, v50
	s_xor_b32 exec_lo, exec_lo, s1
; %bb.30:                               ;   in Loop: Header=BB98_6 Depth=1
	v_dual_mov_b32 v46, v7 :: v_dual_mov_b32 v47, v50
	v_dual_mov_b32 v48, v17 :: v_dual_mov_b32 v17, v6
; %bb.31:                               ;   in Loop: Header=BB98_6 Depth=1
	s_or_b32 exec_lo, exec_lo, s1
                                        ; implicit-def: $vgpr6
                                        ; implicit-def: $vgpr4
                                        ; implicit-def: $vgpr5
.LBB98_32:                              ;   in Loop: Header=BB98_6 Depth=1
	s_and_not1_saveexec_b32 s0, s0
	s_cbranch_execz .LBB98_36
; %bb.33:                               ;   in Loop: Header=BB98_6 Depth=1
	s_delay_alu instid0(VALU_DEP_1)
	v_dual_mov_b32 v46, v17 :: v_dual_mov_b32 v47, v6
	v_mov_b32_e32 v48, v4
	s_mov_b32 s1, exec_lo
	v_cmpx_eq_u32_e32 1, v38
; %bb.34:                               ;   in Loop: Header=BB98_6 Depth=1
	v_dual_mov_b32 v46, v50 :: v_dual_mov_b32 v47, v17
	v_dual_mov_b32 v48, v6 :: v_dual_mov_b32 v5, v4
; %bb.35:                               ;   in Loop: Header=BB98_6 Depth=1
	s_or_b32 exec_lo, exec_lo, s1
	s_delay_alu instid0(VALU_DEP_1)
	v_mov_b32_e32 v17, v5
.LBB98_36:                              ;   in Loop: Header=BB98_6 Depth=1
	s_or_b32 exec_lo, exec_lo, s0
	v_add_nc_u32_e32 v21, 4, v21
	s_mov_b32 s0, exec_lo
	s_delay_alu instid0(VALU_DEP_1) | instskip(SKIP_2) | instid1(VALU_DEP_1)
	v_cmp_eq_u32_e32 vcc_lo, 0, v21
	v_cndmask_b32_e64 v4, 0, 1, vcc_lo
	v_add_co_ci_u32_e32 v42, vcc_lo, 0, v9, vcc_lo
	v_cmp_eq_u32_e32 vcc_lo, 0, v42
	s_delay_alu instid0(VALU_DEP_3) | instskip(NEXT) | instid1(VALU_DEP_1)
	v_cndmask_b32_e32 v4, 0, v4, vcc_lo
	v_add_nc_u32_e32 v8, v4, v20
	s_delay_alu instid0(VALU_DEP_1) | instskip(SKIP_2) | instid1(VALU_DEP_2)
	v_cmp_eq_u32_e32 vcc_lo, 0, v8
	v_mad_u64_u32 v[19:20], null, 0xcd9e8d57, v8, 0
	v_cndmask_b32_e32 v4, 0, v4, vcc_lo
	v_xor3_b32 v20, v20, v10, v42
	s_delay_alu instid0(VALU_DEP_2) | instskip(SKIP_1) | instid1(VALU_DEP_1)
	v_add_nc_u32_e32 v9, v4, v51
	v_mad_u64_u32 v[4:5], null, 0xd2511f53, v21, 0
	v_xor_b32_e32 v5, v5, v11
	s_delay_alu instid0(VALU_DEP_1) | instskip(NEXT) | instid1(VALU_DEP_1)
	v_xor_b32_e32 v51, v9, v5
	v_mad_u64_u32 v[5:6], null, 0xcd9e8d57, v51, 0
	v_mad_u64_u32 v[51:52], null, 0xd2511f53, v20, 0
	s_delay_alu instid0(VALU_DEP_2) | instskip(NEXT) | instid1(VALU_DEP_2)
	v_xor3_b32 v6, v23, v6, v19
	v_xor3_b32 v4, v22, v52, v4
	s_delay_alu instid0(VALU_DEP_2) | instskip(NEXT) | instid1(VALU_DEP_2)
	v_mad_u64_u32 v[19:20], null, 0xd2511f53, v6, 0
	v_mad_u64_u32 v[52:53], null, 0xcd9e8d57, v4, 0
	s_delay_alu instid0(VALU_DEP_2) | instskip(NEXT) | instid1(VALU_DEP_2)
	v_xor3_b32 v6, v25, v20, v51
	v_xor3_b32 v20, v24, v53, v5
	s_delay_alu instid0(VALU_DEP_2) | instskip(NEXT) | instid1(VALU_DEP_2)
	;; [unrolled: 6-line block ×8, first 2 shown]
	v_mad_u64_u32 v[5:6], null, 0xcd9e8d57, v4, 0
	v_mad_u64_u32 v[19:20], null, 0xd2511f53, v51, 0
                                        ; implicit-def: $vgpr51
	s_delay_alu instid0(VALU_DEP_2) | instskip(NEXT) | instid1(VALU_DEP_2)
	v_xor3_b32 v4, v6, v54, v39
	v_xor3_b32 v6, v20, v52, v40
                                        ; implicit-def: $vgpr20
                                        ; implicit-def: $vgpr52
	v_cmpx_lt_i32_e32 1, v38
	s_xor_b32 s0, exec_lo, s0
	s_cbranch_execz .LBB98_42
; %bb.37:                               ;   in Loop: Header=BB98_6 Depth=1
	s_mov_b32 s1, exec_lo
	v_cmpx_lt_i32_e32 2, v38
	s_xor_b32 s1, exec_lo, s1
; %bb.38:                               ;   in Loop: Header=BB98_6 Depth=1
                                        ; implicit-def: $vgpr49
; %bb.39:                               ;   in Loop: Header=BB98_6 Depth=1
	s_delay_alu instid0(SALU_CYCLE_1)
	s_or_saveexec_b32 s1, s1
	v_dual_mov_b32 v20, v6 :: v_dual_mov_b32 v51, v5
	v_mov_b32_e32 v52, v4
	s_xor_b32 exec_lo, exec_lo, s1
; %bb.40:                               ;   in Loop: Header=BB98_6 Depth=1
	v_dual_mov_b32 v20, v5 :: v_dual_mov_b32 v51, v4
	v_mov_b32_e32 v52, v18
	v_mov_b32_e32 v18, v49
; %bb.41:                               ;   in Loop: Header=BB98_6 Depth=1
	s_or_b32 exec_lo, exec_lo, s1
                                        ; implicit-def: $vgpr49
                                        ; implicit-def: $vgpr7
                                        ; implicit-def: $vgpr50
.LBB98_42:                              ;   in Loop: Header=BB98_6 Depth=1
	s_and_not1_saveexec_b32 s0, s0
	s_cbranch_execz .LBB98_5
; %bb.43:                               ;   in Loop: Header=BB98_6 Depth=1
	s_delay_alu instid0(VALU_DEP_1)
	v_dual_mov_b32 v20, v18 :: v_dual_mov_b32 v51, v49
	v_mov_b32_e32 v52, v7
	s_mov_b32 s1, exec_lo
	v_cmpx_eq_u32_e32 1, v38
	s_cbranch_execz .LBB98_4
; %bb.44:                               ;   in Loop: Header=BB98_6 Depth=1
	v_dual_mov_b32 v20, v4 :: v_dual_mov_b32 v51, v18
	v_mov_b32_e32 v52, v49
	v_mov_b32_e32 v50, v7
	s_branch .LBB98_4
.LBB98_45:
	s_endpgm
	.section	.rodata,"a",@progbits
	.p2align	6, 0x0
	.amdhsa_kernel _ZN2at6native12_GLOBAL__N_124fused_dropout_kernel_vecIN3c104HalfEfmLi1ELi16EhEEvNS_4cuda6detail10TensorInfoIKT_T1_EENS7_IS8_SA_EENS7_IT4_SA_EESA_T0_NS_15PhiloxCudaStateE
		.amdhsa_group_segment_fixed_size 0
		.amdhsa_private_segment_fixed_size 0
		.amdhsa_kernarg_size 1552
		.amdhsa_user_sgpr_count 15
		.amdhsa_user_sgpr_dispatch_ptr 0
		.amdhsa_user_sgpr_queue_ptr 0
		.amdhsa_user_sgpr_kernarg_segment_ptr 1
		.amdhsa_user_sgpr_dispatch_id 0
		.amdhsa_user_sgpr_private_segment_size 0
		.amdhsa_wavefront_size32 1
		.amdhsa_uses_dynamic_stack 0
		.amdhsa_enable_private_segment 0
		.amdhsa_system_sgpr_workgroup_id_x 1
		.amdhsa_system_sgpr_workgroup_id_y 0
		.amdhsa_system_sgpr_workgroup_id_z 0
		.amdhsa_system_sgpr_workgroup_info 0
		.amdhsa_system_vgpr_workitem_id 0
		.amdhsa_next_free_vgpr 78
		.amdhsa_next_free_sgpr 29
		.amdhsa_reserve_vcc 1
		.amdhsa_float_round_mode_32 0
		.amdhsa_float_round_mode_16_64 0
		.amdhsa_float_denorm_mode_32 3
		.amdhsa_float_denorm_mode_16_64 3
		.amdhsa_dx10_clamp 1
		.amdhsa_ieee_mode 1
		.amdhsa_fp16_overflow 0
		.amdhsa_workgroup_processor_mode 1
		.amdhsa_memory_ordered 1
		.amdhsa_forward_progress 0
		.amdhsa_shared_vgpr_count 0
		.amdhsa_exception_fp_ieee_invalid_op 0
		.amdhsa_exception_fp_denorm_src 0
		.amdhsa_exception_fp_ieee_div_zero 0
		.amdhsa_exception_fp_ieee_overflow 0
		.amdhsa_exception_fp_ieee_underflow 0
		.amdhsa_exception_fp_ieee_inexact 0
		.amdhsa_exception_int_div_zero 0
	.end_amdhsa_kernel
	.section	.text._ZN2at6native12_GLOBAL__N_124fused_dropout_kernel_vecIN3c104HalfEfmLi1ELi16EhEEvNS_4cuda6detail10TensorInfoIKT_T1_EENS7_IS8_SA_EENS7_IT4_SA_EESA_T0_NS_15PhiloxCudaStateE,"axG",@progbits,_ZN2at6native12_GLOBAL__N_124fused_dropout_kernel_vecIN3c104HalfEfmLi1ELi16EhEEvNS_4cuda6detail10TensorInfoIKT_T1_EENS7_IS8_SA_EENS7_IT4_SA_EESA_T0_NS_15PhiloxCudaStateE,comdat
.Lfunc_end98:
	.size	_ZN2at6native12_GLOBAL__N_124fused_dropout_kernel_vecIN3c104HalfEfmLi1ELi16EhEEvNS_4cuda6detail10TensorInfoIKT_T1_EENS7_IS8_SA_EENS7_IT4_SA_EESA_T0_NS_15PhiloxCudaStateE, .Lfunc_end98-_ZN2at6native12_GLOBAL__N_124fused_dropout_kernel_vecIN3c104HalfEfmLi1ELi16EhEEvNS_4cuda6detail10TensorInfoIKT_T1_EENS7_IS8_SA_EENS7_IT4_SA_EESA_T0_NS_15PhiloxCudaStateE
                                        ; -- End function
	.section	.AMDGPU.csdata,"",@progbits
; Kernel info:
; codeLenInByte = 4924
; NumSgprs: 31
; NumVgprs: 78
; ScratchSize: 0
; MemoryBound: 0
; FloatMode: 240
; IeeeMode: 1
; LDSByteSize: 0 bytes/workgroup (compile time only)
; SGPRBlocks: 3
; VGPRBlocks: 9
; NumSGPRsForWavesPerEU: 31
; NumVGPRsForWavesPerEU: 78
; Occupancy: 16
; WaveLimiterHint : 1
; COMPUTE_PGM_RSRC2:SCRATCH_EN: 0
; COMPUTE_PGM_RSRC2:USER_SGPR: 15
; COMPUTE_PGM_RSRC2:TRAP_HANDLER: 0
; COMPUTE_PGM_RSRC2:TGID_X_EN: 1
; COMPUTE_PGM_RSRC2:TGID_Y_EN: 0
; COMPUTE_PGM_RSRC2:TGID_Z_EN: 0
; COMPUTE_PGM_RSRC2:TIDIG_COMP_CNT: 0
	.section	.text._ZN2at6native12_GLOBAL__N_124fused_dropout_kernel_vecIN3c104HalfEfmLi1ELi8EhEEvNS_4cuda6detail10TensorInfoIKT_T1_EENS7_IS8_SA_EENS7_IT4_SA_EESA_T0_NS_15PhiloxCudaStateE,"axG",@progbits,_ZN2at6native12_GLOBAL__N_124fused_dropout_kernel_vecIN3c104HalfEfmLi1ELi8EhEEvNS_4cuda6detail10TensorInfoIKT_T1_EENS7_IS8_SA_EENS7_IT4_SA_EESA_T0_NS_15PhiloxCudaStateE,comdat
	.globl	_ZN2at6native12_GLOBAL__N_124fused_dropout_kernel_vecIN3c104HalfEfmLi1ELi8EhEEvNS_4cuda6detail10TensorInfoIKT_T1_EENS7_IS8_SA_EENS7_IT4_SA_EESA_T0_NS_15PhiloxCudaStateE ; -- Begin function _ZN2at6native12_GLOBAL__N_124fused_dropout_kernel_vecIN3c104HalfEfmLi1ELi8EhEEvNS_4cuda6detail10TensorInfoIKT_T1_EENS7_IS8_SA_EENS7_IT4_SA_EESA_T0_NS_15PhiloxCudaStateE
	.p2align	8
	.type	_ZN2at6native12_GLOBAL__N_124fused_dropout_kernel_vecIN3c104HalfEfmLi1ELi8EhEEvNS_4cuda6detail10TensorInfoIKT_T1_EENS7_IS8_SA_EENS7_IT4_SA_EESA_T0_NS_15PhiloxCudaStateE,@function
_ZN2at6native12_GLOBAL__N_124fused_dropout_kernel_vecIN3c104HalfEfmLi1ELi8EhEEvNS_4cuda6detail10TensorInfoIKT_T1_EENS7_IS8_SA_EENS7_IT4_SA_EESA_T0_NS_15PhiloxCudaStateE: ; @_ZN2at6native12_GLOBAL__N_124fused_dropout_kernel_vecIN3c104HalfEfmLi1ELi8EhEEvNS_4cuda6detail10TensorInfoIKT_T1_EENS7_IS8_SA_EENS7_IT4_SA_EESA_T0_NS_15PhiloxCudaStateE
; %bb.0:
	s_clause 0x1
	s_load_b128 s[4:7], s[0:1], 0x4f0
	s_load_b32 s2, s[0:1], 0x508
	s_waitcnt lgkmcnt(0)
	v_dual_mov_b32 v1, s6 :: v_dual_mov_b32 v2, s7
	v_dual_mov_b32 v11, s5 :: v_dual_mov_b32 v10, s4
	s_bitcmp0_b32 s2, 0
	s_cbranch_scc1 .LBB99_2
; %bb.1:
	v_dual_mov_b32 v1, s6 :: v_dual_mov_b32 v2, s7
	v_dual_mov_b32 v3, s4 :: v_dual_mov_b32 v4, s5
	s_load_b64 s[2:3], s[0:1], 0x500
	flat_load_b64 v[1:2], v[1:2]
	flat_load_b64 v[10:11], v[3:4]
	s_waitcnt vmcnt(1) lgkmcnt(0)
	v_add_co_u32 v1, vcc_lo, v1, s2
	v_add_co_ci_u32_e32 v2, vcc_lo, s3, v2, vcc_lo
.LBB99_2:
	s_clause 0x1
	s_load_b32 s4, s[0:1], 0x51c
	s_load_b64 s[8:9], s[0:1], 0x4e0
	s_add_u32 s2, s0, 0x510
	s_addc_u32 s3, s1, 0
	s_mov_b32 s5, exec_lo
	s_waitcnt lgkmcnt(0)
	s_and_b32 s4, s4, 0xffff
	s_delay_alu instid0(SALU_CYCLE_1) | instskip(SKIP_1) | instid1(VALU_DEP_1)
	v_mad_u64_u32 v[14:15], null, s15, s4, v[0:1]
	v_mov_b32_e32 v15, 0
	v_lshlrev_b64 v[12:13], 3, v[14:15]
	s_delay_alu instid0(VALU_DEP_1)
	v_cmpx_gt_u64_e64 s[8:9], v[12:13]
	s_cbranch_execz .LBB99_25
; %bb.3:
	v_alignbit_b32 v21, v2, v1, 2
	v_mad_u64_u32 v[3:4], null, 0xcd9e8d57, v14, 0
	v_lshrrev_b32_e32 v42, 2, v2
	s_waitcnt vmcnt(0)
	v_mov_b32_e32 v16, v11
	v_mad_u64_u32 v[5:6], null, 0xd2511f53, v21, 0
	v_add_co_u32 v23, null, 0x9e3779b9, v10
	v_xor3_b32 v0, v10, v4, v42
	s_delay_alu instid0(VALU_DEP_4) | instskip(SKIP_2) | instid1(VALU_DEP_4)
	v_add_co_u32 v22, null, 0xbb67ae85, v16
	v_add_co_u32 v24, null, 0x3c6ef372, v10
	v_xor_b32_e32 v2, v6, v11
	v_mad_u64_u32 v[6:7], null, 0xd2511f53, v0, 0
	v_add_co_u32 v25, null, 0x76cf5d0a, v16
	s_delay_alu instid0(VALU_DEP_3) | instskip(SKIP_1) | instid1(VALU_DEP_4)
	v_mad_u64_u32 v[8:9], null, 0xcd9e8d57, v2, 0
	v_add_co_u32 v26, null, 0x32370b8f, v16
	v_xor3_b32 v0, v22, v7, v5
	v_add_co_u32 v27, null, 0xdaa66d2b, v10
	s_load_b32 s7, s[0:1], 0x4e8
	s_delay_alu instid0(VALU_DEP_4) | instskip(NEXT) | instid1(VALU_DEP_3)
	v_xor3_b32 v7, v9, v23, v3
	v_mad_u64_u32 v[2:3], null, 0xcd9e8d57, v0, 0
	v_add_co_u32 v28, null, 0x78dde6e4, v10
	s_delay_alu instid0(VALU_DEP_3) | instskip(SKIP_1) | instid1(VALU_DEP_4)
	v_mad_u64_u32 v[4:5], null, 0xd2511f53, v7, 0
	v_add_co_u32 v29, null, 0xed9eba14, v16
	v_xor3_b32 v0, v24, v3, v8
	v_add_co_u32 v31, null, 0x1715609d, v10
	v_add_co_u32 v30, null, 0xa9066899, v16
	v_xor3_b32 v3, v5, v25, v6
	s_delay_alu instid0(VALU_DEP_4) | instskip(SKIP_1) | instid1(VALU_DEP_3)
	v_mad_u64_u32 v[5:6], null, 0xd2511f53, v0, 0
	v_add_co_u32 v32, null, 0xb54cda56, v10
	v_mad_u64_u32 v[7:8], null, 0xcd9e8d57, v3, 0
	v_add_co_u32 v33, null, 0x5384540f, v10
	s_delay_alu instid0(VALU_DEP_4)
	v_xor3_b32 v0, v26, v6, v4
	s_waitcnt lgkmcnt(0)
	v_div_scale_f32 v18, vcc_lo, 1.0, s7, 1.0
	s_clause 0x2
	s_load_b64 s[10:11], s[0:1], 0x0
	s_load_b64 s[12:13], s[0:1], 0x1a0
	s_load_b64 s[14:15], s[0:1], 0x340
	v_xor3_b32 v4, v8, v27, v2
	v_mad_u64_u32 v[2:3], null, 0xcd9e8d57, v0, 0
	s_load_b32 s0, s[2:3], 0x0
	v_add_co_u32 v36, null, 0xf1bbcdc8, v10
	s_delay_alu instid0(VALU_DEP_3) | instskip(SKIP_1) | instid1(VALU_DEP_4)
	v_mad_u64_u32 v[8:9], null, 0xd2511f53, v4, 0
	v_and_b32_e32 v38, 3, v1
	v_xor3_b32 v0, v28, v3, v7
	v_add_nc_u32_e32 v39, 0x8ff34781, v10
	s_mov_b32 s17, 0
	v_add_nc_u32_e32 v40, 0x96a522ad, v11
	v_xor3_b32 v7, v9, v29, v5
	v_mad_u64_u32 v[3:4], null, 0xd2511f53, v0, 0
	v_div_scale_f32 v0, null, s7, s7, 1.0
	s_delay_alu instid0(VALU_DEP_3) | instskip(NEXT) | instid1(VALU_DEP_2)
	v_mad_u64_u32 v[5:6], null, 0xcd9e8d57, v7, 0
	v_rcp_f32_e32 v17, v0
	s_delay_alu instid0(VALU_DEP_3) | instskip(SKIP_2) | instid1(SALU_CYCLE_1)
	v_xor3_b32 v4, v30, v4, v8
	s_waitcnt lgkmcnt(0)
	s_mul_i32 s0, s0, s4
	s_lshl_b32 s16, s0, 3
	s_delay_alu instid0(VALU_DEP_2) | instskip(SKIP_2) | instid1(VALU_DEP_2)
	v_xor3_b32 v2, v6, v31, v2
	v_mad_u64_u32 v[6:7], null, 0xcd9e8d57, v4, 0
	s_lshl_b64 s[18:19], s[16:17], 1
	v_mad_u64_u32 v[8:9], null, 0xd2511f53, v2, 0
	s_waitcnt_depctr 0xfff
	v_fma_f32 v2, -v0, v17, 1.0
	v_xor3_b32 v4, v32, v7, v5
	s_delay_alu instid0(VALU_DEP_2) | instskip(SKIP_3) | instid1(VALU_DEP_3)
	v_fmac_f32_e32 v17, v2, v17
	v_add_co_u32 v34, null, 0x646e171e, v16
	v_add_co_u32 v35, null, 0x1fd5c5a3, v16
	v_add_co_u32 v37, null, 0xdb3d7428, v16
	v_xor3_b32 v7, v9, v34, v3
	v_mad_u64_u32 v[2:3], null, 0xd2511f53, v4, 0
	v_mul_f32_e32 v9, v18, v17
	s_delay_alu instid0(VALU_DEP_3) | instskip(NEXT) | instid1(VALU_DEP_2)
	v_mad_u64_u32 v[4:5], null, 0xcd9e8d57, v7, 0
	v_fma_f32 v20, -v0, v9, v18
	s_delay_alu instid0(VALU_DEP_4) | instskip(NEXT) | instid1(VALU_DEP_3)
	v_xor3_b32 v3, v35, v3, v8
	v_xor3_b32 v19, v5, v33, v6
	s_delay_alu instid0(VALU_DEP_2) | instskip(NEXT) | instid1(VALU_DEP_4)
	v_mad_u64_u32 v[5:6], null, 0xcd9e8d57, v3, 0
	v_fmac_f32_e32 v9, v20, v17
	s_delay_alu instid0(VALU_DEP_3) | instskip(NEXT) | instid1(VALU_DEP_2)
	v_mad_u64_u32 v[7:8], null, 0xd2511f53, v19, 0
	v_fma_f32 v0, -v0, v9, v18
	s_delay_alu instid0(VALU_DEP_4) | instskip(NEXT) | instid1(VALU_DEP_3)
	v_xor3_b32 v6, v36, v6, v4
	v_xor3_b32 v8, v8, v37, v2
	s_delay_alu instid0(VALU_DEP_2) | instskip(NEXT) | instid1(VALU_DEP_4)
	v_mad_u64_u32 v[3:4], null, 0xd2511f53, v6, 0
	v_div_fmas_f32 v0, v0, v17, v9
	v_lshlrev_b64 v[16:17], 4, v[14:15]
	s_delay_alu instid0(VALU_DEP_4) | instskip(NEXT) | instid1(VALU_DEP_3)
	v_mad_u64_u32 v[1:2], null, 0xcd9e8d57, v8, 0
	v_div_fixup_f32 v41, v0, s7, 1.0
	s_delay_alu instid0(VALU_DEP_2)
	v_xor3_b32 v0, v5, v2, v39
	v_xor3_b32 v2, v4, v7, v40
	s_branch .LBB99_6
.LBB99_4:                               ;   in Loop: Header=BB99_6 Depth=1
	s_or_b32 exec_lo, exec_lo, s1
	s_delay_alu instid0(VALU_DEP_1)
	v_mov_b32_e32 v18, v43
.LBB99_5:                               ;   in Loop: Header=BB99_6 Depth=1
	s_or_b32 exec_lo, exec_lo, s0
	v_add_co_u32 v8, vcc_lo, s10, v16
	v_add_co_ci_u32_e32 v9, vcc_lo, s11, v17, vcc_lo
	v_cvt_f32_u32_e32 v4, v4
	v_cvt_f32_u32_e32 v43, v18
	v_mov_b32_e32 v3, v19
	global_load_b128 v[46:49], v[8:9], off
	v_add_co_u32 v8, vcc_lo, s12, v16
	v_fmaak_f32 v4, 0x2f800000, v4, 0x2f800000
	v_add_co_ci_u32_e32 v9, vcc_lo, s13, v17, vcc_lo
	v_add_co_u32 v18, vcc_lo, s14, v12
	v_add_co_ci_u32_e32 v19, vcc_lo, s15, v13, vcc_lo
	v_add_co_u32 v12, vcc_lo, v12, s16
	v_add_co_ci_u32_e32 v13, vcc_lo, 0, v13, vcc_lo
	v_cvt_f32_u32_e32 v5, v5
	v_cvt_f32_u32_e32 v45, v45
	;; [unrolled: 1-line block ×3, first 2 shown]
	v_cmp_gt_f32_e32 vcc_lo, s7, v4
	v_cvt_f32_u32_e32 v6, v6
	v_cvt_f32_u32_e32 v7, v7
	;; [unrolled: 1-line block ×3, first 2 shown]
	v_fmaak_f32 v5, 0x2f800000, v5, 0x2f800000
	v_dual_fmaak_f32 v43, 0x2f800000, v43, 0x2f800000 :: v_dual_fmaak_f32 v20, 0x2f800000, v20, 0x2f800000
	v_cndmask_b32_e64 v4, 0, 1.0, vcc_lo
	v_dual_fmaak_f32 v45, 0x2f800000, v45, 0x2f800000 :: v_dual_fmaak_f32 v6, 0x2f800000, v6, 0x2f800000
	v_dual_fmaak_f32 v7, 0x2f800000, v7, 0x2f800000 :: v_dual_fmaak_f32 v44, 0x2f800000, v44, 0x2f800000
	v_cmp_gt_f32_e64 s0, s7, v5
	s_delay_alu instid0(VALU_DEP_3) | instskip(SKIP_1) | instid1(VALU_DEP_4)
	v_cmp_gt_f32_e64 s4, s7, v45
	v_cmp_gt_f32_e64 s6, s7, v20
	;; [unrolled: 1-line block ×5, first 2 shown]
	v_cndmask_b32_e64 v45, 0, 1, s0
	v_cndmask_b32_e64 v53, 0, 1, s4
	;; [unrolled: 1-line block ×3, first 2 shown]
	v_cmp_gt_f32_e64 s1, s7, v6
	v_cndmask_b32_e64 v44, 0, 1, vcc_lo
	v_cndmask_b32_e64 v55, 0, 1, s2
	v_cndmask_b32_e64 v56, 0, 1, s3
	;; [unrolled: 1-line block ×3, first 2 shown]
	v_lshlrev_b16 v53, 8, v53
	v_lshlrev_b16 v54, 8, v54
	;; [unrolled: 1-line block ×3, first 2 shown]
	v_cndmask_b32_e64 v52, 0, 1, s1
	v_lshlrev_b16 v55, 8, v55
	v_or_b32_e32 v53, v56, v53
	v_or_b32_e32 v54, v57, v54
	;; [unrolled: 1-line block ×3, first 2 shown]
	v_cndmask_b32_e64 v5, 0, 1.0, s1
	v_cndmask_b32_e64 v6, 0, 1.0, s3
	;; [unrolled: 1-line block ×3, first 2 shown]
	v_or_b32_e32 v45, v52, v55
	v_cndmask_b32_e64 v50, 0, 1.0, s0
	v_cndmask_b32_e64 v51, 0, 1.0, s2
	;; [unrolled: 1-line block ×4, first 2 shown]
	v_cmp_le_u64_e32 vcc_lo, s[8:9], v[12:13]
	s_add_u32 s12, s12, s18
	s_addc_u32 s13, s13, s19
	s_add_u32 s10, s10, s18
	s_addc_u32 s11, s11, s19
	s_or_b32 s17, vcc_lo, s17
	s_waitcnt vmcnt(0)
	v_lshrrev_b32_e32 v55, 16, v47
	v_lshrrev_b32_e32 v56, 16, v48
	;; [unrolled: 1-line block ×3, first 2 shown]
	v_cvt_f32_f16_e32 v47, v47
	v_and_b32_e32 v52, 0xffff, v53
	v_cvt_f32_f16_e32 v48, v48
	v_lshlrev_b32_e32 v53, 16, v54
	v_cvt_f32_f16_e32 v49, v49
	v_and_b32_e32 v54, 0xffff, v44
	v_lshrrev_b32_e32 v44, 16, v46
	v_cvt_f32_f16_e32 v46, v46
	v_mul_f32_e32 v5, v5, v47
	v_dual_mul_f32 v7, v7, v49 :: v_dual_mul_f32 v6, v6, v48
	s_delay_alu instid0(VALU_DEP_4) | instskip(NEXT) | instid1(VALU_DEP_4)
	v_cvt_f32_f16_e32 v44, v44
	v_mul_f32_e32 v4, v4, v46
	v_cvt_f32_f16_e32 v46, v55
	v_cvt_f32_f16_e32 v47, v56
	;; [unrolled: 1-line block ×3, first 2 shown]
	v_lshlrev_b32_e32 v45, 16, v45
	v_fma_mixlo_f16 v4, v41, v4, 0
	v_fma_mixlo_f16 v5, v41, v5, 0
	;; [unrolled: 1-line block ×3, first 2 shown]
	v_mul_f32_e32 v20, v20, v48
	v_fma_mixlo_f16 v7, v41, v7, 0
	v_mul_f32_e32 v43, v43, v47
	v_dual_mul_f32 v46, v51, v46 :: v_dual_mul_f32 v47, v50, v44
	v_or_b32_e32 v44, v52, v53
	s_delay_alu instid0(VALU_DEP_4) | instskip(NEXT) | instid1(VALU_DEP_4)
	v_fma_mixhi_f16 v7, v41, v20, 0
	v_fma_mixhi_f16 v6, v41, v43, 0
	s_delay_alu instid0(VALU_DEP_4)
	v_fma_mixhi_f16 v5, v41, v46, 0
	v_fma_mixhi_f16 v4, v41, v47, 0
	v_or_b32_e32 v43, v54, v45
	global_store_b128 v[8:9], v[4:7], off
	global_store_b64 v[18:19], v[43:44], off
	s_waitcnt_vscnt null, 0x0
	s_barrier
	buffer_gl0_inv
	s_and_not1_b32 exec_lo, exec_lo, s17
	s_cbranch_execz .LBB99_25
.LBB99_6:                               ; =>This Inner Loop Header: Depth=1
	v_add_co_u32 v6, vcc_lo, v21, 1
	s_delay_alu instid0(VALU_DEP_1) | instskip(SKIP_2) | instid1(VALU_DEP_1)
	v_cndmask_b32_e64 v4, 0, 1, vcc_lo
	v_add_co_ci_u32_e32 v20, vcc_lo, 0, v42, vcc_lo
	s_mov_b32 s0, exec_lo
	v_cmp_eq_u32_e32 vcc_lo, 0, v20
	s_delay_alu instid0(VALU_DEP_3) | instskip(SKIP_1) | instid1(VALU_DEP_2)
	v_cndmask_b32_e32 v7, 0, v4, vcc_lo
	v_mad_u64_u32 v[4:5], null, 0xd2511f53, v6, 0
	v_add_nc_u32_e32 v14, v7, v14
	s_delay_alu instid0(VALU_DEP_2) | instskip(NEXT) | instid1(VALU_DEP_2)
	v_xor_b32_e32 v8, v5, v11
	v_cmp_eq_u32_e32 vcc_lo, 0, v14
	v_cndmask_b32_e32 v7, 0, v7, vcc_lo
	v_mad_u64_u32 v[5:6], null, 0xcd9e8d57, v14, 0
	s_delay_alu instid0(VALU_DEP_2) | instskip(NEXT) | instid1(VALU_DEP_2)
	v_add_nc_u32_e32 v15, v7, v15
	v_xor3_b32 v18, v6, v10, v20
	s_delay_alu instid0(VALU_DEP_2) | instskip(NEXT) | instid1(VALU_DEP_1)
	v_xor_b32_e32 v8, v15, v8
	v_mad_u64_u32 v[6:7], null, 0xcd9e8d57, v8, 0
	s_delay_alu instid0(VALU_DEP_3) | instskip(NEXT) | instid1(VALU_DEP_2)
	v_mad_u64_u32 v[8:9], null, 0xd2511f53, v18, 0
	v_xor3_b32 v7, v23, v7, v5
	s_delay_alu instid0(VALU_DEP_2) | instskip(NEXT) | instid1(VALU_DEP_2)
	v_xor3_b32 v9, v22, v9, v4
	v_mad_u64_u32 v[4:5], null, 0xd2511f53, v7, 0
	s_delay_alu instid0(VALU_DEP_2) | instskip(NEXT) | instid1(VALU_DEP_2)
	v_mad_u64_u32 v[18:19], null, 0xcd9e8d57, v9, 0
	v_xor3_b32 v7, v25, v5, v8
	s_delay_alu instid0(VALU_DEP_2) | instskip(NEXT) | instid1(VALU_DEP_2)
	v_xor3_b32 v9, v24, v19, v6
	v_mad_u64_u32 v[5:6], null, 0xcd9e8d57, v7, 0
	s_delay_alu instid0(VALU_DEP_2) | instskip(NEXT) | instid1(VALU_DEP_2)
	;; [unrolled: 6-line block ×8, first 2 shown]
	v_mad_u64_u32 v[18:19], null, 0xd2511f53, v4, 0
	v_xor3_b32 v43, v9, v42, v39
	s_delay_alu instid0(VALU_DEP_2)
	v_xor3_b32 v9, v19, v5, v40
                                        ; implicit-def: $vgpr4_vgpr5_vgpr6_vgpr7
	v_cmpx_lt_i32_e32 1, v38
	s_xor_b32 s0, exec_lo, s0
	s_cbranch_execz .LBB99_12
; %bb.7:                                ;   in Loop: Header=BB99_6 Depth=1
	s_mov_b32 s1, exec_lo
                                        ; implicit-def: $vgpr4_vgpr5_vgpr6_vgpr7
	v_cmpx_lt_i32_e32 2, v38
	s_xor_b32 s1, exec_lo, s1
; %bb.8:                                ;   in Loop: Header=BB99_6 Depth=1
	v_mov_b32_e32 v6, v3
	v_mov_b32_e32 v7, v43
                                        ; implicit-def: $vgpr0_vgpr1_vgpr2_vgpr3
	s_delay_alu instid0(VALU_DEP_2) | instskip(NEXT) | instid1(VALU_DEP_2)
	v_mov_b32_e32 v4, v6
	v_dual_mov_b32 v5, v7 :: v_dual_mov_b32 v6, v8
	v_mov_b32_e32 v7, v9
; %bb.9:                                ;   in Loop: Header=BB99_6 Depth=1
	s_and_not1_saveexec_b32 s1, s1
; %bb.10:                               ;   in Loop: Header=BB99_6 Depth=1
	v_dual_mov_b32 v4, v2 :: v_dual_mov_b32 v5, v3
	v_dual_mov_b32 v6, v43 :: v_dual_mov_b32 v7, v8
; %bb.11:                               ;   in Loop: Header=BB99_6 Depth=1
	s_or_b32 exec_lo, exec_lo, s1
                                        ; implicit-def: $vgpr0_vgpr1_vgpr2_vgpr3
.LBB99_12:                              ;   in Loop: Header=BB99_6 Depth=1
	s_and_not1_saveexec_b32 s0, s0
	s_cbranch_execz .LBB99_16
; %bb.13:                               ;   in Loop: Header=BB99_6 Depth=1
	s_mov_b32 s1, exec_lo
	v_cmpx_eq_u32_e32 1, v38
; %bb.14:                               ;   in Loop: Header=BB99_6 Depth=1
	v_dual_mov_b32 v0, v1 :: v_dual_mov_b32 v1, v2
	v_mov_b32_e32 v2, v3
	v_mov_b32_e32 v3, v43
; %bb.15:                               ;   in Loop: Header=BB99_6 Depth=1
	s_or_b32 exec_lo, exec_lo, s1
	s_delay_alu instid0(VALU_DEP_1)
	v_dual_mov_b32 v7, v3 :: v_dual_mov_b32 v6, v2
	v_dual_mov_b32 v5, v1 :: v_dual_mov_b32 v4, v0
.LBB99_16:                              ;   in Loop: Header=BB99_6 Depth=1
	s_or_b32 exec_lo, exec_lo, s0
	v_add_nc_u32_e32 v21, 2, v21
	s_mov_b32 s0, exec_lo
	s_delay_alu instid0(VALU_DEP_1) | instskip(SKIP_2) | instid1(VALU_DEP_1)
	v_cmp_eq_u32_e32 vcc_lo, 0, v21
	v_cndmask_b32_e64 v0, 0, 1, vcc_lo
	v_add_co_ci_u32_e32 v42, vcc_lo, 0, v20, vcc_lo
	v_cmp_eq_u32_e32 vcc_lo, 0, v42
	s_delay_alu instid0(VALU_DEP_3) | instskip(NEXT) | instid1(VALU_DEP_1)
	v_cndmask_b32_e32 v0, 0, v0, vcc_lo
	v_add_nc_u32_e32 v14, v0, v14
	s_delay_alu instid0(VALU_DEP_1) | instskip(SKIP_2) | instid1(VALU_DEP_2)
	v_cmp_eq_u32_e32 vcc_lo, 0, v14
	v_mad_u64_u32 v[2:3], null, 0xcd9e8d57, v14, 0
	v_cndmask_b32_e32 v0, 0, v0, vcc_lo
	v_xor3_b32 v3, v3, v10, v42
	s_delay_alu instid0(VALU_DEP_2) | instskip(SKIP_1) | instid1(VALU_DEP_3)
	v_add_nc_u32_e32 v15, v0, v15
	v_mad_u64_u32 v[0:1], null, 0xd2511f53, v21, 0
	v_mad_u64_u32 v[44:45], null, 0xd2511f53, v3, 0
	s_delay_alu instid0(VALU_DEP_2) | instskip(NEXT) | instid1(VALU_DEP_1)
	v_xor_b32_e32 v1, v1, v11
	v_xor_b32_e32 v1, v15, v1
	s_delay_alu instid0(VALU_DEP_1) | instskip(NEXT) | instid1(VALU_DEP_1)
	v_mad_u64_u32 v[19:20], null, 0xcd9e8d57, v1, 0
	v_xor3_b32 v2, v23, v20, v2
	v_xor3_b32 v20, v22, v45, v0
	s_delay_alu instid0(VALU_DEP_2) | instskip(NEXT) | instid1(VALU_DEP_2)
	v_mad_u64_u32 v[0:1], null, 0xd2511f53, v2, 0
	v_mad_u64_u32 v[2:3], null, 0xcd9e8d57, v20, 0
	s_delay_alu instid0(VALU_DEP_2) | instskip(NEXT) | instid1(VALU_DEP_2)
	v_xor3_b32 v1, v25, v1, v44
	v_xor3_b32 v3, v24, v3, v19
	s_delay_alu instid0(VALU_DEP_2) | instskip(NEXT) | instid1(VALU_DEP_2)
	v_mad_u64_u32 v[19:20], null, 0xcd9e8d57, v1, 0
	v_mad_u64_u32 v[44:45], null, 0xd2511f53, v3, 0
	s_delay_alu instid0(VALU_DEP_2) | instskip(NEXT) | instid1(VALU_DEP_2)
	;; [unrolled: 6-line block ×7, first 2 shown]
	v_xor3_b32 v3, v37, v46, v44
	v_xor3_b32 v44, v36, v1, v19
	s_delay_alu instid0(VALU_DEP_2) | instskip(NEXT) | instid1(VALU_DEP_2)
	v_mad_u64_u32 v[1:2], null, 0xcd9e8d57, v3, 0
	v_mad_u64_u32 v[19:20], null, 0xd2511f53, v44, 0
                                        ; implicit-def: $vgpr44
	s_delay_alu instid0(VALU_DEP_2) | instskip(NEXT) | instid1(VALU_DEP_2)
	v_xor3_b32 v0, v2, v0, v39
	v_xor3_b32 v2, v20, v45, v40
                                        ; implicit-def: $vgpr20
                                        ; implicit-def: $vgpr45
	v_cmpx_lt_i32_e32 1, v38
	s_xor_b32 s0, exec_lo, s0
	s_cbranch_execz .LBB99_22
; %bb.17:                               ;   in Loop: Header=BB99_6 Depth=1
	s_mov_b32 s1, exec_lo
	v_cmpx_lt_i32_e32 2, v38
	s_xor_b32 s1, exec_lo, s1
; %bb.18:                               ;   in Loop: Header=BB99_6 Depth=1
                                        ; implicit-def: $vgpr9
; %bb.19:                               ;   in Loop: Header=BB99_6 Depth=1
	s_delay_alu instid0(SALU_CYCLE_1)
	s_or_saveexec_b32 s1, s1
	v_dual_mov_b32 v20, v2 :: v_dual_mov_b32 v45, v0
	v_mov_b32_e32 v44, v1
	s_xor_b32 exec_lo, exec_lo, s1
; %bb.20:                               ;   in Loop: Header=BB99_6 Depth=1
	v_dual_mov_b32 v20, v1 :: v_dual_mov_b32 v45, v18
	v_mov_b32_e32 v44, v0
	v_mov_b32_e32 v18, v9
; %bb.21:                               ;   in Loop: Header=BB99_6 Depth=1
	s_or_b32 exec_lo, exec_lo, s1
                                        ; implicit-def: $vgpr9
                                        ; implicit-def: $vgpr43
.LBB99_22:                              ;   in Loop: Header=BB99_6 Depth=1
	s_and_not1_saveexec_b32 s0, s0
	s_cbranch_execz .LBB99_5
; %bb.23:                               ;   in Loop: Header=BB99_6 Depth=1
	s_delay_alu instid0(VALU_DEP_1)
	v_dual_mov_b32 v20, v18 :: v_dual_mov_b32 v45, v8
	v_mov_b32_e32 v44, v9
	s_mov_b32 s1, exec_lo
	v_cmpx_eq_u32_e32 1, v38
	s_cbranch_execz .LBB99_4
; %bb.24:                               ;   in Loop: Header=BB99_6 Depth=1
	v_dual_mov_b32 v20, v0 :: v_dual_mov_b32 v45, v9
	v_dual_mov_b32 v44, v18 :: v_dual_mov_b32 v43, v8
	s_branch .LBB99_4
.LBB99_25:
	s_endpgm
	.section	.rodata,"a",@progbits
	.p2align	6, 0x0
	.amdhsa_kernel _ZN2at6native12_GLOBAL__N_124fused_dropout_kernel_vecIN3c104HalfEfmLi1ELi8EhEEvNS_4cuda6detail10TensorInfoIKT_T1_EENS7_IS8_SA_EENS7_IT4_SA_EESA_T0_NS_15PhiloxCudaStateE
		.amdhsa_group_segment_fixed_size 0
		.amdhsa_private_segment_fixed_size 0
		.amdhsa_kernarg_size 1552
		.amdhsa_user_sgpr_count 15
		.amdhsa_user_sgpr_dispatch_ptr 0
		.amdhsa_user_sgpr_queue_ptr 0
		.amdhsa_user_sgpr_kernarg_segment_ptr 1
		.amdhsa_user_sgpr_dispatch_id 0
		.amdhsa_user_sgpr_private_segment_size 0
		.amdhsa_wavefront_size32 1
		.amdhsa_uses_dynamic_stack 0
		.amdhsa_enable_private_segment 0
		.amdhsa_system_sgpr_workgroup_id_x 1
		.amdhsa_system_sgpr_workgroup_id_y 0
		.amdhsa_system_sgpr_workgroup_id_z 0
		.amdhsa_system_sgpr_workgroup_info 0
		.amdhsa_system_vgpr_workitem_id 0
		.amdhsa_next_free_vgpr 58
		.amdhsa_next_free_sgpr 20
		.amdhsa_reserve_vcc 1
		.amdhsa_float_round_mode_32 0
		.amdhsa_float_round_mode_16_64 0
		.amdhsa_float_denorm_mode_32 3
		.amdhsa_float_denorm_mode_16_64 3
		.amdhsa_dx10_clamp 1
		.amdhsa_ieee_mode 1
		.amdhsa_fp16_overflow 0
		.amdhsa_workgroup_processor_mode 1
		.amdhsa_memory_ordered 1
		.amdhsa_forward_progress 0
		.amdhsa_shared_vgpr_count 0
		.amdhsa_exception_fp_ieee_invalid_op 0
		.amdhsa_exception_fp_denorm_src 0
		.amdhsa_exception_fp_ieee_div_zero 0
		.amdhsa_exception_fp_ieee_overflow 0
		.amdhsa_exception_fp_ieee_underflow 0
		.amdhsa_exception_fp_ieee_inexact 0
		.amdhsa_exception_int_div_zero 0
	.end_amdhsa_kernel
	.section	.text._ZN2at6native12_GLOBAL__N_124fused_dropout_kernel_vecIN3c104HalfEfmLi1ELi8EhEEvNS_4cuda6detail10TensorInfoIKT_T1_EENS7_IS8_SA_EENS7_IT4_SA_EESA_T0_NS_15PhiloxCudaStateE,"axG",@progbits,_ZN2at6native12_GLOBAL__N_124fused_dropout_kernel_vecIN3c104HalfEfmLi1ELi8EhEEvNS_4cuda6detail10TensorInfoIKT_T1_EENS7_IS8_SA_EENS7_IT4_SA_EESA_T0_NS_15PhiloxCudaStateE,comdat
.Lfunc_end99:
	.size	_ZN2at6native12_GLOBAL__N_124fused_dropout_kernel_vecIN3c104HalfEfmLi1ELi8EhEEvNS_4cuda6detail10TensorInfoIKT_T1_EENS7_IS8_SA_EENS7_IT4_SA_EESA_T0_NS_15PhiloxCudaStateE, .Lfunc_end99-_ZN2at6native12_GLOBAL__N_124fused_dropout_kernel_vecIN3c104HalfEfmLi1ELi8EhEEvNS_4cuda6detail10TensorInfoIKT_T1_EENS7_IS8_SA_EENS7_IT4_SA_EESA_T0_NS_15PhiloxCudaStateE
                                        ; -- End function
	.section	.AMDGPU.csdata,"",@progbits
; Kernel info:
; codeLenInByte = 3048
; NumSgprs: 22
; NumVgprs: 58
; ScratchSize: 0
; MemoryBound: 0
; FloatMode: 240
; IeeeMode: 1
; LDSByteSize: 0 bytes/workgroup (compile time only)
; SGPRBlocks: 2
; VGPRBlocks: 7
; NumSGPRsForWavesPerEU: 22
; NumVGPRsForWavesPerEU: 58
; Occupancy: 16
; WaveLimiterHint : 1
; COMPUTE_PGM_RSRC2:SCRATCH_EN: 0
; COMPUTE_PGM_RSRC2:USER_SGPR: 15
; COMPUTE_PGM_RSRC2:TRAP_HANDLER: 0
; COMPUTE_PGM_RSRC2:TGID_X_EN: 1
; COMPUTE_PGM_RSRC2:TGID_Y_EN: 0
; COMPUTE_PGM_RSRC2:TGID_Z_EN: 0
; COMPUTE_PGM_RSRC2:TIDIG_COMP_CNT: 0
	.section	.text._ZN2at6native12_GLOBAL__N_124fused_dropout_kernel_vecIN3c104HalfEfmLi1ELi4EhEEvNS_4cuda6detail10TensorInfoIKT_T1_EENS7_IS8_SA_EENS7_IT4_SA_EESA_T0_NS_15PhiloxCudaStateE,"axG",@progbits,_ZN2at6native12_GLOBAL__N_124fused_dropout_kernel_vecIN3c104HalfEfmLi1ELi4EhEEvNS_4cuda6detail10TensorInfoIKT_T1_EENS7_IS8_SA_EENS7_IT4_SA_EESA_T0_NS_15PhiloxCudaStateE,comdat
	.globl	_ZN2at6native12_GLOBAL__N_124fused_dropout_kernel_vecIN3c104HalfEfmLi1ELi4EhEEvNS_4cuda6detail10TensorInfoIKT_T1_EENS7_IS8_SA_EENS7_IT4_SA_EESA_T0_NS_15PhiloxCudaStateE ; -- Begin function _ZN2at6native12_GLOBAL__N_124fused_dropout_kernel_vecIN3c104HalfEfmLi1ELi4EhEEvNS_4cuda6detail10TensorInfoIKT_T1_EENS7_IS8_SA_EENS7_IT4_SA_EESA_T0_NS_15PhiloxCudaStateE
	.p2align	8
	.type	_ZN2at6native12_GLOBAL__N_124fused_dropout_kernel_vecIN3c104HalfEfmLi1ELi4EhEEvNS_4cuda6detail10TensorInfoIKT_T1_EENS7_IS8_SA_EENS7_IT4_SA_EESA_T0_NS_15PhiloxCudaStateE,@function
_ZN2at6native12_GLOBAL__N_124fused_dropout_kernel_vecIN3c104HalfEfmLi1ELi4EhEEvNS_4cuda6detail10TensorInfoIKT_T1_EENS7_IS8_SA_EENS7_IT4_SA_EESA_T0_NS_15PhiloxCudaStateE: ; @_ZN2at6native12_GLOBAL__N_124fused_dropout_kernel_vecIN3c104HalfEfmLi1ELi4EhEEvNS_4cuda6detail10TensorInfoIKT_T1_EENS7_IS8_SA_EENS7_IT4_SA_EESA_T0_NS_15PhiloxCudaStateE
; %bb.0:
	s_clause 0x1
	s_load_b128 s[4:7], s[0:1], 0x4f0
	s_load_b32 s2, s[0:1], 0x508
	s_waitcnt lgkmcnt(0)
	v_dual_mov_b32 v1, s6 :: v_dual_mov_b32 v2, s7
	v_dual_mov_b32 v12, s5 :: v_dual_mov_b32 v11, s4
	s_bitcmp0_b32 s2, 0
	s_cbranch_scc1 .LBB100_2
; %bb.1:
	v_dual_mov_b32 v1, s6 :: v_dual_mov_b32 v2, s7
	v_dual_mov_b32 v3, s4 :: v_dual_mov_b32 v4, s5
	s_load_b64 s[2:3], s[0:1], 0x500
	flat_load_b64 v[1:2], v[1:2]
	flat_load_b64 v[11:12], v[3:4]
	s_waitcnt vmcnt(1) lgkmcnt(0)
	v_add_co_u32 v1, vcc_lo, v1, s2
	v_add_co_ci_u32_e32 v2, vcc_lo, s3, v2, vcc_lo
.LBB100_2:
	s_clause 0x1
	s_load_b32 s4, s[0:1], 0x51c
	s_load_b64 s[2:3], s[0:1], 0x4e0
	s_add_u32 s10, s0, 0x510
	s_addc_u32 s11, s1, 0
	s_waitcnt lgkmcnt(0)
	s_and_b32 s12, s4, 0xffff
	s_mov_b32 s4, exec_lo
	v_mad_u64_u32 v[13:14], null, s15, s12, v[0:1]
	v_mov_b32_e32 v14, 0
	s_delay_alu instid0(VALU_DEP_1) | instskip(NEXT) | instid1(VALU_DEP_1)
	v_lshlrev_b64 v[15:16], 2, v[13:14]
	v_cmpx_gt_u64_e64 s[2:3], v[15:16]
	s_cbranch_execz .LBB100_15
; %bb.3:
	v_alignbit_b32 v21, v2, v1, 2
	v_mad_u64_u32 v[3:4], null, 0xcd9e8d57, v13, 0
	v_lshrrev_b32_e32 v22, 2, v2
	s_waitcnt vmcnt(0)
	v_mov_b32_e32 v10, v12
	v_mad_u64_u32 v[5:6], null, 0xd2511f53, v21, 0
	v_add_co_u32 v24, null, 0x9e3779b9, v11
	v_xor3_b32 v0, v11, v4, v22
	s_delay_alu instid0(VALU_DEP_4) | instskip(SKIP_2) | instid1(VALU_DEP_4)
	v_add_co_u32 v23, null, 0xbb67ae85, v10
	v_add_co_u32 v25, null, 0x3c6ef372, v11
	v_xor_b32_e32 v2, v6, v12
	v_mad_u64_u32 v[6:7], null, 0xd2511f53, v0, 0
	v_add_co_u32 v26, null, 0x76cf5d0a, v10
	s_delay_alu instid0(VALU_DEP_3) | instskip(SKIP_1) | instid1(VALU_DEP_4)
	v_mad_u64_u32 v[8:9], null, 0xcd9e8d57, v2, 0
	v_add_co_u32 v27, null, 0x32370b8f, v10
	v_xor3_b32 v0, v23, v7, v5
	v_add_co_u32 v28, null, 0xdaa66d2b, v11
	s_load_b32 s14, s[0:1], 0x4e8
	s_delay_alu instid0(VALU_DEP_4) | instskip(NEXT) | instid1(VALU_DEP_3)
	v_xor3_b32 v7, v9, v24, v3
	v_mad_u64_u32 v[2:3], null, 0xcd9e8d57, v0, 0
	v_add_co_u32 v29, null, 0x78dde6e4, v11
	s_delay_alu instid0(VALU_DEP_3) | instskip(SKIP_1) | instid1(VALU_DEP_4)
	v_mad_u64_u32 v[4:5], null, 0xd2511f53, v7, 0
	v_add_co_u32 v30, null, 0xed9eba14, v10
	v_xor3_b32 v0, v25, v3, v8
	v_add_co_u32 v32, null, 0x1715609d, v11
	v_add_co_u32 v31, null, 0xa9066899, v10
	v_xor3_b32 v3, v5, v26, v6
	s_delay_alu instid0(VALU_DEP_4) | instskip(SKIP_1) | instid1(VALU_DEP_3)
	v_mad_u64_u32 v[5:6], null, 0xd2511f53, v0, 0
	v_add_co_u32 v33, null, 0xb54cda56, v11
	v_mad_u64_u32 v[7:8], null, 0xcd9e8d57, v3, 0
	v_add_co_u32 v34, null, 0x5384540f, v11
	s_delay_alu instid0(VALU_DEP_4)
	v_xor3_b32 v0, v27, v6, v4
	s_waitcnt lgkmcnt(0)
	v_div_scale_f32 v18, vcc_lo, 1.0, s14, 1.0
	s_clause 0x2
	s_load_b64 s[4:5], s[0:1], 0x0
	s_load_b64 s[6:7], s[0:1], 0x1a0
	;; [unrolled: 1-line block ×3, first 2 shown]
	v_xor3_b32 v4, v8, v28, v2
	v_mad_u64_u32 v[2:3], null, 0xcd9e8d57, v0, 0
	s_load_b32 s0, s[10:11], 0x0
	v_add_co_u32 v37, null, 0xf1bbcdc8, v11
	s_delay_alu instid0(VALU_DEP_3) | instskip(SKIP_1) | instid1(VALU_DEP_4)
	v_mad_u64_u32 v[8:9], null, 0xd2511f53, v4, 0
	v_and_b32_e32 v39, 3, v1
	v_xor3_b32 v0, v29, v3, v7
	v_add_nc_u32_e32 v41, 0x96a522ad, v12
	s_mov_b32 s11, 0
	v_add_nc_u32_e32 v40, 0x8ff34781, v11
	v_xor3_b32 v7, v9, v30, v5
	v_mad_u64_u32 v[3:4], null, 0xd2511f53, v0, 0
	v_div_scale_f32 v0, null, s14, s14, 1.0
	s_delay_alu instid0(VALU_DEP_3) | instskip(NEXT) | instid1(VALU_DEP_2)
	v_mad_u64_u32 v[5:6], null, 0xcd9e8d57, v7, 0
	v_rcp_f32_e32 v17, v0
	s_delay_alu instid0(VALU_DEP_3) | instskip(SKIP_2) | instid1(SALU_CYCLE_1)
	v_xor3_b32 v4, v31, v4, v8
	s_waitcnt lgkmcnt(0)
	s_mul_i32 s0, s0, s12
	s_lshl_b32 s10, s0, 2
	s_delay_alu instid0(VALU_DEP_2) | instskip(SKIP_2) | instid1(VALU_DEP_2)
	v_xor3_b32 v2, v6, v32, v2
	v_mad_u64_u32 v[6:7], null, 0xcd9e8d57, v4, 0
	s_lshl_b64 s[12:13], s[10:11], 1
	v_mad_u64_u32 v[8:9], null, 0xd2511f53, v2, 0
	s_waitcnt_depctr 0xfff
	v_fma_f32 v2, -v0, v17, 1.0
	v_xor3_b32 v4, v33, v7, v5
	s_delay_alu instid0(VALU_DEP_2) | instskip(SKIP_3) | instid1(VALU_DEP_3)
	v_fmac_f32_e32 v17, v2, v17
	v_add_co_u32 v35, null, 0x646e171e, v10
	v_add_co_u32 v36, null, 0x1fd5c5a3, v10
	;; [unrolled: 1-line block ×3, first 2 shown]
	v_xor3_b32 v7, v9, v35, v3
	v_mad_u64_u32 v[2:3], null, 0xd2511f53, v4, 0
	v_mul_f32_e32 v9, v18, v17
	s_delay_alu instid0(VALU_DEP_3) | instskip(NEXT) | instid1(VALU_DEP_2)
	v_mad_u64_u32 v[4:5], null, 0xcd9e8d57, v7, 0
	v_fma_f32 v20, -v0, v9, v18
	s_delay_alu instid0(VALU_DEP_4) | instskip(NEXT) | instid1(VALU_DEP_3)
	v_xor3_b32 v3, v36, v3, v8
	v_xor3_b32 v19, v5, v34, v6
	s_delay_alu instid0(VALU_DEP_2) | instskip(NEXT) | instid1(VALU_DEP_4)
	v_mad_u64_u32 v[5:6], null, 0xcd9e8d57, v3, 0
	v_fmac_f32_e32 v9, v20, v17
	s_delay_alu instid0(VALU_DEP_3) | instskip(NEXT) | instid1(VALU_DEP_2)
	v_mad_u64_u32 v[7:8], null, 0xd2511f53, v19, 0
	v_fma_f32 v0, -v0, v9, v18
	s_delay_alu instid0(VALU_DEP_4) | instskip(NEXT) | instid1(VALU_DEP_3)
	v_xor3_b32 v6, v37, v6, v4
	v_xor3_b32 v8, v8, v38, v2
	s_delay_alu instid0(VALU_DEP_2) | instskip(NEXT) | instid1(VALU_DEP_4)
	v_mad_u64_u32 v[3:4], null, 0xd2511f53, v6, 0
	v_div_fmas_f32 v0, v0, v17, v9
	v_lshlrev_b64 v[17:18], 3, v[13:14]
	s_delay_alu instid0(VALU_DEP_4) | instskip(NEXT) | instid1(VALU_DEP_3)
	v_mad_u64_u32 v[1:2], null, 0xcd9e8d57, v8, 0
	v_div_fixup_f32 v42, v0, s14, 1.0
	s_delay_alu instid0(VALU_DEP_2)
	v_xor3_b32 v0, v5, v2, v40
	v_xor3_b32 v2, v4, v7, v41
	s_branch .LBB100_6
.LBB100_4:                              ;   in Loop: Header=BB100_6 Depth=1
	s_or_b32 exec_lo, exec_lo, s1
.LBB100_5:                              ;   in Loop: Header=BB100_6 Depth=1
	s_delay_alu instid0(SALU_CYCLE_1)
	s_or_b32 exec_lo, exec_lo, s0
	v_add_co_u32 v7, vcc_lo, s4, v17
	v_add_co_ci_u32_e32 v8, vcc_lo, s5, v18, vcc_lo
	v_cvt_f32_u32_e32 v0, v0
	v_cvt_f32_u32_e32 v1, v1
	;; [unrolled: 1-line block ×3, first 2 shown]
	global_load_b64 v[8:9], v[7:8], off
	v_dual_mov_b32 v7, v19 :: v_dual_fmaak_f32 v0, 0x2f800000, v0, 0x2f800000
	v_add_co_u32 v19, vcc_lo, s6, v17
	v_add_co_ci_u32_e32 v20, vcc_lo, s7, v18, vcc_lo
	v_add_co_u32 v43, vcc_lo, s8, v15
	v_cvt_f32_u32_e32 v3, v3
	v_dual_fmaak_f32 v1, 0x2f800000, v1, 0x2f800000 :: v_dual_fmaak_f32 v2, 0x2f800000, v2, 0x2f800000
	v_cmp_gt_f32_e64 s0, s14, v0
	v_add_co_ci_u32_e32 v44, vcc_lo, s9, v16, vcc_lo
	v_add_co_u32 v15, vcc_lo, v15, s10
	v_add_co_ci_u32_e32 v16, vcc_lo, 0, v16, vcc_lo
	v_cmp_gt_f32_e32 vcc_lo, s14, v1
	v_cndmask_b32_e64 v0, 0, 1.0, s0
	v_fmaak_f32 v3, 0x2f800000, v3, 0x2f800000
	v_cndmask_b32_e64 v45, 0, 1, s0
	s_add_u32 s4, s4, s12
	v_cndmask_b32_e64 v1, 0, 1.0, vcc_lo
	s_addc_u32 s5, s5, s13
	v_cmp_gt_f32_e64 s1, s14, v3
	v_cndmask_b32_e64 v3, 0, 1, vcc_lo
	v_cmp_gt_f32_e32 vcc_lo, s14, v2
	s_add_u32 s6, s6, s12
	s_addc_u32 s7, s7, s13
	v_cndmask_b32_e64 v2, 0, 1, s1
	v_lshlrev_b16 v3, 8, v3
	v_cndmask_b32_e64 v46, 0, 1.0, vcc_lo
	v_cndmask_b32_e64 v47, 0, 1, vcc_lo
	v_cndmask_b32_e64 v10, 0, 1.0, s1
	v_lshlrev_b16 v2, 8, v2
	v_or_b32_e32 v3, v45, v3
	v_cmp_le_u64_e32 vcc_lo, s[2:3], v[15:16]
	s_delay_alu instid0(VALU_DEP_3) | instskip(SKIP_1) | instid1(VALU_DEP_1)
	v_or_b32_e32 v2, v47, v2
	s_or_b32 s11, vcc_lo, s11
	v_lshlrev_b32_e32 v2, 16, v2
	s_waitcnt vmcnt(0)
	v_cvt_f32_f16_e32 v45, v8
	v_cvt_f32_f16_e32 v48, v9
	v_lshrrev_b32_e32 v9, 16, v9
	v_lshrrev_b32_e32 v8, 16, v8
	s_delay_alu instid0(VALU_DEP_3) | instskip(NEXT) | instid1(VALU_DEP_3)
	v_dual_mul_f32 v0, v0, v45 :: v_dual_mul_f32 v45, v46, v48
	v_cvt_f32_f16_e32 v46, v9
	s_delay_alu instid0(VALU_DEP_3) | instskip(SKIP_1) | instid1(VALU_DEP_4)
	v_cvt_f32_f16_e32 v47, v8
	v_and_b32_e32 v3, 0xffff, v3
	v_fma_mixlo_f16 v8, v42, v0, 0
	v_fma_mixlo_f16 v9, v42, v45, 0
	s_delay_alu instid0(VALU_DEP_4) | instskip(NEXT) | instid1(VALU_DEP_4)
	v_dual_mul_f32 v0, v10, v46 :: v_dual_mul_f32 v1, v1, v47
	v_or_b32_e32 v10, v3, v2
	s_delay_alu instid0(VALU_DEP_2) | instskip(NEXT) | instid1(VALU_DEP_3)
	v_fma_mixhi_f16 v9, v42, v0, 0
	v_fma_mixhi_f16 v8, v42, v1, 0
	v_dual_mov_b32 v0, v4 :: v_dual_mov_b32 v1, v5
	v_dual_mov_b32 v2, v6 :: v_dual_mov_b32 v3, v7
	global_store_b64 v[19:20], v[8:9], off
	global_store_b32 v[43:44], v10, off
	s_waitcnt_vscnt null, 0x0
	s_barrier
	buffer_gl0_inv
	s_and_not1_b32 exec_lo, exec_lo, s11
	s_cbranch_execz .LBB100_15
.LBB100_6:                              ; =>This Inner Loop Header: Depth=1
	v_add_co_u32 v21, vcc_lo, v21, 1
	s_delay_alu instid0(VALU_DEP_1) | instskip(SKIP_2) | instid1(VALU_DEP_1)
	v_cndmask_b32_e64 v4, 0, 1, vcc_lo
	v_add_co_ci_u32_e32 v22, vcc_lo, 0, v22, vcc_lo
	s_mov_b32 s0, exec_lo
	v_cmp_eq_u32_e32 vcc_lo, 0, v22
	s_delay_alu instid0(VALU_DEP_3) | instskip(NEXT) | instid1(VALU_DEP_1)
	v_cndmask_b32_e32 v4, 0, v4, vcc_lo
	v_add_nc_u32_e32 v13, v4, v13
	s_delay_alu instid0(VALU_DEP_1) | instskip(SKIP_2) | instid1(VALU_DEP_2)
	v_cmp_eq_u32_e32 vcc_lo, 0, v13
	v_cndmask_b32_e32 v4, 0, v4, vcc_lo
	v_mad_u64_u32 v[6:7], null, 0xcd9e8d57, v13, 0
	v_add_nc_u32_e32 v14, v4, v14
	v_mad_u64_u32 v[4:5], null, 0xd2511f53, v21, 0
	s_delay_alu instid0(VALU_DEP_3) | instskip(NEXT) | instid1(VALU_DEP_2)
	v_xor3_b32 v9, v7, v11, v22
	v_xor_b32_e32 v5, v5, v12
	s_delay_alu instid0(VALU_DEP_2) | instskip(NEXT) | instid1(VALU_DEP_2)
	v_mad_u64_u32 v[7:8], null, 0xd2511f53, v9, 0
	v_xor_b32_e32 v5, v14, v5
	s_delay_alu instid0(VALU_DEP_2) | instskip(NEXT) | instid1(VALU_DEP_2)
	v_xor3_b32 v8, v23, v8, v4
	v_mad_u64_u32 v[9:10], null, 0xcd9e8d57, v5, 0
	s_delay_alu instid0(VALU_DEP_2) | instskip(NEXT) | instid1(VALU_DEP_2)
	v_mad_u64_u32 v[4:5], null, 0xcd9e8d57, v8, 0
	v_xor3_b32 v6, v24, v10, v6
	s_delay_alu instid0(VALU_DEP_2) | instskip(NEXT) | instid1(VALU_DEP_2)
	v_xor3_b32 v8, v25, v5, v9
	v_mad_u64_u32 v[19:20], null, 0xd2511f53, v6, 0
	s_delay_alu instid0(VALU_DEP_2) | instskip(NEXT) | instid1(VALU_DEP_2)
	v_mad_u64_u32 v[5:6], null, 0xd2511f53, v8, 0
	v_xor3_b32 v9, v26, v20, v7
	s_delay_alu instid0(VALU_DEP_2) | instskip(NEXT) | instid1(VALU_DEP_2)
	v_xor3_b32 v6, v27, v6, v19
	v_mad_u64_u32 v[7:8], null, 0xcd9e8d57, v9, 0
	s_delay_alu instid0(VALU_DEP_1) | instskip(NEXT) | instid1(VALU_DEP_3)
	v_xor3_b32 v4, v28, v8, v4
	v_mad_u64_u32 v[8:9], null, 0xcd9e8d57, v6, 0
	s_delay_alu instid0(VALU_DEP_2) | instskip(NEXT) | instid1(VALU_DEP_2)
	v_mad_u64_u32 v[19:20], null, 0xd2511f53, v4, 0
	v_xor3_b32 v6, v29, v9, v7
	s_delay_alu instid0(VALU_DEP_2) | instskip(NEXT) | instid1(VALU_DEP_2)
	v_xor3_b32 v9, v30, v20, v5
	v_mad_u64_u32 v[4:5], null, 0xd2511f53, v6, 0
	s_delay_alu instid0(VALU_DEP_2) | instskip(NEXT) | instid1(VALU_DEP_2)
	v_mad_u64_u32 v[6:7], null, 0xcd9e8d57, v9, 0
	v_xor3_b32 v5, v31, v5, v19
	s_delay_alu instid0(VALU_DEP_2) | instskip(NEXT) | instid1(VALU_DEP_2)
	;; [unrolled: 6-line block ×6, first 2 shown]
	v_xor3_b32 v4, v6, v7, v40
	v_mov_b32_e32 v6, v10
	v_cmpx_lt_i32_e32 1, v39
	s_xor_b32 s0, exec_lo, s0
	s_cbranch_execz .LBB100_12
; %bb.7:                                ;   in Loop: Header=BB100_6 Depth=1
	s_mov_b32 s1, exec_lo
	v_cmpx_lt_i32_e32 2, v39
	s_xor_b32 s1, exec_lo, s1
; %bb.8:                                ;   in Loop: Header=BB100_6 Depth=1
	v_dual_mov_b32 v7, v3 :: v_dual_mov_b32 v8, v4
	v_mov_b32_e32 v9, v5
	s_delay_alu instid0(VALU_DEP_2) | instskip(NEXT) | instid1(VALU_DEP_2)
	v_dual_mov_b32 v0, v7 :: v_dual_mov_b32 v1, v8
	v_dual_mov_b32 v2, v9 :: v_dual_mov_b32 v3, v10
; %bb.9:                                ;   in Loop: Header=BB100_6 Depth=1
	s_and_not1_saveexec_b32 s1, s1
; %bb.10:                               ;   in Loop: Header=BB100_6 Depth=1
	s_delay_alu instid0(VALU_DEP_1)
	v_dual_mov_b32 v0, v2 :: v_dual_mov_b32 v1, v3
	v_dual_mov_b32 v2, v4 :: v_dual_mov_b32 v3, v5
; %bb.11:                               ;   in Loop: Header=BB100_6 Depth=1
	s_or_b32 exec_lo, exec_lo, s1
.LBB100_12:                             ;   in Loop: Header=BB100_6 Depth=1
	s_and_not1_saveexec_b32 s0, s0
	s_cbranch_execz .LBB100_5
; %bb.13:                               ;   in Loop: Header=BB100_6 Depth=1
	s_mov_b32 s1, exec_lo
	v_cmpx_eq_u32_e32 1, v39
	s_cbranch_execz .LBB100_4
; %bb.14:                               ;   in Loop: Header=BB100_6 Depth=1
	v_dual_mov_b32 v0, v1 :: v_dual_mov_b32 v1, v2
	v_dual_mov_b32 v2, v3 :: v_dual_mov_b32 v3, v4
	s_branch .LBB100_4
.LBB100_15:
	s_endpgm
	.section	.rodata,"a",@progbits
	.p2align	6, 0x0
	.amdhsa_kernel _ZN2at6native12_GLOBAL__N_124fused_dropout_kernel_vecIN3c104HalfEfmLi1ELi4EhEEvNS_4cuda6detail10TensorInfoIKT_T1_EENS7_IS8_SA_EENS7_IT4_SA_EESA_T0_NS_15PhiloxCudaStateE
		.amdhsa_group_segment_fixed_size 0
		.amdhsa_private_segment_fixed_size 0
		.amdhsa_kernarg_size 1552
		.amdhsa_user_sgpr_count 15
		.amdhsa_user_sgpr_dispatch_ptr 0
		.amdhsa_user_sgpr_queue_ptr 0
		.amdhsa_user_sgpr_kernarg_segment_ptr 1
		.amdhsa_user_sgpr_dispatch_id 0
		.amdhsa_user_sgpr_private_segment_size 0
		.amdhsa_wavefront_size32 1
		.amdhsa_uses_dynamic_stack 0
		.amdhsa_enable_private_segment 0
		.amdhsa_system_sgpr_workgroup_id_x 1
		.amdhsa_system_sgpr_workgroup_id_y 0
		.amdhsa_system_sgpr_workgroup_id_z 0
		.amdhsa_system_sgpr_workgroup_info 0
		.amdhsa_system_vgpr_workitem_id 0
		.amdhsa_next_free_vgpr 49
		.amdhsa_next_free_sgpr 16
		.amdhsa_reserve_vcc 1
		.amdhsa_float_round_mode_32 0
		.amdhsa_float_round_mode_16_64 0
		.amdhsa_float_denorm_mode_32 3
		.amdhsa_float_denorm_mode_16_64 3
		.amdhsa_dx10_clamp 1
		.amdhsa_ieee_mode 1
		.amdhsa_fp16_overflow 0
		.amdhsa_workgroup_processor_mode 1
		.amdhsa_memory_ordered 1
		.amdhsa_forward_progress 0
		.amdhsa_shared_vgpr_count 0
		.amdhsa_exception_fp_ieee_invalid_op 0
		.amdhsa_exception_fp_denorm_src 0
		.amdhsa_exception_fp_ieee_div_zero 0
		.amdhsa_exception_fp_ieee_overflow 0
		.amdhsa_exception_fp_ieee_underflow 0
		.amdhsa_exception_fp_ieee_inexact 0
		.amdhsa_exception_int_div_zero 0
	.end_amdhsa_kernel
	.section	.text._ZN2at6native12_GLOBAL__N_124fused_dropout_kernel_vecIN3c104HalfEfmLi1ELi4EhEEvNS_4cuda6detail10TensorInfoIKT_T1_EENS7_IS8_SA_EENS7_IT4_SA_EESA_T0_NS_15PhiloxCudaStateE,"axG",@progbits,_ZN2at6native12_GLOBAL__N_124fused_dropout_kernel_vecIN3c104HalfEfmLi1ELi4EhEEvNS_4cuda6detail10TensorInfoIKT_T1_EENS7_IS8_SA_EENS7_IT4_SA_EESA_T0_NS_15PhiloxCudaStateE,comdat
.Lfunc_end100:
	.size	_ZN2at6native12_GLOBAL__N_124fused_dropout_kernel_vecIN3c104HalfEfmLi1ELi4EhEEvNS_4cuda6detail10TensorInfoIKT_T1_EENS7_IS8_SA_EENS7_IT4_SA_EESA_T0_NS_15PhiloxCudaStateE, .Lfunc_end100-_ZN2at6native12_GLOBAL__N_124fused_dropout_kernel_vecIN3c104HalfEfmLi1ELi4EhEEvNS_4cuda6detail10TensorInfoIKT_T1_EENS7_IS8_SA_EENS7_IT4_SA_EESA_T0_NS_15PhiloxCudaStateE
                                        ; -- End function
	.section	.AMDGPU.csdata,"",@progbits
; Kernel info:
; codeLenInByte = 2140
; NumSgprs: 18
; NumVgprs: 49
; ScratchSize: 0
; MemoryBound: 0
; FloatMode: 240
; IeeeMode: 1
; LDSByteSize: 0 bytes/workgroup (compile time only)
; SGPRBlocks: 2
; VGPRBlocks: 6
; NumSGPRsForWavesPerEU: 18
; NumVGPRsForWavesPerEU: 49
; Occupancy: 16
; WaveLimiterHint : 1
; COMPUTE_PGM_RSRC2:SCRATCH_EN: 0
; COMPUTE_PGM_RSRC2:USER_SGPR: 15
; COMPUTE_PGM_RSRC2:TRAP_HANDLER: 0
; COMPUTE_PGM_RSRC2:TGID_X_EN: 1
; COMPUTE_PGM_RSRC2:TGID_Y_EN: 0
; COMPUTE_PGM_RSRC2:TGID_Z_EN: 0
; COMPUTE_PGM_RSRC2:TIDIG_COMP_CNT: 0
	.section	.text._ZN2at6native12_GLOBAL__N_124fused_dropout_kernel_vecIN3c104HalfEfmLi1ELi2EhEEvNS_4cuda6detail10TensorInfoIKT_T1_EENS7_IS8_SA_EENS7_IT4_SA_EESA_T0_NS_15PhiloxCudaStateE,"axG",@progbits,_ZN2at6native12_GLOBAL__N_124fused_dropout_kernel_vecIN3c104HalfEfmLi1ELi2EhEEvNS_4cuda6detail10TensorInfoIKT_T1_EENS7_IS8_SA_EENS7_IT4_SA_EESA_T0_NS_15PhiloxCudaStateE,comdat
	.globl	_ZN2at6native12_GLOBAL__N_124fused_dropout_kernel_vecIN3c104HalfEfmLi1ELi2EhEEvNS_4cuda6detail10TensorInfoIKT_T1_EENS7_IS8_SA_EENS7_IT4_SA_EESA_T0_NS_15PhiloxCudaStateE ; -- Begin function _ZN2at6native12_GLOBAL__N_124fused_dropout_kernel_vecIN3c104HalfEfmLi1ELi2EhEEvNS_4cuda6detail10TensorInfoIKT_T1_EENS7_IS8_SA_EENS7_IT4_SA_EESA_T0_NS_15PhiloxCudaStateE
	.p2align	8
	.type	_ZN2at6native12_GLOBAL__N_124fused_dropout_kernel_vecIN3c104HalfEfmLi1ELi2EhEEvNS_4cuda6detail10TensorInfoIKT_T1_EENS7_IS8_SA_EENS7_IT4_SA_EESA_T0_NS_15PhiloxCudaStateE,@function
_ZN2at6native12_GLOBAL__N_124fused_dropout_kernel_vecIN3c104HalfEfmLi1ELi2EhEEvNS_4cuda6detail10TensorInfoIKT_T1_EENS7_IS8_SA_EENS7_IT4_SA_EESA_T0_NS_15PhiloxCudaStateE: ; @_ZN2at6native12_GLOBAL__N_124fused_dropout_kernel_vecIN3c104HalfEfmLi1ELi2EhEEvNS_4cuda6detail10TensorInfoIKT_T1_EENS7_IS8_SA_EENS7_IT4_SA_EESA_T0_NS_15PhiloxCudaStateE
; %bb.0:
	s_clause 0x1
	s_load_b128 s[4:7], s[0:1], 0x4f0
	s_load_b32 s2, s[0:1], 0x508
	s_waitcnt lgkmcnt(0)
	v_dual_mov_b32 v1, s6 :: v_dual_mov_b32 v2, s7
	v_dual_mov_b32 v9, s5 :: v_dual_mov_b32 v8, s4
	s_bitcmp0_b32 s2, 0
	s_cbranch_scc1 .LBB101_2
; %bb.1:
	v_dual_mov_b32 v1, s6 :: v_dual_mov_b32 v2, s7
	v_dual_mov_b32 v3, s4 :: v_dual_mov_b32 v4, s5
	s_load_b64 s[2:3], s[0:1], 0x500
	flat_load_b64 v[1:2], v[1:2]
	flat_load_b64 v[8:9], v[3:4]
	s_waitcnt vmcnt(1) lgkmcnt(0)
	v_add_co_u32 v1, vcc_lo, v1, s2
	v_add_co_ci_u32_e32 v2, vcc_lo, s3, v2, vcc_lo
.LBB101_2:
	s_clause 0x1
	s_load_b32 s4, s[0:1], 0x51c
	s_load_b64 s[2:3], s[0:1], 0x4e0
	s_add_u32 s10, s0, 0x510
	s_addc_u32 s11, s1, 0
	s_waitcnt lgkmcnt(0)
	s_and_b32 s12, s4, 0xffff
	s_mov_b32 s4, exec_lo
	v_mad_u64_u32 v[10:11], null, s15, s12, v[0:1]
	v_mov_b32_e32 v11, 0
	s_delay_alu instid0(VALU_DEP_1) | instskip(NEXT) | instid1(VALU_DEP_1)
	v_lshlrev_b64 v[12:13], 1, v[10:11]
	v_cmpx_gt_u64_e64 s[2:3], v[12:13]
	s_cbranch_execz .LBB101_15
; %bb.3:
	v_alignbit_b32 v18, v2, v1, 2
	v_mad_u64_u32 v[3:4], null, 0xcd9e8d57, v10, 0
	v_lshrrev_b32_e32 v19, 2, v2
	s_waitcnt vmcnt(0)
	v_mov_b32_e32 v16, v9
	v_mad_u64_u32 v[5:6], null, 0xd2511f53, v18, 0
	v_add_co_u32 v21, null, 0x9e3779b9, v8
	v_xor3_b32 v0, v8, v4, v19
	s_delay_alu instid0(VALU_DEP_4) | instskip(SKIP_2) | instid1(VALU_DEP_4)
	v_add_co_u32 v20, null, 0xbb67ae85, v16
	v_add_co_u32 v22, null, 0x3c6ef372, v8
	v_xor_b32_e32 v2, v6, v9
	v_mad_u64_u32 v[6:7], null, 0xd2511f53, v0, 0
	v_add_co_u32 v23, null, 0x76cf5d0a, v16
	s_delay_alu instid0(VALU_DEP_3) | instskip(SKIP_1) | instid1(VALU_DEP_4)
	v_mad_u64_u32 v[14:15], null, 0xcd9e8d57, v2, 0
	v_add_co_u32 v24, null, 0x32370b8f, v16
	v_xor3_b32 v0, v20, v7, v5
	v_add_co_u32 v25, null, 0xdaa66d2b, v8
	s_load_b32 s14, s[0:1], 0x4e8
	s_delay_alu instid0(VALU_DEP_4) | instskip(NEXT) | instid1(VALU_DEP_3)
	v_xor3_b32 v7, v15, v21, v3
	v_mad_u64_u32 v[2:3], null, 0xcd9e8d57, v0, 0
	v_add_co_u32 v26, null, 0x78dde6e4, v8
	s_delay_alu instid0(VALU_DEP_3) | instskip(SKIP_1) | instid1(VALU_DEP_4)
	v_mad_u64_u32 v[4:5], null, 0xd2511f53, v7, 0
	v_add_co_u32 v27, null, 0xed9eba14, v16
	v_xor3_b32 v0, v22, v3, v14
	v_add_co_u32 v28, null, 0xa9066899, v16
	v_add_co_u32 v29, null, 0x1715609d, v8
	v_xor3_b32 v3, v5, v23, v6
	s_delay_alu instid0(VALU_DEP_4) | instskip(SKIP_1) | instid1(VALU_DEP_3)
	v_mad_u64_u32 v[5:6], null, 0xd2511f53, v0, 0
	v_add_co_u32 v30, null, 0xb54cda56, v8
	v_mad_u64_u32 v[14:15], null, 0xcd9e8d57, v3, 0
	v_add_co_u32 v31, null, 0x5384540f, v8
	s_delay_alu instid0(VALU_DEP_4)
	v_xor3_b32 v0, v24, v6, v4
	s_waitcnt lgkmcnt(0)
	v_div_scale_f32 v17, vcc_lo, 1.0, s14, 1.0
	s_clause 0x2
	s_load_b64 s[4:5], s[0:1], 0x0
	s_load_b64 s[6:7], s[0:1], 0x1a0
	;; [unrolled: 1-line block ×3, first 2 shown]
	v_xor3_b32 v4, v15, v25, v2
	v_mad_u64_u32 v[2:3], null, 0xcd9e8d57, v0, 0
	s_load_b32 s0, s[10:11], 0x0
	v_add_co_u32 v34, null, 0xf1bbcdc8, v8
	s_delay_alu instid0(VALU_DEP_3) | instskip(SKIP_1) | instid1(VALU_DEP_3)
	v_mad_u64_u32 v[6:7], null, 0xd2511f53, v4, 0
	s_mov_b32 s11, 0
	v_xor3_b32 v0, v26, v3, v14
	s_delay_alu instid0(VALU_DEP_2) | instskip(NEXT) | instid1(VALU_DEP_2)
	v_xor3_b32 v5, v7, v27, v5
	v_mad_u64_u32 v[3:4], null, 0xd2511f53, v0, 0
	v_div_scale_f32 v0, null, s14, s14, 1.0
	s_delay_alu instid0(VALU_DEP_3) | instskip(NEXT) | instid1(VALU_DEP_2)
	v_mad_u64_u32 v[14:15], null, 0xcd9e8d57, v5, 0
	v_rcp_f32_e32 v37, v0
	s_delay_alu instid0(VALU_DEP_3) | instskip(SKIP_2) | instid1(SALU_CYCLE_1)
	v_xor3_b32 v6, v28, v4, v6
	s_waitcnt lgkmcnt(0)
	s_mul_i32 s0, s0, s12
	s_lshl_b32 s10, s0, 1
	s_delay_alu instid0(VALU_DEP_2) | instskip(SKIP_2) | instid1(VALU_DEP_2)
	v_xor3_b32 v2, v15, v29, v2
	v_mad_u64_u32 v[4:5], null, 0xcd9e8d57, v6, 0
	s_lshl_b64 s[12:13], s[10:11], 1
	v_mad_u64_u32 v[6:7], null, 0xd2511f53, v2, 0
	s_waitcnt_depctr 0xfff
	v_fma_f32 v2, -v0, v37, 1.0
	v_xor3_b32 v5, v30, v5, v14
	s_delay_alu instid0(VALU_DEP_2) | instskip(SKIP_2) | instid1(VALU_DEP_3)
	v_fmac_f32_e32 v37, v2, v37
	v_add_co_u32 v32, null, 0x646e171e, v16
	v_add_co_u32 v33, null, 0x1fd5c5a3, v16
	v_mul_f32_e32 v38, v17, v37
	s_delay_alu instid0(VALU_DEP_3) | instskip(SKIP_2) | instid1(VALU_DEP_3)
	v_xor3_b32 v7, v7, v32, v3
	v_mad_u64_u32 v[2:3], null, 0xd2511f53, v5, 0
	v_add_co_u32 v35, null, 0xdb3d7428, v16
	v_mad_u64_u32 v[14:15], null, 0xcd9e8d57, v7, 0
	v_fma_f32 v36, -v0, v38, v17
	s_delay_alu instid0(VALU_DEP_4) | instskip(NEXT) | instid1(VALU_DEP_2)
	v_xor3_b32 v3, v33, v3, v6
	v_fmac_f32_e32 v38, v36, v37
	s_delay_alu instid0(VALU_DEP_4) | instskip(NEXT) | instid1(VALU_DEP_3)
	v_xor3_b32 v15, v15, v31, v4
	v_mad_u64_u32 v[4:5], null, 0xcd9e8d57, v3, 0
	s_delay_alu instid0(VALU_DEP_3) | instskip(NEXT) | instid1(VALU_DEP_3)
	v_fma_f32 v0, -v0, v38, v17
	v_mad_u64_u32 v[6:7], null, 0xd2511f53, v15, 0
	s_delay_alu instid0(VALU_DEP_3) | instskip(SKIP_1) | instid1(VALU_DEP_4)
	v_xor3_b32 v3, v34, v5, v14
	v_lshlrev_b64 v[14:15], 2, v[10:11]
	v_div_fmas_f32 v0, v0, v37, v38
	v_add_nc_u32_e32 v37, 0x8ff34781, v8
	v_xor3_b32 v5, v7, v35, v2
	v_mad_u64_u32 v[16:17], null, 0xd2511f53, v3, 0
	v_and_b32_e32 v36, 3, v1
	v_add_nc_u32_e32 v38, 0x96a522ad, v9
	s_delay_alu instid0(VALU_DEP_4) | instskip(SKIP_3) | instid1(VALU_DEP_4)
	v_mad_u64_u32 v[1:2], null, 0xcd9e8d57, v5, 0
	v_div_fixup_f32 v39, v0, s14, 1.0
	v_or_b32_e32 v14, 2, v14
	v_mov_b32_e32 v3, v16
	v_xor3_b32 v0, v4, v2, v37
	v_xor3_b32 v2, v17, v6, v38
	s_branch .LBB101_6
.LBB101_4:                              ;   in Loop: Header=BB101_6 Depth=1
	s_or_b32 exec_lo, exec_lo, s1
.LBB101_5:                              ;   in Loop: Header=BB101_6 Depth=1
	s_delay_alu instid0(SALU_CYCLE_1)
	s_or_b32 exec_lo, exec_lo, s0
	v_add_co_u32 v2, vcc_lo, s4, v14
	v_add_co_ci_u32_e32 v3, vcc_lo, s5, v15, vcc_lo
	v_cvt_f32_u32_e32 v0, v0
	v_cvt_f32_u32_e32 v1, v1
	global_load_b32 v2, v[2:3], off offset:-2
	v_dual_fmaak_f32 v0, 0x2f800000, v0, 0x2f800000 :: v_dual_fmaak_f32 v1, 0x2f800000, v1, 0x2f800000
	s_delay_alu instid0(VALU_DEP_1) | instskip(NEXT) | instid1(VALU_DEP_2)
	v_cmp_gt_f32_e32 vcc_lo, s14, v0
	v_cmp_gt_f32_e64 s0, s14, v1
	v_cndmask_b32_e64 v0, 0, 1.0, vcc_lo
	s_delay_alu instid0(VALU_DEP_2) | instskip(SKIP_1) | instid1(VALU_DEP_1)
	v_cndmask_b32_e64 v3, 0, 1.0, s0
	v_cndmask_b32_e64 v40, 0, 1, s0
	v_lshlrev_b16 v42, 8, v40
	s_waitcnt vmcnt(0)
	v_lshrrev_b32_e32 v1, 16, v2
	v_cvt_f32_f16_e32 v2, v2
	s_delay_alu instid0(VALU_DEP_2) | instskip(SKIP_1) | instid1(VALU_DEP_3)
	v_cvt_f32_f16_e32 v1, v1
	v_mov_b32_e32 v7, v16
	v_mul_f32_e32 v0, v0, v2
	v_add_co_u32 v16, s1, s8, v12
	v_add_co_u32 v12, s0, v12, s10
	v_add_co_ci_u32_e64 v17, s1, s9, v13, s1
	v_add_co_ci_u32_e64 v13, s0, 0, v13, s0
	v_cndmask_b32_e64 v2, 0, 1, vcc_lo
	v_fma_mixlo_f16 v43, v39, v0, 0
	v_mul_f32_e32 v0, v3, v1
	v_add_co_u32 v40, vcc_lo, s6, v14
	v_add_co_ci_u32_e32 v41, vcc_lo, s7, v15, vcc_lo
	v_cmp_le_u64_e32 vcc_lo, s[2:3], v[12:13]
	v_add_co_u32 v14, s0, v14, s12
	v_or_b32_e32 v42, v2, v42
	v_fma_mixhi_f16 v43, v39, v0, 0
	v_dual_mov_b32 v0, v4 :: v_dual_mov_b32 v3, v7
	v_add_co_ci_u32_e64 v15, s0, s13, v15, s0
	v_dual_mov_b32 v1, v5 :: v_dual_mov_b32 v2, v6
	s_or_b32 s11, vcc_lo, s11
	global_store_b32 v[40:41], v43, off offset:-2
	global_store_b16 v[16:17], v42, off
	s_waitcnt_vscnt null, 0x0
	s_barrier
	buffer_gl0_inv
	s_and_not1_b32 exec_lo, exec_lo, s11
	s_cbranch_execz .LBB101_15
.LBB101_6:                              ; =>This Inner Loop Header: Depth=1
	v_add_co_u32 v18, vcc_lo, v18, 1
	s_delay_alu instid0(VALU_DEP_1) | instskip(SKIP_2) | instid1(VALU_DEP_1)
	v_cndmask_b32_e64 v4, 0, 1, vcc_lo
	v_add_co_ci_u32_e32 v19, vcc_lo, 0, v19, vcc_lo
	s_mov_b32 s0, exec_lo
	v_cmp_eq_u32_e32 vcc_lo, 0, v19
	s_delay_alu instid0(VALU_DEP_3) | instskip(NEXT) | instid1(VALU_DEP_1)
	v_cndmask_b32_e32 v4, 0, v4, vcc_lo
	v_add_nc_u32_e32 v10, v4, v10
	s_delay_alu instid0(VALU_DEP_1) | instskip(SKIP_2) | instid1(VALU_DEP_2)
	v_cmp_eq_u32_e32 vcc_lo, 0, v10
	v_mad_u64_u32 v[6:7], null, 0xcd9e8d57, v10, 0
	v_cndmask_b32_e32 v4, 0, v4, vcc_lo
	v_xor3_b32 v7, v7, v8, v19
	s_delay_alu instid0(VALU_DEP_2) | instskip(SKIP_1) | instid1(VALU_DEP_3)
	v_add_nc_u32_e32 v11, v4, v11
	v_mad_u64_u32 v[4:5], null, 0xd2511f53, v18, 0
	v_mad_u64_u32 v[40:41], null, 0xd2511f53, v7, 0
	s_delay_alu instid0(VALU_DEP_2) | instskip(NEXT) | instid1(VALU_DEP_1)
	v_xor_b32_e32 v5, v5, v9
	v_xor_b32_e32 v5, v11, v5
	s_delay_alu instid0(VALU_DEP_1) | instskip(NEXT) | instid1(VALU_DEP_1)
	v_mad_u64_u32 v[16:17], null, 0xcd9e8d57, v5, 0
	v_xor3_b32 v6, v21, v17, v6
	v_xor3_b32 v17, v20, v41, v4
	s_delay_alu instid0(VALU_DEP_2) | instskip(NEXT) | instid1(VALU_DEP_2)
	v_mad_u64_u32 v[4:5], null, 0xd2511f53, v6, 0
	v_mad_u64_u32 v[6:7], null, 0xcd9e8d57, v17, 0
	s_delay_alu instid0(VALU_DEP_2) | instskip(NEXT) | instid1(VALU_DEP_2)
	v_xor3_b32 v5, v23, v5, v40
	v_xor3_b32 v7, v22, v7, v16
	s_delay_alu instid0(VALU_DEP_2) | instskip(NEXT) | instid1(VALU_DEP_2)
	v_mad_u64_u32 v[16:17], null, 0xcd9e8d57, v5, 0
	v_mad_u64_u32 v[40:41], null, 0xd2511f53, v7, 0
	s_delay_alu instid0(VALU_DEP_2) | instskip(NEXT) | instid1(VALU_DEP_2)
	v_xor3_b32 v6, v25, v17, v6
	v_xor3_b32 v17, v24, v41, v4
	s_delay_alu instid0(VALU_DEP_2) | instskip(NEXT) | instid1(VALU_DEP_2)
	v_mad_u64_u32 v[4:5], null, 0xd2511f53, v6, 0
	v_mad_u64_u32 v[6:7], null, 0xcd9e8d57, v17, 0
	s_delay_alu instid0(VALU_DEP_2) | instskip(NEXT) | instid1(VALU_DEP_2)
	v_xor3_b32 v5, v27, v5, v40
	v_xor3_b32 v7, v26, v7, v16
	s_delay_alu instid0(VALU_DEP_2) | instskip(NEXT) | instid1(VALU_DEP_2)
	v_mad_u64_u32 v[16:17], null, 0xcd9e8d57, v5, 0
	v_mad_u64_u32 v[40:41], null, 0xd2511f53, v7, 0
	s_delay_alu instid0(VALU_DEP_2) | instskip(NEXT) | instid1(VALU_DEP_2)
	v_xor3_b32 v6, v29, v17, v6
	v_xor3_b32 v17, v28, v41, v4
	s_delay_alu instid0(VALU_DEP_2) | instskip(NEXT) | instid1(VALU_DEP_2)
	v_mad_u64_u32 v[4:5], null, 0xd2511f53, v6, 0
	v_mad_u64_u32 v[6:7], null, 0xcd9e8d57, v17, 0
	s_delay_alu instid0(VALU_DEP_2) | instskip(NEXT) | instid1(VALU_DEP_2)
	v_xor3_b32 v5, v32, v5, v40
	v_xor3_b32 v7, v30, v7, v16
	s_delay_alu instid0(VALU_DEP_2) | instskip(NEXT) | instid1(VALU_DEP_2)
	v_mad_u64_u32 v[16:17], null, 0xcd9e8d57, v5, 0
	v_mad_u64_u32 v[40:41], null, 0xd2511f53, v7, 0
	s_delay_alu instid0(VALU_DEP_2) | instskip(NEXT) | instid1(VALU_DEP_2)
	v_xor3_b32 v5, v31, v17, v6
	v_xor3_b32 v6, v33, v41, v4
	s_delay_alu instid0(VALU_DEP_2) | instskip(NEXT) | instid1(VALU_DEP_2)
	v_mad_u64_u32 v[41:42], null, 0xd2511f53, v5, 0
	v_mad_u64_u32 v[4:5], null, 0xcd9e8d57, v6, 0
	s_delay_alu instid0(VALU_DEP_2) | instskip(NEXT) | instid1(VALU_DEP_2)
	v_xor3_b32 v7, v35, v42, v40
	v_xor3_b32 v40, v34, v5, v16
	s_delay_alu instid0(VALU_DEP_2) | instskip(NEXT) | instid1(VALU_DEP_2)
	v_mad_u64_u32 v[5:6], null, 0xcd9e8d57, v7, 0
	v_mad_u64_u32 v[16:17], null, 0xd2511f53, v40, 0
	s_delay_alu instid0(VALU_DEP_2) | instskip(NEXT) | instid1(VALU_DEP_2)
	v_xor3_b32 v4, v6, v4, v37
	v_xor3_b32 v6, v17, v41, v38
	v_cmpx_lt_i32_e32 1, v36
	s_xor_b32 s0, exec_lo, s0
	s_cbranch_execz .LBB101_12
; %bb.7:                                ;   in Loop: Header=BB101_6 Depth=1
	s_mov_b32 s1, exec_lo
	v_cmpx_lt_i32_e32 2, v36
	s_xor_b32 s1, exec_lo, s1
; %bb.8:                                ;   in Loop: Header=BB101_6 Depth=1
	v_dual_mov_b32 v0, v3 :: v_dual_mov_b32 v1, v4
; %bb.9:                                ;   in Loop: Header=BB101_6 Depth=1
	s_and_not1_saveexec_b32 s1, s1
; %bb.10:                               ;   in Loop: Header=BB101_6 Depth=1
	v_dual_mov_b32 v0, v2 :: v_dual_mov_b32 v1, v3
; %bb.11:                               ;   in Loop: Header=BB101_6 Depth=1
	s_or_b32 exec_lo, exec_lo, s1
.LBB101_12:                             ;   in Loop: Header=BB101_6 Depth=1
	s_and_not1_saveexec_b32 s0, s0
	s_cbranch_execz .LBB101_5
; %bb.13:                               ;   in Loop: Header=BB101_6 Depth=1
	s_mov_b32 s1, exec_lo
	v_cmpx_eq_u32_e32 1, v36
	s_cbranch_execz .LBB101_4
; %bb.14:                               ;   in Loop: Header=BB101_6 Depth=1
	v_dual_mov_b32 v0, v1 :: v_dual_mov_b32 v1, v2
	s_branch .LBB101_4
.LBB101_15:
	s_endpgm
	.section	.rodata,"a",@progbits
	.p2align	6, 0x0
	.amdhsa_kernel _ZN2at6native12_GLOBAL__N_124fused_dropout_kernel_vecIN3c104HalfEfmLi1ELi2EhEEvNS_4cuda6detail10TensorInfoIKT_T1_EENS7_IS8_SA_EENS7_IT4_SA_EESA_T0_NS_15PhiloxCudaStateE
		.amdhsa_group_segment_fixed_size 0
		.amdhsa_private_segment_fixed_size 0
		.amdhsa_kernarg_size 1552
		.amdhsa_user_sgpr_count 15
		.amdhsa_user_sgpr_dispatch_ptr 0
		.amdhsa_user_sgpr_queue_ptr 0
		.amdhsa_user_sgpr_kernarg_segment_ptr 1
		.amdhsa_user_sgpr_dispatch_id 0
		.amdhsa_user_sgpr_private_segment_size 0
		.amdhsa_wavefront_size32 1
		.amdhsa_uses_dynamic_stack 0
		.amdhsa_enable_private_segment 0
		.amdhsa_system_sgpr_workgroup_id_x 1
		.amdhsa_system_sgpr_workgroup_id_y 0
		.amdhsa_system_sgpr_workgroup_id_z 0
		.amdhsa_system_sgpr_workgroup_info 0
		.amdhsa_system_vgpr_workitem_id 0
		.amdhsa_next_free_vgpr 44
		.amdhsa_next_free_sgpr 16
		.amdhsa_reserve_vcc 1
		.amdhsa_float_round_mode_32 0
		.amdhsa_float_round_mode_16_64 0
		.amdhsa_float_denorm_mode_32 3
		.amdhsa_float_denorm_mode_16_64 3
		.amdhsa_dx10_clamp 1
		.amdhsa_ieee_mode 1
		.amdhsa_fp16_overflow 0
		.amdhsa_workgroup_processor_mode 1
		.amdhsa_memory_ordered 1
		.amdhsa_forward_progress 0
		.amdhsa_shared_vgpr_count 0
		.amdhsa_exception_fp_ieee_invalid_op 0
		.amdhsa_exception_fp_denorm_src 0
		.amdhsa_exception_fp_ieee_div_zero 0
		.amdhsa_exception_fp_ieee_overflow 0
		.amdhsa_exception_fp_ieee_underflow 0
		.amdhsa_exception_fp_ieee_inexact 0
		.amdhsa_exception_int_div_zero 0
	.end_amdhsa_kernel
	.section	.text._ZN2at6native12_GLOBAL__N_124fused_dropout_kernel_vecIN3c104HalfEfmLi1ELi2EhEEvNS_4cuda6detail10TensorInfoIKT_T1_EENS7_IS8_SA_EENS7_IT4_SA_EESA_T0_NS_15PhiloxCudaStateE,"axG",@progbits,_ZN2at6native12_GLOBAL__N_124fused_dropout_kernel_vecIN3c104HalfEfmLi1ELi2EhEEvNS_4cuda6detail10TensorInfoIKT_T1_EENS7_IS8_SA_EENS7_IT4_SA_EESA_T0_NS_15PhiloxCudaStateE,comdat
.Lfunc_end101:
	.size	_ZN2at6native12_GLOBAL__N_124fused_dropout_kernel_vecIN3c104HalfEfmLi1ELi2EhEEvNS_4cuda6detail10TensorInfoIKT_T1_EENS7_IS8_SA_EENS7_IT4_SA_EESA_T0_NS_15PhiloxCudaStateE, .Lfunc_end101-_ZN2at6native12_GLOBAL__N_124fused_dropout_kernel_vecIN3c104HalfEfmLi1ELi2EhEEvNS_4cuda6detail10TensorInfoIKT_T1_EENS7_IS8_SA_EENS7_IT4_SA_EESA_T0_NS_15PhiloxCudaStateE
                                        ; -- End function
	.section	.AMDGPU.csdata,"",@progbits
; Kernel info:
; codeLenInByte = 1960
; NumSgprs: 18
; NumVgprs: 44
; ScratchSize: 0
; MemoryBound: 0
; FloatMode: 240
; IeeeMode: 1
; LDSByteSize: 0 bytes/workgroup (compile time only)
; SGPRBlocks: 2
; VGPRBlocks: 5
; NumSGPRsForWavesPerEU: 18
; NumVGPRsForWavesPerEU: 44
; Occupancy: 16
; WaveLimiterHint : 1
; COMPUTE_PGM_RSRC2:SCRATCH_EN: 0
; COMPUTE_PGM_RSRC2:USER_SGPR: 15
; COMPUTE_PGM_RSRC2:TRAP_HANDLER: 0
; COMPUTE_PGM_RSRC2:TGID_X_EN: 1
; COMPUTE_PGM_RSRC2:TGID_Y_EN: 0
; COMPUTE_PGM_RSRC2:TGID_Z_EN: 0
; COMPUTE_PGM_RSRC2:TIDIG_COMP_CNT: 0
	.section	.text._ZN2at6native12_GLOBAL__N_120fused_dropout_kernelIN3c104HalfEfmLi1ELi1EhEEvNS_4cuda6detail10TensorInfoIKT_T1_EENS7_IS8_SA_EENS7_IT4_SA_EESA_T0_NS_15PhiloxCudaStateE,"axG",@progbits,_ZN2at6native12_GLOBAL__N_120fused_dropout_kernelIN3c104HalfEfmLi1ELi1EhEEvNS_4cuda6detail10TensorInfoIKT_T1_EENS7_IS8_SA_EENS7_IT4_SA_EESA_T0_NS_15PhiloxCudaStateE,comdat
	.globl	_ZN2at6native12_GLOBAL__N_120fused_dropout_kernelIN3c104HalfEfmLi1ELi1EhEEvNS_4cuda6detail10TensorInfoIKT_T1_EENS7_IS8_SA_EENS7_IT4_SA_EESA_T0_NS_15PhiloxCudaStateE ; -- Begin function _ZN2at6native12_GLOBAL__N_120fused_dropout_kernelIN3c104HalfEfmLi1ELi1EhEEvNS_4cuda6detail10TensorInfoIKT_T1_EENS7_IS8_SA_EENS7_IT4_SA_EESA_T0_NS_15PhiloxCudaStateE
	.p2align	8
	.type	_ZN2at6native12_GLOBAL__N_120fused_dropout_kernelIN3c104HalfEfmLi1ELi1EhEEvNS_4cuda6detail10TensorInfoIKT_T1_EENS7_IS8_SA_EENS7_IT4_SA_EESA_T0_NS_15PhiloxCudaStateE,@function
_ZN2at6native12_GLOBAL__N_120fused_dropout_kernelIN3c104HalfEfmLi1ELi1EhEEvNS_4cuda6detail10TensorInfoIKT_T1_EENS7_IS8_SA_EENS7_IT4_SA_EESA_T0_NS_15PhiloxCudaStateE: ; @_ZN2at6native12_GLOBAL__N_120fused_dropout_kernelIN3c104HalfEfmLi1ELi1EhEEvNS_4cuda6detail10TensorInfoIKT_T1_EENS7_IS8_SA_EENS7_IT4_SA_EESA_T0_NS_15PhiloxCudaStateE
; %bb.0:
	s_clause 0x1
	s_load_b128 s[4:7], s[0:1], 0x4f0
	s_load_b32 s2, s[0:1], 0x508
	s_waitcnt lgkmcnt(0)
	v_dual_mov_b32 v1, s6 :: v_dual_mov_b32 v2, s7
	v_dual_mov_b32 v12, s5 :: v_dual_mov_b32 v11, s4
	s_bitcmp0_b32 s2, 0
	s_mov_b32 s2, 0
	s_cbranch_scc1 .LBB102_2
; %bb.1:
	v_dual_mov_b32 v1, s6 :: v_dual_mov_b32 v2, s7
	v_dual_mov_b32 v3, s4 :: v_dual_mov_b32 v4, s5
	s_load_b64 s[4:5], s[0:1], 0x500
	flat_load_b64 v[1:2], v[1:2]
	flat_load_b64 v[11:12], v[3:4]
	s_waitcnt vmcnt(1) lgkmcnt(0)
	v_add_co_u32 v1, vcc_lo, v1, s4
	v_add_co_ci_u32_e32 v2, vcc_lo, s5, v2, vcc_lo
.LBB102_2:
	s_clause 0x2
	s_load_b32 s3, s[0:1], 0x51c
	s_load_b64 s[4:5], s[0:1], 0x4e0
	s_load_b32 s6, s[0:1], 0x510
	s_waitcnt lgkmcnt(0)
	s_and_b32 s7, s3, 0xffff
	s_add_u32 s8, s4, -1
	s_mul_i32 s20, s6, s7
	s_addc_u32 s3, s5, -1
	s_lshl_b32 s21, s20, 2
	s_cmp_lg_u64 s[2:3], 0
	s_cbranch_scc0 .LBB102_35
; %bb.3:
	v_cvt_f32_u32_e32 v3, s21
	s_sub_u32 s10, 0, s21
	s_subb_u32 s11, 0, 0
	s_delay_alu instid0(VALU_DEP_1) | instskip(NEXT) | instid1(VALU_DEP_1)
	v_fmamk_f32 v3, 0, 0x4f800000, v3
	v_rcp_f32_e32 v3, v3
	s_waitcnt_depctr 0xfff
	v_mul_f32_e32 v3, 0x5f7ffffc, v3
	s_delay_alu instid0(VALU_DEP_1) | instskip(NEXT) | instid1(VALU_DEP_1)
	v_mul_f32_e32 v4, 0x2f800000, v3
	v_trunc_f32_e32 v4, v4
	s_delay_alu instid0(VALU_DEP_1) | instskip(SKIP_1) | instid1(VALU_DEP_2)
	v_fmamk_f32 v3, v4, 0xcf800000, v3
	v_cvt_u32_f32_e32 v4, v4
	v_cvt_u32_f32_e32 v3, v3
	s_delay_alu instid0(VALU_DEP_2) | instskip(NEXT) | instid1(VALU_DEP_2)
	v_readfirstlane_b32 s2, v4
	v_readfirstlane_b32 s9, v3
	s_delay_alu instid0(VALU_DEP_2) | instskip(NEXT) | instid1(VALU_DEP_1)
	s_mul_i32 s12, s10, s2
	s_mul_hi_u32 s14, s10, s9
	s_mul_i32 s13, s11, s9
	s_add_i32 s12, s14, s12
	s_mul_i32 s16, s10, s9
	s_add_i32 s12, s12, s13
	s_mul_hi_u32 s14, s9, s16
	s_mul_hi_u32 s17, s2, s16
	s_mul_i32 s13, s2, s16
	s_mul_hi_u32 s16, s9, s12
	s_mul_i32 s9, s9, s12
	s_mul_hi_u32 s18, s2, s12
	s_add_u32 s9, s14, s9
	s_addc_u32 s14, 0, s16
	s_add_u32 s9, s9, s13
	s_mul_i32 s12, s2, s12
	s_addc_u32 s9, s14, s17
	s_addc_u32 s13, s18, 0
	s_add_u32 s9, s9, s12
	s_addc_u32 s12, 0, s13
	v_add_co_u32 v3, s9, v3, s9
	s_delay_alu instid0(VALU_DEP_1) | instskip(SKIP_1) | instid1(VALU_DEP_1)
	s_cmp_lg_u32 s9, 0
	s_addc_u32 s2, s2, s12
	v_readfirstlane_b32 s9, v3
	s_mul_i32 s12, s10, s2
	s_delay_alu instid0(VALU_DEP_1)
	s_mul_hi_u32 s13, s10, s9
	s_mul_i32 s11, s11, s9
	s_add_i32 s12, s13, s12
	s_mul_i32 s10, s10, s9
	s_add_i32 s12, s12, s11
	s_mul_hi_u32 s13, s2, s10
	s_mul_i32 s14, s2, s10
	s_mul_hi_u32 s10, s9, s10
	s_mul_hi_u32 s16, s9, s12
	s_mul_i32 s9, s9, s12
	s_mul_hi_u32 s11, s2, s12
	s_add_u32 s9, s10, s9
	s_addc_u32 s10, 0, s16
	s_add_u32 s9, s9, s14
	s_mul_i32 s12, s2, s12
	s_addc_u32 s9, s10, s13
	s_addc_u32 s10, s11, 0
	s_add_u32 s9, s9, s12
	s_addc_u32 s10, 0, s10
	v_add_co_u32 v3, s9, v3, s9
	s_delay_alu instid0(VALU_DEP_1) | instskip(SKIP_1) | instid1(VALU_DEP_1)
	s_cmp_lg_u32 s9, 0
	s_addc_u32 s2, s2, s10
	v_readfirstlane_b32 s9, v3
	s_mul_i32 s11, s8, s2
	s_mul_hi_u32 s10, s8, s2
	s_mul_hi_u32 s12, s3, s2
	s_mul_i32 s2, s3, s2
	s_mul_hi_u32 s13, s8, s9
	s_mul_hi_u32 s14, s3, s9
	s_mul_i32 s9, s3, s9
	s_add_u32 s11, s13, s11
	s_addc_u32 s10, 0, s10
	s_add_u32 s9, s11, s9
	s_addc_u32 s9, s10, s14
	s_addc_u32 s10, s12, 0
	s_add_u32 s2, s9, s2
	s_addc_u32 s10, 0, s10
	s_mul_i32 s11, s21, s2
	s_add_u32 s9, s2, 1
	v_sub_co_u32 v3, s11, s8, s11
	s_mul_hi_u32 s12, s21, s2
	s_addc_u32 s13, s10, 0
	s_mul_i32 s14, s21, s10
	s_delay_alu instid0(VALU_DEP_1)
	v_sub_co_u32 v4, s16, v3, s21
	s_add_u32 s17, s2, 2
	s_addc_u32 s18, s10, 0
	s_add_i32 s12, s12, s14
	s_cmp_lg_u32 s11, 0
	v_readfirstlane_b32 s11, v4
	s_subb_u32 s3, s3, s12
	s_cmp_lg_u32 s16, 0
	s_subb_u32 s12, s3, 0
	s_delay_alu instid0(VALU_DEP_1) | instskip(SKIP_4) | instid1(SALU_CYCLE_1)
	s_cmp_ge_u32 s11, s21
	s_cselect_b32 s11, -1, 0
	s_cmp_eq_u32 s12, 0
	v_readfirstlane_b32 s12, v3
	s_cselect_b32 s11, s11, -1
	s_cmp_lg_u32 s11, 0
	s_cselect_b32 s11, s17, s9
	s_cselect_b32 s13, s18, s13
	s_cmp_ge_u32 s12, s21
	s_cselect_b32 s9, -1, 0
	s_cmp_eq_u32 s3, 0
	s_cselect_b32 s3, s9, -1
	s_delay_alu instid0(SALU_CYCLE_1)
	s_cmp_lg_u32 s3, 0
	s_cselect_b32 s3, s13, s10
	s_cselect_b32 s2, s11, s2
	s_cbranch_execnz .LBB102_5
.LBB102_4:
	v_cvt_f32_u32_e32 v3, s21
	s_sub_i32 s3, 0, s21
	s_delay_alu instid0(VALU_DEP_1) | instskip(SKIP_2) | instid1(VALU_DEP_1)
	v_rcp_iflag_f32_e32 v3, v3
	s_waitcnt_depctr 0xfff
	v_mul_f32_e32 v3, 0x4f7ffffe, v3
	v_cvt_u32_f32_e32 v3, v3
	s_delay_alu instid0(VALU_DEP_1) | instskip(NEXT) | instid1(VALU_DEP_1)
	v_readfirstlane_b32 s2, v3
	s_mul_i32 s3, s3, s2
	s_delay_alu instid0(SALU_CYCLE_1) | instskip(NEXT) | instid1(SALU_CYCLE_1)
	s_mul_hi_u32 s3, s2, s3
	s_add_i32 s2, s2, s3
	s_delay_alu instid0(SALU_CYCLE_1) | instskip(NEXT) | instid1(SALU_CYCLE_1)
	s_mul_hi_u32 s2, s8, s2
	s_mul_i32 s3, s2, s21
	s_delay_alu instid0(SALU_CYCLE_1)
	s_sub_i32 s3, s8, s3
	s_add_i32 s8, s2, 1
	s_sub_i32 s9, s3, s21
	s_cmp_ge_u32 s3, s21
	s_cselect_b32 s2, s8, s2
	s_cselect_b32 s3, s9, s3
	s_add_i32 s8, s2, 1
	s_cmp_ge_u32 s3, s21
	s_mov_b32 s3, 0
	s_cselect_b32 s2, s8, s2
.LBB102_5:
	s_delay_alu instid0(SALU_CYCLE_1)
	s_add_u32 s2, s2, 1
	s_addc_u32 s3, s3, 0
	v_mad_u64_u32 v[13:14], null, s15, s7, v[0:1]
	s_mul_i32 s3, s20, s3
	s_mul_hi_u32 s8, s20, s2
	s_mul_hi_u32 s6, s6, s7
	s_add_i32 s3, s8, s3
	s_mul_i32 s6, s6, s2
	v_mov_b32_e32 v14, 0
	s_add_i32 s3, s3, s6
	s_mul_i32 s2, s20, s2
	s_delay_alu instid0(SALU_CYCLE_1)
	s_lshl_b64 s[6:7], s[2:3], 2
	s_mov_b32 s2, exec_lo
	v_cmpx_gt_u64_e64 s[6:7], v[13:14]
	s_cbranch_execz .LBB102_34
; %bb.6:
	v_alignbit_b32 v43, v2, v1, 2
	v_mad_u64_u32 v[3:4], null, 0xcd9e8d57, v13, 0
	v_lshrrev_b32_e32 v44, 2, v2
	s_waitcnt vmcnt(0)
	v_dual_mov_b32 v10, v12 :: v_dual_and_b32 v53, 3, v1
	v_mad_u64_u32 v[5:6], null, 0xd2511f53, v43, 0
	v_add_co_u32 v46, null, 0x9e3779b9, v11
	v_xor3_b32 v0, v11, v4, v44
	s_delay_alu instid0(VALU_DEP_4) | instskip(SKIP_2) | instid1(VALU_DEP_4)
	v_add_co_u32 v45, null, 0xbb67ae85, v10
	v_add_co_u32 v47, null, 0x3c6ef372, v11
	v_xor_b32_e32 v2, v6, v12
	v_mad_u64_u32 v[6:7], null, 0xd2511f53, v0, 0
	v_add_co_u32 v48, null, 0x76cf5d0a, v10
	s_delay_alu instid0(VALU_DEP_3) | instskip(SKIP_1) | instid1(VALU_DEP_4)
	v_mad_u64_u32 v[8:9], null, 0xcd9e8d57, v2, 0
	v_add_co_u32 v50, null, 0x32370b8f, v10
	v_xor3_b32 v0, v45, v7, v5
	v_add_co_u32 v49, null, 0xdaa66d2b, v11
	v_add_co_u32 v51, null, 0x78dde6e4, v11
	v_xor3_b32 v7, v9, v46, v3
	s_delay_alu instid0(VALU_DEP_4)
	v_mad_u64_u32 v[2:3], null, 0xcd9e8d57, v0, 0
	s_clause 0x5
	s_load_b64 s[8:9], s[0:1], 0x0
	s_load_b64 s[2:3], s[0:1], 0xd0
	;; [unrolled: 1-line block ×5, first 2 shown]
	s_load_b32 s22, s[0:1], 0x4e8
	v_mad_u64_u32 v[4:5], null, 0xd2511f53, v7, 0
	v_add_co_u32 v52, null, 0xed9eba14, v10
	v_xor3_b32 v0, v47, v3, v8
	v_add_co_u32 v56, null, 0xa9066899, v10
	v_add_co_u32 v57, null, 0x1715609d, v11
	v_xor3_b32 v3, v5, v48, v6
	s_delay_alu instid0(VALU_DEP_4) | instskip(SKIP_1) | instid1(VALU_DEP_3)
	v_mad_u64_u32 v[5:6], null, 0xd2511f53, v0, 0
	v_add_co_u32 v58, null, 0xb54cda56, v11
	v_mad_u64_u32 v[7:8], null, 0xcd9e8d57, v3, 0
	v_add_co_u32 v61, null, 0x646e171e, v10
	s_delay_alu instid0(VALU_DEP_4)
	v_xor3_b32 v0, v50, v6, v4
	s_waitcnt lgkmcnt(0)
	v_div_scale_f32 v17, null, s22, s22, 1.0
	v_add_co_u32 v60, null, 0x1fd5c5a3, v10
	v_xor3_b32 v4, v8, v49, v2
	v_mad_u64_u32 v[2:3], null, 0xcd9e8d57, v0, 0
	s_delay_alu instid0(VALU_DEP_4) | instskip(SKIP_1) | instid1(VALU_DEP_3)
	v_rcp_f32_e32 v19, v17
	v_add_co_u32 v59, null, 0x5384540f, v11
	v_mad_u64_u32 v[8:9], null, 0xd2511f53, v4, 0
	v_mad_u64_u32 v[15:16], null, s16, v13, 0
	s_delay_alu instid0(VALU_DEP_4) | instskip(SKIP_3) | instid1(VALU_DEP_4)
	v_xor3_b32 v3, v51, v3, v7
	v_add_nc_u32_e32 v54, 0x8ff34781, v11
	v_add_co_u32 v62, null, 0xf1bbcdc8, v11
	v_xor3_b32 v5, v9, v52, v5
	v_mad_u64_u32 v[0:1], null, 0xd2511f53, v3, 0
	v_div_scale_f32 v18, vcc_lo, 1.0, s22, 1.0
	s_delay_alu instid0(VALU_DEP_3) | instskip(SKIP_1) | instid1(VALU_DEP_4)
	v_mad_u64_u32 v[3:4], null, 0xcd9e8d57, v5, 0
	v_add_co_u32 v63, null, 0xdb3d7428, v10
	v_xor3_b32 v5, v56, v1, v8
	v_mad_u64_u32 v[8:9], null, s2, v13, 0
	s_mul_i32 s25, s20, 3
	s_delay_alu instid0(VALU_DEP_4) | instskip(NEXT) | instid1(VALU_DEP_3)
	v_xor3_b32 v6, v4, v57, v2
	v_mad_u64_u32 v[1:2], null, 0xcd9e8d57, v5, 0
	s_lshl_b32 s24, s20, 1
	s_mul_hi_u32 s1, s16, s21
	s_delay_alu instid0(VALU_DEP_2) | instskip(SKIP_2) | instid1(VALU_DEP_4)
	v_mad_u64_u32 v[4:5], null, 0xd2511f53, v6, 0
	v_fma_f32 v6, -v17, v19, 1.0
	v_add_co_u32 v23, s18, s24, v13
	v_xor3_b32 v7, v58, v2, v3
	s_mul_i32 s14, s16, s21
	s_delay_alu instid0(VALU_DEP_3) | instskip(SKIP_3) | instid1(VALU_DEP_3)
	v_fmac_f32_e32 v19, v6, v19
	v_xor3_b32 v0, v5, v61, v0
	v_mad_u64_u32 v[21:22], null, s16, v23, 0
	v_mad_u64_u32 v[2:3], null, 0xd2511f53, v7, 0
	;; [unrolled: 1-line block ×3, first 2 shown]
	v_mul_lo_u32 v32, s3, v23
	s_mov_b32 s23, 0
                                        ; implicit-def: $vgpr65
                                        ; implicit-def: $vgpr66
                                        ; implicit-def: $vgpr67
                                        ; implicit-def: $vgpr68
	s_delay_alu instid0(VALU_DEP_3) | instskip(NEXT) | instid1(VALU_DEP_3)
	v_xor3_b32 v3, v60, v3, v4
	v_xor3_b32 v4, v6, v59, v1
	s_delay_alu instid0(VALU_DEP_2) | instskip(SKIP_1) | instid1(VALU_DEP_3)
	v_mad_u64_u32 v[0:1], null, 0xcd9e8d57, v3, 0
	v_mov_b32_e32 v3, v16
	v_mad_u64_u32 v[6:7], null, 0xd2511f53, v4, 0
	s_delay_alu instid0(VALU_DEP_3) | instskip(NEXT) | instid1(VALU_DEP_3)
	v_xor3_b32 v1, v62, v1, v5
	v_mad_u64_u32 v[4:5], null, s17, v13, v[3:4]
	s_delay_alu instid0(VALU_DEP_3) | instskip(NEXT) | instid1(VALU_DEP_2)
	v_xor3_b32 v3, v7, v63, v2
	v_dual_mov_b32 v16, v4 :: v_dual_add_nc_u32 v55, 0x96a522ad, v12
	v_mul_f32_e32 v20, v18, v19
	s_delay_alu instid0(VALU_DEP_1) | instskip(NEXT) | instid1(VALU_DEP_1)
	v_fma_f32 v10, -v17, v20, v18
	v_fmac_f32_e32 v20, v10, v19
	v_add_co_u32 v10, s0, s25, v13
	s_delay_alu instid0(VALU_DEP_1) | instskip(NEXT) | instid1(VALU_DEP_3)
	v_add_co_ci_u32_e64 v4, null, 0, 0, s0
	v_fma_f32 v5, -v17, v20, v18
	v_mad_u64_u32 v[17:18], null, 0xd2511f53, v1, 0
	v_mad_u64_u32 v[1:2], null, 0xcd9e8d57, v3, 0
	s_delay_alu instid0(VALU_DEP_3)
	v_div_fmas_f32 v3, v5, v19, v20
	v_mov_b32_e32 v5, v9
	v_mul_lo_u32 v29, s3, v10
	v_mul_lo_u32 v30, s2, v4
	s_mul_i32 s0, s17, s21
	v_div_fixup_f32 v64, v3, s22, 1.0
	v_xor3_b32 v0, v0, v2, v54
	v_xor3_b32 v2, v18, v6, v55
	v_mad_u64_u32 v[6:7], null, s3, v13, v[5:6]
	v_mov_b32_e32 v3, v17
	v_mul_lo_u32 v5, s17, v10
	v_mul_lo_u32 v7, s16, v4
	v_mad_u64_u32 v[17:18], null, s16, v10, 0
	v_lshlrev_b64 v[19:20], 1, v[15:16]
	v_mov_b32_e32 v9, v6
	v_add_co_ci_u32_e64 v6, null, 0, 0, s18
	v_add_co_u32 v25, s18, s20, v13
	s_delay_alu instid0(VALU_DEP_1)
	v_add_co_ci_u32_e64 v26, null, 0, 0, s18
	v_add3_u32 v18, v18, v7, v5
	v_mad_u64_u32 v[4:5], null, s2, v10, 0
	v_mul_lo_u32 v10, s17, v23
	v_mul_lo_u32 v31, s16, v6
	;; [unrolled: 1-line block ×3, first 2 shown]
	v_mad_u64_u32 v[6:7], null, s2, v23, 0
	v_mul_lo_u32 v34, s17, v25
	v_mul_lo_u32 v35, s16, v26
	v_mad_u64_u32 v[23:24], null, s16, v25, 0
	v_mul_lo_u32 v36, s3, v25
	v_mul_lo_u32 v39, s2, v26
	v_mad_u64_u32 v[37:38], null, s2, v25, 0
	v_add3_u32 v5, v5, v30, v29
	v_add3_u32 v22, v22, v31, v10
	;; [unrolled: 1-line block ×4, first 2 shown]
	s_add_i32 s15, s1, s0
	s_mul_i32 s0, s3, s21
	v_add3_u32 v38, v38, v39, v36
	v_mov_b32_e32 v40, v14
	s_mul_hi_u32 s1, s2, s21
	v_lshlrev_b64 v[25:26], 1, v[8:9]
	v_lshlrev_b64 v[27:28], 1, v[17:18]
	;; [unrolled: 1-line block ×7, first 2 shown]
	v_mov_b32_e32 v39, v13
	s_add_i32 s1, s1, s0
	s_mul_i32 s0, s2, s21
	s_lshl_b64 s[16:17], s[14:15], 1
	s_lshl_b64 s[18:19], s[0:1], 1
	s_branch .LBB102_8
.LBB102_7:                              ;   in Loop: Header=BB102_8 Depth=1
	s_or_b32 exec_lo, exec_lo, s1
	v_add_co_u32 v39, vcc_lo, v39, s21
	v_add_co_ci_u32_e32 v40, vcc_lo, 0, v40, vcc_lo
	v_mov_b32_e32 v7, v41
	s_add_u32 s10, s10, s16
	s_addc_u32 s11, s11, s17
	s_delay_alu instid0(VALU_DEP_2)
	v_cmp_le_u64_e32 vcc_lo, s[6:7], v[39:40]
	s_add_u32 s12, s12, s14
	v_dual_mov_b32 v0, v4 :: v_dual_mov_b32 v1, v5
	s_addc_u32 s13, s13, s15
	v_dual_mov_b32 v2, v6 :: v_dual_mov_b32 v3, v7
	s_add_u32 s8, s8, s18
	s_addc_u32 s9, s9, s19
	s_or_b32 s23, vcc_lo, s23
	s_waitcnt vmcnt(0)
	s_waitcnt_vscnt null, 0x0
	s_barrier
	buffer_gl0_inv
	s_and_not1_b32 exec_lo, exec_lo, s23
	s_cbranch_execz .LBB102_34
.LBB102_8:                              ; =>This Inner Loop Header: Depth=1
	v_add_co_u32 v43, vcc_lo, v43, 1
	s_delay_alu instid0(VALU_DEP_1) | instskip(SKIP_2) | instid1(VALU_DEP_1)
	v_cndmask_b32_e64 v4, 0, 1, vcc_lo
	v_add_co_ci_u32_e32 v44, vcc_lo, 0, v44, vcc_lo
	s_mov_b32 s0, exec_lo
	v_cmp_eq_u32_e32 vcc_lo, 0, v44
	s_delay_alu instid0(VALU_DEP_3) | instskip(NEXT) | instid1(VALU_DEP_1)
	v_cndmask_b32_e32 v4, 0, v4, vcc_lo
	v_add_nc_u32_e32 v13, v4, v13
	s_delay_alu instid0(VALU_DEP_1) | instskip(SKIP_2) | instid1(VALU_DEP_2)
	v_cmp_eq_u32_e32 vcc_lo, 0, v13
	v_cndmask_b32_e32 v4, 0, v4, vcc_lo
	v_mad_u64_u32 v[6:7], null, 0xcd9e8d57, v13, 0
	v_add_nc_u32_e32 v14, v4, v14
	v_mad_u64_u32 v[4:5], null, 0xd2511f53, v43, 0
	s_delay_alu instid0(VALU_DEP_3) | instskip(NEXT) | instid1(VALU_DEP_2)
	v_xor3_b32 v9, v7, v11, v44
	v_xor_b32_e32 v5, v5, v12
	s_delay_alu instid0(VALU_DEP_2) | instskip(NEXT) | instid1(VALU_DEP_2)
	v_mad_u64_u32 v[7:8], null, 0xd2511f53, v9, 0
	v_xor_b32_e32 v5, v14, v5
	s_delay_alu instid0(VALU_DEP_2) | instskip(NEXT) | instid1(VALU_DEP_2)
	v_xor3_b32 v8, v45, v8, v4
	v_mad_u64_u32 v[9:10], null, 0xcd9e8d57, v5, 0
	s_delay_alu instid0(VALU_DEP_2) | instskip(NEXT) | instid1(VALU_DEP_2)
	v_mad_u64_u32 v[4:5], null, 0xcd9e8d57, v8, 0
	v_xor3_b32 v6, v46, v10, v6
	s_delay_alu instid0(VALU_DEP_2) | instskip(NEXT) | instid1(VALU_DEP_2)
	v_xor3_b32 v8, v47, v5, v9
	v_mad_u64_u32 v[41:42], null, 0xd2511f53, v6, 0
	s_delay_alu instid0(VALU_DEP_2) | instskip(NEXT) | instid1(VALU_DEP_2)
	v_mad_u64_u32 v[5:6], null, 0xd2511f53, v8, 0
	v_xor3_b32 v9, v48, v42, v7
	s_delay_alu instid0(VALU_DEP_2) | instskip(NEXT) | instid1(VALU_DEP_2)
	v_xor3_b32 v6, v50, v6, v41
	v_mad_u64_u32 v[7:8], null, 0xcd9e8d57, v9, 0
	s_delay_alu instid0(VALU_DEP_1) | instskip(NEXT) | instid1(VALU_DEP_3)
	v_xor3_b32 v4, v49, v8, v4
	v_mad_u64_u32 v[8:9], null, 0xcd9e8d57, v6, 0
	s_delay_alu instid0(VALU_DEP_2) | instskip(NEXT) | instid1(VALU_DEP_2)
	v_mad_u64_u32 v[41:42], null, 0xd2511f53, v4, 0
	v_xor3_b32 v6, v51, v9, v7
	s_delay_alu instid0(VALU_DEP_2) | instskip(NEXT) | instid1(VALU_DEP_2)
	v_xor3_b32 v9, v52, v42, v5
	v_mad_u64_u32 v[4:5], null, 0xd2511f53, v6, 0
	s_delay_alu instid0(VALU_DEP_2) | instskip(NEXT) | instid1(VALU_DEP_2)
	v_mad_u64_u32 v[6:7], null, 0xcd9e8d57, v9, 0
	v_xor3_b32 v5, v56, v5, v41
	s_delay_alu instid0(VALU_DEP_2) | instskip(NEXT) | instid1(VALU_DEP_2)
	;; [unrolled: 6-line block ×6, first 2 shown]
	v_xor3_b32 v4, v6, v7, v54
	v_mov_b32_e32 v6, v10
	v_cmpx_lt_i32_e32 1, v53
	s_xor_b32 s0, exec_lo, s0
	s_cbranch_execnz .LBB102_21
; %bb.9:                                ;   in Loop: Header=BB102_8 Depth=1
	s_and_not1_saveexec_b32 s0, s0
	s_cbranch_execnz .LBB102_26
.LBB102_10:                             ;   in Loop: Header=BB102_8 Depth=1
	s_or_b32 exec_lo, exec_lo, s0
	v_cmp_gt_u64_e64 s2, s[4:5], v[39:40]
	s_delay_alu instid0(VALU_DEP_1)
	s_and_saveexec_b32 s0, s2
	s_cbranch_execz .LBB102_12
.LBB102_11:                             ;   in Loop: Header=BB102_8 Depth=1
	v_add_co_u32 v7, vcc_lo, s8, v25
	v_add_co_ci_u32_e32 v8, vcc_lo, s9, v26, vcc_lo
	global_load_u16 v68, v[7:8], off
.LBB102_12:                             ;   in Loop: Header=BB102_8 Depth=1
	s_or_b32 exec_lo, exec_lo, s0
	v_add_co_u32 v7, vcc_lo, s20, v39
	v_add_co_ci_u32_e32 v8, vcc_lo, 0, v40, vcc_lo
	s_delay_alu instid0(VALU_DEP_1) | instskip(NEXT) | instid1(VALU_DEP_1)
	v_cmp_gt_u64_e64 s1, s[4:5], v[7:8]
	s_and_saveexec_b32 s0, s1
	s_cbranch_execz .LBB102_14
; %bb.13:                               ;   in Loop: Header=BB102_8 Depth=1
	v_add_co_u32 v7, vcc_lo, s8, v37
	v_add_co_ci_u32_e32 v8, vcc_lo, s9, v38, vcc_lo
	global_load_u16 v67, v[7:8], off
.LBB102_14:                             ;   in Loop: Header=BB102_8 Depth=1
	s_or_b32 exec_lo, exec_lo, s0
	v_add_co_u32 v7, vcc_lo, s24, v39
	v_add_co_ci_u32_e32 v8, vcc_lo, 0, v40, vcc_lo
	s_delay_alu instid0(VALU_DEP_1) | instskip(NEXT) | instid1(VALU_DEP_1)
	v_cmp_gt_u64_e64 s0, s[4:5], v[7:8]
	s_and_saveexec_b32 s3, s0
	s_cbranch_execz .LBB102_16
; %bb.15:                               ;   in Loop: Header=BB102_8 Depth=1
	v_add_co_u32 v7, vcc_lo, s8, v33
	v_add_co_ci_u32_e32 v8, vcc_lo, s9, v34, vcc_lo
	global_load_u16 v66, v[7:8], off
.LBB102_16:                             ;   in Loop: Header=BB102_8 Depth=1
	s_or_b32 exec_lo, exec_lo, s3
	v_add_co_u32 v7, vcc_lo, s25, v39
	v_add_co_ci_u32_e32 v8, vcc_lo, 0, v40, vcc_lo
	s_delay_alu instid0(VALU_DEP_1)
	v_cmp_gt_u64_e32 vcc_lo, s[4:5], v[7:8]
	s_and_saveexec_b32 s26, vcc_lo
	s_cbranch_execnz .LBB102_29
; %bb.17:                               ;   in Loop: Header=BB102_8 Depth=1
	s_or_b32 exec_lo, exec_lo, s26
	s_and_saveexec_b32 s26, s2
	s_cbranch_execnz .LBB102_30
.LBB102_18:                             ;   in Loop: Header=BB102_8 Depth=1
	s_or_b32 exec_lo, exec_lo, s26
	s_and_saveexec_b32 s3, s1
	s_cbranch_execnz .LBB102_31
.LBB102_19:                             ;   in Loop: Header=BB102_8 Depth=1
	s_or_b32 exec_lo, exec_lo, s3
	s_and_saveexec_b32 s2, s0
	s_cbranch_execnz .LBB102_32
.LBB102_20:                             ;   in Loop: Header=BB102_8 Depth=1
	s_or_b32 exec_lo, exec_lo, s2
	s_and_saveexec_b32 s1, vcc_lo
	s_cbranch_execz .LBB102_7
	s_branch .LBB102_33
.LBB102_21:                             ;   in Loop: Header=BB102_8 Depth=1
	s_mov_b32 s1, exec_lo
	v_cmpx_lt_i32_e32 2, v53
	s_xor_b32 s1, exec_lo, s1
; %bb.22:                               ;   in Loop: Header=BB102_8 Depth=1
	v_dual_mov_b32 v7, v3 :: v_dual_mov_b32 v8, v4
	v_mov_b32_e32 v9, v5
	s_delay_alu instid0(VALU_DEP_2) | instskip(NEXT) | instid1(VALU_DEP_2)
	v_dual_mov_b32 v0, v7 :: v_dual_mov_b32 v1, v8
	v_dual_mov_b32 v2, v9 :: v_dual_mov_b32 v3, v10
; %bb.23:                               ;   in Loop: Header=BB102_8 Depth=1
	s_and_not1_saveexec_b32 s1, s1
; %bb.24:                               ;   in Loop: Header=BB102_8 Depth=1
	s_delay_alu instid0(VALU_DEP_1)
	v_dual_mov_b32 v0, v2 :: v_dual_mov_b32 v1, v3
	v_dual_mov_b32 v2, v4 :: v_dual_mov_b32 v3, v5
; %bb.25:                               ;   in Loop: Header=BB102_8 Depth=1
	s_or_b32 exec_lo, exec_lo, s1
	s_and_not1_saveexec_b32 s0, s0
	s_cbranch_execz .LBB102_10
.LBB102_26:                             ;   in Loop: Header=BB102_8 Depth=1
	s_mov_b32 s1, exec_lo
	v_cmpx_eq_u32_e32 1, v53
; %bb.27:                               ;   in Loop: Header=BB102_8 Depth=1
	v_dual_mov_b32 v0, v1 :: v_dual_mov_b32 v1, v2
	v_dual_mov_b32 v2, v3 :: v_dual_mov_b32 v3, v4
; %bb.28:                               ;   in Loop: Header=BB102_8 Depth=1
	s_or_b32 exec_lo, exec_lo, s1
	s_delay_alu instid0(SALU_CYCLE_1) | instskip(SKIP_1) | instid1(VALU_DEP_1)
	s_or_b32 exec_lo, exec_lo, s0
	v_cmp_gt_u64_e64 s2, s[4:5], v[39:40]
	s_and_saveexec_b32 s0, s2
	s_cbranch_execnz .LBB102_11
	s_branch .LBB102_12
.LBB102_29:                             ;   in Loop: Header=BB102_8 Depth=1
	v_add_co_u32 v7, s3, s8, v29
	s_delay_alu instid0(VALU_DEP_1)
	v_add_co_ci_u32_e64 v8, s3, s9, v30, s3
	global_load_u16 v65, v[7:8], off
	s_or_b32 exec_lo, exec_lo, s26
	s_and_saveexec_b32 s26, s2
	s_cbranch_execz .LBB102_18
.LBB102_30:                             ;   in Loop: Header=BB102_8 Depth=1
	v_cvt_f32_u32_e32 v0, v0
	s_waitcnt vmcnt(0)
	v_cvt_f32_f16_e32 v9, v68
	v_add_co_u32 v7, s3, s10, v19
	s_delay_alu instid0(VALU_DEP_1) | instskip(SKIP_1) | instid1(VALU_DEP_1)
	v_add_co_ci_u32_e64 v8, s3, s11, v20, s3
	v_fmaak_f32 v0, 0x2f800000, v0, 0x2f800000
	v_cmp_gt_f32_e64 s2, s22, v0
	s_delay_alu instid0(VALU_DEP_1) | instskip(SKIP_1) | instid1(VALU_DEP_2)
	v_cndmask_b32_e64 v0, 0, 1.0, s2
	v_cndmask_b32_e64 v42, 0, 1, s2
	v_mul_f32_e32 v0, v0, v9
	v_add_co_u32 v9, s3, s12, v15
	s_delay_alu instid0(VALU_DEP_1) | instskip(NEXT) | instid1(VALU_DEP_3)
	v_add_co_ci_u32_e64 v10, s3, s13, v16, s3
	v_fma_mixlo_f16 v0, v64, v0, 0
	global_store_b16 v[7:8], v0, off
	global_store_b8 v[9:10], v42, off
	s_or_b32 exec_lo, exec_lo, s26
	s_and_saveexec_b32 s3, s1
	s_cbranch_execz .LBB102_19
.LBB102_31:                             ;   in Loop: Header=BB102_8 Depth=1
	v_cvt_f32_u32_e32 v0, v1
	s_waitcnt vmcnt(0)
	v_cvt_f32_f16_e32 v7, v67
	s_delay_alu instid0(VALU_DEP_2) | instskip(NEXT) | instid1(VALU_DEP_1)
	v_fmaak_f32 v0, 0x2f800000, v0, 0x2f800000
	v_cmp_gt_f32_e64 s1, s22, v0
	v_add_co_u32 v0, s2, s10, v35
	s_delay_alu instid0(VALU_DEP_1) | instskip(NEXT) | instid1(VALU_DEP_3)
	v_add_co_ci_u32_e64 v1, s2, s11, v36, s2
	v_cndmask_b32_e64 v8, 0, 1.0, s1
	v_cndmask_b32_e64 v10, 0, 1, s1
	s_delay_alu instid0(VALU_DEP_2) | instskip(SKIP_1) | instid1(VALU_DEP_1)
	v_mul_f32_e32 v9, v8, v7
	v_add_co_u32 v7, s2, s12, v23
	v_add_co_ci_u32_e64 v8, s2, s13, v24, s2
	s_delay_alu instid0(VALU_DEP_3)
	v_fma_mixlo_f16 v9, v64, v9, 0
	global_store_b16 v[0:1], v9, off
	global_store_b8 v[7:8], v10, off
	s_or_b32 exec_lo, exec_lo, s3
	s_and_saveexec_b32 s2, s0
	s_cbranch_execz .LBB102_20
.LBB102_32:                             ;   in Loop: Header=BB102_8 Depth=1
	v_cvt_f32_u32_e32 v0, v2
	s_waitcnt vmcnt(0)
	v_cvt_f32_f16_e32 v2, v66
	s_delay_alu instid0(VALU_DEP_2) | instskip(NEXT) | instid1(VALU_DEP_1)
	v_fmaak_f32 v0, 0x2f800000, v0, 0x2f800000
	v_cmp_gt_f32_e64 s0, s22, v0
	v_add_co_u32 v0, s1, s10, v31
	s_delay_alu instid0(VALU_DEP_1) | instskip(NEXT) | instid1(VALU_DEP_3)
	v_add_co_ci_u32_e64 v1, s1, s11, v32, s1
	v_cndmask_b32_e64 v7, 0, 1.0, s0
	v_cndmask_b32_e64 v9, 0, 1, s0
	s_delay_alu instid0(VALU_DEP_2) | instskip(SKIP_1) | instid1(VALU_DEP_1)
	v_mul_f32_e32 v2, v7, v2
	v_add_co_u32 v7, s1, s12, v21
	v_add_co_ci_u32_e64 v8, s1, s13, v22, s1
	s_delay_alu instid0(VALU_DEP_3)
	v_fma_mixlo_f16 v2, v64, v2, 0
	global_store_b16 v[0:1], v2, off
	global_store_b8 v[7:8], v9, off
	s_or_b32 exec_lo, exec_lo, s2
	s_and_saveexec_b32 s1, vcc_lo
	s_cbranch_execz .LBB102_7
.LBB102_33:                             ;   in Loop: Header=BB102_8 Depth=1
	v_cvt_f32_u32_e32 v0, v3
	s_waitcnt vmcnt(0)
	v_cvt_f32_f16_e32 v2, v65
	s_delay_alu instid0(VALU_DEP_2) | instskip(NEXT) | instid1(VALU_DEP_1)
	v_fmaak_f32 v0, 0x2f800000, v0, 0x2f800000
	v_cmp_gt_f32_e32 vcc_lo, s22, v0
	v_add_co_u32 v0, s0, s10, v27
	s_delay_alu instid0(VALU_DEP_1) | instskip(SKIP_2) | instid1(VALU_DEP_2)
	v_add_co_ci_u32_e64 v1, s0, s11, v28, s0
	v_cndmask_b32_e64 v3, 0, 1.0, vcc_lo
	v_cndmask_b32_e64 v8, 0, 1, vcc_lo
	v_mul_f32_e32 v7, v3, v2
	v_add_co_u32 v2, s0, s12, v17
	s_delay_alu instid0(VALU_DEP_1) | instskip(NEXT) | instid1(VALU_DEP_3)
	v_add_co_ci_u32_e64 v3, s0, s13, v18, s0
	v_fma_mixlo_f16 v7, v64, v7, 0
	global_store_b16 v[0:1], v7, off
	global_store_b8 v[2:3], v8, off
	s_branch .LBB102_7
.LBB102_34:
	s_endpgm
.LBB102_35:
                                        ; implicit-def: $sgpr2_sgpr3
	s_branch .LBB102_4
	.section	.rodata,"a",@progbits
	.p2align	6, 0x0
	.amdhsa_kernel _ZN2at6native12_GLOBAL__N_120fused_dropout_kernelIN3c104HalfEfmLi1ELi1EhEEvNS_4cuda6detail10TensorInfoIKT_T1_EENS7_IS8_SA_EENS7_IT4_SA_EESA_T0_NS_15PhiloxCudaStateE
		.amdhsa_group_segment_fixed_size 0
		.amdhsa_private_segment_fixed_size 0
		.amdhsa_kernarg_size 1552
		.amdhsa_user_sgpr_count 15
		.amdhsa_user_sgpr_dispatch_ptr 0
		.amdhsa_user_sgpr_queue_ptr 0
		.amdhsa_user_sgpr_kernarg_segment_ptr 1
		.amdhsa_user_sgpr_dispatch_id 0
		.amdhsa_user_sgpr_private_segment_size 0
		.amdhsa_wavefront_size32 1
		.amdhsa_uses_dynamic_stack 0
		.amdhsa_enable_private_segment 0
		.amdhsa_system_sgpr_workgroup_id_x 1
		.amdhsa_system_sgpr_workgroup_id_y 0
		.amdhsa_system_sgpr_workgroup_id_z 0
		.amdhsa_system_sgpr_workgroup_info 0
		.amdhsa_system_vgpr_workitem_id 0
		.amdhsa_next_free_vgpr 69
		.amdhsa_next_free_sgpr 27
		.amdhsa_reserve_vcc 1
		.amdhsa_float_round_mode_32 0
		.amdhsa_float_round_mode_16_64 0
		.amdhsa_float_denorm_mode_32 3
		.amdhsa_float_denorm_mode_16_64 3
		.amdhsa_dx10_clamp 1
		.amdhsa_ieee_mode 1
		.amdhsa_fp16_overflow 0
		.amdhsa_workgroup_processor_mode 1
		.amdhsa_memory_ordered 1
		.amdhsa_forward_progress 0
		.amdhsa_shared_vgpr_count 0
		.amdhsa_exception_fp_ieee_invalid_op 0
		.amdhsa_exception_fp_denorm_src 0
		.amdhsa_exception_fp_ieee_div_zero 0
		.amdhsa_exception_fp_ieee_overflow 0
		.amdhsa_exception_fp_ieee_underflow 0
		.amdhsa_exception_fp_ieee_inexact 0
		.amdhsa_exception_int_div_zero 0
	.end_amdhsa_kernel
	.section	.text._ZN2at6native12_GLOBAL__N_120fused_dropout_kernelIN3c104HalfEfmLi1ELi1EhEEvNS_4cuda6detail10TensorInfoIKT_T1_EENS7_IS8_SA_EENS7_IT4_SA_EESA_T0_NS_15PhiloxCudaStateE,"axG",@progbits,_ZN2at6native12_GLOBAL__N_120fused_dropout_kernelIN3c104HalfEfmLi1ELi1EhEEvNS_4cuda6detail10TensorInfoIKT_T1_EENS7_IS8_SA_EENS7_IT4_SA_EESA_T0_NS_15PhiloxCudaStateE,comdat
.Lfunc_end102:
	.size	_ZN2at6native12_GLOBAL__N_120fused_dropout_kernelIN3c104HalfEfmLi1ELi1EhEEvNS_4cuda6detail10TensorInfoIKT_T1_EENS7_IS8_SA_EENS7_IT4_SA_EESA_T0_NS_15PhiloxCudaStateE, .Lfunc_end102-_ZN2at6native12_GLOBAL__N_120fused_dropout_kernelIN3c104HalfEfmLi1ELi1EhEEvNS_4cuda6detail10TensorInfoIKT_T1_EENS7_IS8_SA_EENS7_IT4_SA_EESA_T0_NS_15PhiloxCudaStateE
                                        ; -- End function
	.section	.AMDGPU.csdata,"",@progbits
; Kernel info:
; codeLenInByte = 3712
; NumSgprs: 29
; NumVgprs: 69
; ScratchSize: 0
; MemoryBound: 0
; FloatMode: 240
; IeeeMode: 1
; LDSByteSize: 0 bytes/workgroup (compile time only)
; SGPRBlocks: 3
; VGPRBlocks: 8
; NumSGPRsForWavesPerEU: 29
; NumVGPRsForWavesPerEU: 69
; Occupancy: 16
; WaveLimiterHint : 1
; COMPUTE_PGM_RSRC2:SCRATCH_EN: 0
; COMPUTE_PGM_RSRC2:USER_SGPR: 15
; COMPUTE_PGM_RSRC2:TRAP_HANDLER: 0
; COMPUTE_PGM_RSRC2:TGID_X_EN: 1
; COMPUTE_PGM_RSRC2:TGID_Y_EN: 0
; COMPUTE_PGM_RSRC2:TGID_Z_EN: 0
; COMPUTE_PGM_RSRC2:TIDIG_COMP_CNT: 0
	.section	.text._ZN2at6native12_GLOBAL__N_120fused_dropout_kernelIN3c104HalfEfmLin1ELi1EhEEvNS_4cuda6detail10TensorInfoIKT_T1_EENS7_IS8_SA_EENS7_IT4_SA_EESA_T0_NS_15PhiloxCudaStateE,"axG",@progbits,_ZN2at6native12_GLOBAL__N_120fused_dropout_kernelIN3c104HalfEfmLin1ELi1EhEEvNS_4cuda6detail10TensorInfoIKT_T1_EENS7_IS8_SA_EENS7_IT4_SA_EESA_T0_NS_15PhiloxCudaStateE,comdat
	.globl	_ZN2at6native12_GLOBAL__N_120fused_dropout_kernelIN3c104HalfEfmLin1ELi1EhEEvNS_4cuda6detail10TensorInfoIKT_T1_EENS7_IS8_SA_EENS7_IT4_SA_EESA_T0_NS_15PhiloxCudaStateE ; -- Begin function _ZN2at6native12_GLOBAL__N_120fused_dropout_kernelIN3c104HalfEfmLin1ELi1EhEEvNS_4cuda6detail10TensorInfoIKT_T1_EENS7_IS8_SA_EENS7_IT4_SA_EESA_T0_NS_15PhiloxCudaStateE
	.p2align	8
	.type	_ZN2at6native12_GLOBAL__N_120fused_dropout_kernelIN3c104HalfEfmLin1ELi1EhEEvNS_4cuda6detail10TensorInfoIKT_T1_EENS7_IS8_SA_EENS7_IT4_SA_EESA_T0_NS_15PhiloxCudaStateE,@function
_ZN2at6native12_GLOBAL__N_120fused_dropout_kernelIN3c104HalfEfmLin1ELi1EhEEvNS_4cuda6detail10TensorInfoIKT_T1_EENS7_IS8_SA_EENS7_IT4_SA_EESA_T0_NS_15PhiloxCudaStateE: ; @_ZN2at6native12_GLOBAL__N_120fused_dropout_kernelIN3c104HalfEfmLin1ELi1EhEEvNS_4cuda6detail10TensorInfoIKT_T1_EENS7_IS8_SA_EENS7_IT4_SA_EESA_T0_NS_15PhiloxCudaStateE
; %bb.0:
	s_clause 0x1
	s_load_b128 s[4:7], s[0:1], 0x4f0
	s_load_b32 s2, s[0:1], 0x508
	s_waitcnt lgkmcnt(0)
	v_dual_mov_b32 v1, s6 :: v_dual_mov_b32 v2, s7
	v_dual_mov_b32 v12, s5 :: v_dual_mov_b32 v11, s4
	s_bitcmp0_b32 s2, 0
	s_mov_b32 s2, 0
	s_cbranch_scc1 .LBB103_2
; %bb.1:
	v_dual_mov_b32 v1, s6 :: v_dual_mov_b32 v2, s7
	v_dual_mov_b32 v3, s4 :: v_dual_mov_b32 v4, s5
	s_load_b64 s[4:5], s[0:1], 0x500
	flat_load_b64 v[1:2], v[1:2]
	flat_load_b64 v[11:12], v[3:4]
	s_waitcnt vmcnt(1) lgkmcnt(0)
	v_add_co_u32 v1, vcc_lo, v1, s4
	v_add_co_ci_u32_e32 v2, vcc_lo, s5, v2, vcc_lo
.LBB103_2:
	s_clause 0x2
	s_load_b32 s3, s[0:1], 0x51c
	s_load_b64 s[6:7], s[0:1], 0x4e0
	s_load_b32 s4, s[0:1], 0x510
	s_waitcnt lgkmcnt(0)
	s_and_b32 s5, s3, 0xffff
	s_add_u32 s8, s6, -1
	s_mul_i32 s26, s4, s5
	s_addc_u32 s3, s7, -1
	s_lshl_b32 s27, s26, 2
	s_cmp_lg_u64 s[2:3], 0
	s_cbranch_scc0 .LBB103_63
; %bb.3:
	v_cvt_f32_u32_e32 v3, s27
	s_sub_u32 s10, 0, s27
	s_subb_u32 s11, 0, 0
	s_delay_alu instid0(VALU_DEP_1) | instskip(NEXT) | instid1(VALU_DEP_1)
	v_fmamk_f32 v3, 0, 0x4f800000, v3
	v_rcp_f32_e32 v3, v3
	s_waitcnt_depctr 0xfff
	v_mul_f32_e32 v3, 0x5f7ffffc, v3
	s_delay_alu instid0(VALU_DEP_1) | instskip(NEXT) | instid1(VALU_DEP_1)
	v_mul_f32_e32 v4, 0x2f800000, v3
	v_trunc_f32_e32 v4, v4
	s_delay_alu instid0(VALU_DEP_1) | instskip(SKIP_1) | instid1(VALU_DEP_2)
	v_fmamk_f32 v3, v4, 0xcf800000, v3
	v_cvt_u32_f32_e32 v4, v4
	v_cvt_u32_f32_e32 v3, v3
	s_delay_alu instid0(VALU_DEP_2) | instskip(NEXT) | instid1(VALU_DEP_2)
	v_readfirstlane_b32 s2, v4
	v_readfirstlane_b32 s9, v3
	s_delay_alu instid0(VALU_DEP_2) | instskip(NEXT) | instid1(VALU_DEP_1)
	s_mul_i32 s12, s10, s2
	s_mul_hi_u32 s14, s10, s9
	s_mul_i32 s13, s11, s9
	s_add_i32 s12, s14, s12
	s_mul_i32 s16, s10, s9
	s_add_i32 s12, s12, s13
	s_mul_hi_u32 s14, s9, s16
	s_mul_hi_u32 s17, s2, s16
	s_mul_i32 s13, s2, s16
	s_mul_hi_u32 s16, s9, s12
	s_mul_i32 s9, s9, s12
	s_mul_hi_u32 s18, s2, s12
	s_add_u32 s9, s14, s9
	s_addc_u32 s14, 0, s16
	s_add_u32 s9, s9, s13
	s_mul_i32 s12, s2, s12
	s_addc_u32 s9, s14, s17
	s_addc_u32 s13, s18, 0
	s_add_u32 s9, s9, s12
	s_addc_u32 s12, 0, s13
	v_add_co_u32 v3, s9, v3, s9
	s_delay_alu instid0(VALU_DEP_1) | instskip(SKIP_1) | instid1(VALU_DEP_1)
	s_cmp_lg_u32 s9, 0
	s_addc_u32 s2, s2, s12
	v_readfirstlane_b32 s9, v3
	s_mul_i32 s12, s10, s2
	s_delay_alu instid0(VALU_DEP_1)
	s_mul_hi_u32 s13, s10, s9
	s_mul_i32 s11, s11, s9
	s_add_i32 s12, s13, s12
	s_mul_i32 s10, s10, s9
	s_add_i32 s12, s12, s11
	s_mul_hi_u32 s13, s2, s10
	s_mul_i32 s14, s2, s10
	s_mul_hi_u32 s10, s9, s10
	s_mul_hi_u32 s16, s9, s12
	s_mul_i32 s9, s9, s12
	s_mul_hi_u32 s11, s2, s12
	s_add_u32 s9, s10, s9
	s_addc_u32 s10, 0, s16
	s_add_u32 s9, s9, s14
	s_mul_i32 s12, s2, s12
	s_addc_u32 s9, s10, s13
	s_addc_u32 s10, s11, 0
	s_add_u32 s9, s9, s12
	s_addc_u32 s10, 0, s10
	v_add_co_u32 v3, s9, v3, s9
	s_delay_alu instid0(VALU_DEP_1) | instskip(SKIP_1) | instid1(VALU_DEP_1)
	s_cmp_lg_u32 s9, 0
	s_addc_u32 s2, s2, s10
	v_readfirstlane_b32 s9, v3
	s_mul_i32 s11, s8, s2
	s_mul_hi_u32 s10, s8, s2
	s_mul_hi_u32 s12, s3, s2
	s_mul_i32 s2, s3, s2
	s_mul_hi_u32 s13, s8, s9
	s_mul_hi_u32 s14, s3, s9
	s_mul_i32 s9, s3, s9
	s_add_u32 s11, s13, s11
	s_addc_u32 s10, 0, s10
	s_add_u32 s9, s11, s9
	s_addc_u32 s9, s10, s14
	s_addc_u32 s10, s12, 0
	s_add_u32 s2, s9, s2
	s_addc_u32 s10, 0, s10
	s_mul_i32 s11, s27, s2
	s_add_u32 s9, s2, 1
	v_sub_co_u32 v3, s11, s8, s11
	s_mul_hi_u32 s12, s27, s2
	s_addc_u32 s13, s10, 0
	s_mul_i32 s14, s27, s10
	s_delay_alu instid0(VALU_DEP_1)
	v_sub_co_u32 v4, s16, v3, s27
	s_add_u32 s17, s2, 2
	s_addc_u32 s18, s10, 0
	s_add_i32 s12, s12, s14
	s_cmp_lg_u32 s11, 0
	v_readfirstlane_b32 s11, v4
	s_subb_u32 s3, s3, s12
	s_cmp_lg_u32 s16, 0
	s_subb_u32 s12, s3, 0
	s_delay_alu instid0(VALU_DEP_1) | instskip(SKIP_4) | instid1(SALU_CYCLE_1)
	s_cmp_ge_u32 s11, s27
	s_cselect_b32 s11, -1, 0
	s_cmp_eq_u32 s12, 0
	v_readfirstlane_b32 s12, v3
	s_cselect_b32 s11, s11, -1
	s_cmp_lg_u32 s11, 0
	s_cselect_b32 s11, s17, s9
	s_cselect_b32 s13, s18, s13
	s_cmp_ge_u32 s12, s27
	s_cselect_b32 s9, -1, 0
	s_cmp_eq_u32 s3, 0
	s_cselect_b32 s3, s9, -1
	s_delay_alu instid0(SALU_CYCLE_1)
	s_cmp_lg_u32 s3, 0
	s_cselect_b32 s3, s13, s10
	s_cselect_b32 s2, s11, s2
	s_cbranch_execnz .LBB103_5
.LBB103_4:
	v_cvt_f32_u32_e32 v3, s27
	s_sub_i32 s3, 0, s27
	s_delay_alu instid0(VALU_DEP_1) | instskip(SKIP_2) | instid1(VALU_DEP_1)
	v_rcp_iflag_f32_e32 v3, v3
	s_waitcnt_depctr 0xfff
	v_mul_f32_e32 v3, 0x4f7ffffe, v3
	v_cvt_u32_f32_e32 v3, v3
	s_delay_alu instid0(VALU_DEP_1) | instskip(NEXT) | instid1(VALU_DEP_1)
	v_readfirstlane_b32 s2, v3
	s_mul_i32 s3, s3, s2
	s_delay_alu instid0(SALU_CYCLE_1) | instskip(NEXT) | instid1(SALU_CYCLE_1)
	s_mul_hi_u32 s3, s2, s3
	s_add_i32 s2, s2, s3
	s_delay_alu instid0(SALU_CYCLE_1) | instskip(NEXT) | instid1(SALU_CYCLE_1)
	s_mul_hi_u32 s2, s8, s2
	s_mul_i32 s3, s2, s27
	s_delay_alu instid0(SALU_CYCLE_1)
	s_sub_i32 s3, s8, s3
	s_add_i32 s8, s2, 1
	s_sub_i32 s9, s3, s27
	s_cmp_ge_u32 s3, s27
	s_cselect_b32 s2, s8, s2
	s_cselect_b32 s3, s9, s3
	s_add_i32 s8, s2, 1
	s_cmp_ge_u32 s3, s27
	s_mov_b32 s3, 0
	s_cselect_b32 s2, s8, s2
.LBB103_5:
	s_delay_alu instid0(SALU_CYCLE_1)
	s_add_u32 s2, s2, 1
	s_addc_u32 s3, s3, 0
	v_mov_b32_e32 v15, 0
	v_mad_u64_u32 v[13:14], null, s15, s5, v[0:1]
	s_mul_i32 s3, s26, s3
	s_mul_hi_u32 s8, s26, s2
	s_mul_hi_u32 s4, s4, s5
	s_add_i32 s3, s8, s3
	s_mul_i32 s4, s4, s2
	v_mov_b32_e32 v14, v15
	s_add_i32 s3, s3, s4
	s_mul_i32 s2, s26, s2
	s_delay_alu instid0(SALU_CYCLE_1)
	s_lshl_b64 s[8:9], s[2:3], 2
	s_mov_b32 s2, exec_lo
	v_cmpx_gt_u64_e64 s[8:9], v[13:14]
	s_cbranch_execz .LBB103_62
; %bb.6:
	v_alignbit_b32 v28, v2, v1, 2
	v_mad_u64_u32 v[3:4], null, 0xcd9e8d57, v13, 0
	v_lshrrev_b32_e32 v29, 2, v2
	s_waitcnt vmcnt(0)
	v_dual_mov_b32 v10, v12 :: v_dual_add_nc_u32 v37, 0x8ff34781, v11
	v_mad_u64_u32 v[5:6], null, 0xd2511f53, v28, 0
	v_add_co_u32 v31, null, 0x9e3779b9, v11
	v_xor3_b32 v0, v11, v4, v29
	s_delay_alu instid0(VALU_DEP_4) | instskip(SKIP_2) | instid1(VALU_DEP_4)
	v_add_co_u32 v30, null, 0xbb67ae85, v10
	v_add_co_u32 v32, null, 0x3c6ef372, v11
	v_xor_b32_e32 v2, v6, v12
	v_mad_u64_u32 v[6:7], null, 0xd2511f53, v0, 0
	v_add_co_u32 v33, null, 0x76cf5d0a, v10
	s_delay_alu instid0(VALU_DEP_3) | instskip(SKIP_1) | instid1(VALU_DEP_4)
	v_mad_u64_u32 v[8:9], null, 0xcd9e8d57, v2, 0
	v_add_co_u32 v34, null, 0xdaa66d2b, v11
	v_xor3_b32 v0, v30, v7, v5
	v_add_co_u32 v35, null, 0x32370b8f, v10
	s_clause 0x2
	s_load_b64 s[10:11], s[0:1], 0x270
	s_load_b64 s[12:13], s[0:1], 0x340
	s_load_b32 s28, s[0:1], 0x4e8
	v_xor3_b32 v7, v9, v31, v3
	v_mad_u64_u32 v[2:3], null, 0xcd9e8d57, v0, 0
	v_and_b32_e32 v36, 3, v1
	v_add_co_u32 v38, null, 0x78dde6e4, v11
	s_delay_alu instid0(VALU_DEP_4)
	v_mad_u64_u32 v[4:5], null, 0xd2511f53, v7, 0
	v_add_co_u32 v39, null, 0xed9eba14, v10
	v_xor3_b32 v0, v32, v3, v8
	v_add_co_u32 v42, null, 0xa9066899, v10
	v_add_co_u32 v43, null, 0x1715609d, v11
	v_xor3_b32 v3, v5, v33, v6
	s_delay_alu instid0(VALU_DEP_4) | instskip(SKIP_1) | instid1(VALU_DEP_3)
	v_mad_u64_u32 v[5:6], null, 0xd2511f53, v0, 0
	v_add_co_u32 v41, null, 0xb54cda56, v11
	v_mad_u64_u32 v[7:8], null, 0xcd9e8d57, v3, 0
	v_add_co_u32 v46, null, 0x646e171e, v10
	s_delay_alu instid0(VALU_DEP_4) | instskip(SKIP_3) | instid1(VALU_DEP_4)
	v_xor3_b32 v3, v35, v6, v4
	v_add_co_u32 v44, null, 0x5384540f, v11
	v_add_co_u32 v47, null, 0x1fd5c5a3, v10
	v_xor3_b32 v4, v8, v34, v2
	v_mad_u64_u32 v[0:1], null, 0xcd9e8d57, v3, 0
	s_waitcnt lgkmcnt(0)
	v_div_scale_f32 v8, null, s28, s28, 1.0
	s_delay_alu instid0(VALU_DEP_3) | instskip(SKIP_1) | instid1(VALU_DEP_4)
	v_mad_u64_u32 v[2:3], null, 0xd2511f53, v4, 0
	v_div_scale_f32 v16, vcc_lo, 1.0, s28, 1.0
	v_xor3_b32 v1, v38, v1, v7
	s_delay_alu instid0(VALU_DEP_4)
	v_rcp_f32_e32 v9, v8
	s_clause 0x1
	s_load_b64 s[14:15], s[0:1], 0x1a0
	s_load_b32 s20, s[0:1], 0x198
	v_add_co_u32 v45, null, 0xf1bbcdc8, v11
	v_xor3_b32 v7, v3, v39, v5
	v_mad_u64_u32 v[3:4], null, 0xd2511f53, v1, 0
	s_clause 0x1
	s_load_b64 s[16:17], s[0:1], 0xd0
	s_load_b64 s[18:19], s[0:1], 0x0
	s_mov_b32 s5, 0
	v_mad_u64_u32 v[5:6], null, 0xcd9e8d57, v7, 0
	v_mov_b32_e32 v49, 0
	s_mul_i32 s29, s26, 3
	v_xor3_b32 v2, v42, v4, v2
                                        ; implicit-def: $vgpr26
                                        ; implicit-def: $vgpr50
                                        ; implicit-def: $vgpr51
                                        ; implicit-def: $vgpr52
	v_dual_mov_b32 v18, v14 :: v_dual_mov_b32 v17, v13
	v_add_co_u32 v14, null, 0xdb3d7428, v10
	v_xor3_b32 v4, v6, v43, v0
	s_delay_alu instid0(VALU_DEP_4) | instskip(SKIP_2) | instid1(VALU_DEP_4)
	v_mad_u64_u32 v[0:1], null, 0xcd9e8d57, v2, 0
	v_fma_f32 v2, -v8, v9, 1.0
	v_add_nc_u32_e32 v40, 0x96a522ad, v12
	v_mad_u64_u32 v[6:7], null, 0xd2511f53, v4, 0
	s_waitcnt lgkmcnt(0)
	s_cmp_gt_i32 s20, 1
	v_fmac_f32_e32 v9, v2, v9
	v_xor3_b32 v4, v41, v1, v5
	s_cselect_b32 s30, -1, 0
	s_add_i32 s4, s20, -1
	s_lshl_b32 s31, s26, 1
	v_xor3_b32 v5, v7, v46, v3
	v_mad_u64_u32 v[1:2], null, 0xd2511f53, v4, 0
	v_mul_f32_e32 v19, v16, v9
	s_lshl_b64 s[2:3], s[4:5], 3
	s_delay_alu instid0(VALU_DEP_3) | instskip(SKIP_1) | instid1(VALU_DEP_2)
	v_mad_u64_u32 v[3:4], null, 0xcd9e8d57, v5, 0
	s_add_i32 s33, s20, 1
	v_fma_f32 v20, -v8, v19, v16
	s_delay_alu instid0(VALU_DEP_4) | instskip(SKIP_3) | instid1(VALU_DEP_3)
	v_xor3_b32 v2, v47, v2, v6
	s_add_u32 s0, s2, s0
	s_addc_u32 s1, s3, s1
	s_add_u32 s20, s0, 8
	v_xor3_b32 v0, v4, v44, v0
	v_mad_u64_u32 v[4:5], null, 0xcd9e8d57, v2, 0
	v_fmac_f32_e32 v19, v20, v9
	s_addc_u32 s21, s1, 0
	s_delay_alu instid0(VALU_DEP_3) | instskip(NEXT) | instid1(VALU_DEP_3)
	v_mad_u64_u32 v[6:7], null, 0xd2511f53, v0, 0
	v_xor3_b32 v0, v45, v5, v3
	s_delay_alu instid0(VALU_DEP_3) | instskip(NEXT) | instid1(VALU_DEP_3)
	v_fma_f32 v5, -v8, v19, v16
	v_xor3_b32 v3, v7, v14, v1
	s_delay_alu instid0(VALU_DEP_3) | instskip(NEXT) | instid1(VALU_DEP_3)
	v_mad_u64_u32 v[7:8], null, 0xd2511f53, v0, 0
	v_div_fmas_f32 v0, v5, v9, v19
	s_delay_alu instid0(VALU_DEP_3) | instskip(NEXT) | instid1(VALU_DEP_2)
	v_mad_u64_u32 v[1:2], null, 0xcd9e8d57, v3, 0
	v_div_fixup_f32 v48, v0, s28, 1.0
	s_delay_alu instid0(VALU_DEP_4) | instskip(NEXT) | instid1(VALU_DEP_3)
	v_mov_b32_e32 v3, v7
	v_xor3_b32 v0, v4, v2, v37
	v_xor3_b32 v2, v8, v6, v40
	s_branch .LBB103_8
.LBB103_7:                              ;   in Loop: Header=BB103_8 Depth=1
	s_or_b32 exec_lo, exec_lo, s1
	v_add_co_u32 v17, vcc_lo, v17, s27
	v_add_co_ci_u32_e32 v18, vcc_lo, 0, v18, vcc_lo
	v_mov_b32_e32 v7, v19
	v_dual_mov_b32 v0, v4 :: v_dual_mov_b32 v1, v5
	s_delay_alu instid0(VALU_DEP_3) | instskip(NEXT) | instid1(VALU_DEP_3)
	v_cmp_le_u64_e32 vcc_lo, s[8:9], v[17:18]
	v_dual_mov_b32 v2, v6 :: v_dual_mov_b32 v3, v7
	s_waitcnt vmcnt(0)
	s_waitcnt_vscnt null, 0x0
	s_barrier
	buffer_gl0_inv
	s_or_b32 s5, vcc_lo, s5
	s_delay_alu instid0(SALU_CYCLE_1)
	s_and_not1_b32 exec_lo, exec_lo, s5
	s_cbranch_execz .LBB103_62
.LBB103_8:                              ; =>This Loop Header: Depth=1
                                        ;     Child Loop BB103_20 Depth 2
                                        ;     Child Loop BB103_29 Depth 2
	;; [unrolled: 1-line block ×4, first 2 shown]
	v_add_co_u32 v28, vcc_lo, v28, 1
	s_delay_alu instid0(VALU_DEP_1) | instskip(SKIP_2) | instid1(VALU_DEP_1)
	v_cndmask_b32_e64 v4, 0, 1, vcc_lo
	v_add_co_ci_u32_e32 v29, vcc_lo, 0, v29, vcc_lo
	s_mov_b32 s0, exec_lo
	v_cmp_eq_u32_e32 vcc_lo, 0, v29
	s_delay_alu instid0(VALU_DEP_3) | instskip(NEXT) | instid1(VALU_DEP_1)
	v_cndmask_b32_e32 v4, 0, v4, vcc_lo
	v_add_nc_u32_e32 v13, v4, v13
	s_delay_alu instid0(VALU_DEP_1) | instskip(SKIP_2) | instid1(VALU_DEP_2)
	v_cmp_eq_u32_e32 vcc_lo, 0, v13
	v_cndmask_b32_e32 v4, 0, v4, vcc_lo
	v_mad_u64_u32 v[6:7], null, 0xcd9e8d57, v13, 0
	v_add_nc_u32_e32 v49, v4, v49
	v_mad_u64_u32 v[4:5], null, 0xd2511f53, v28, 0
	s_delay_alu instid0(VALU_DEP_3) | instskip(NEXT) | instid1(VALU_DEP_2)
	v_xor3_b32 v9, v7, v11, v29
	v_xor_b32_e32 v5, v5, v12
	s_delay_alu instid0(VALU_DEP_2) | instskip(NEXT) | instid1(VALU_DEP_2)
	v_mad_u64_u32 v[7:8], null, 0xd2511f53, v9, 0
	v_xor_b32_e32 v5, v49, v5
	s_delay_alu instid0(VALU_DEP_2) | instskip(NEXT) | instid1(VALU_DEP_2)
	v_xor3_b32 v8, v30, v8, v4
	v_mad_u64_u32 v[9:10], null, 0xcd9e8d57, v5, 0
	s_delay_alu instid0(VALU_DEP_2) | instskip(NEXT) | instid1(VALU_DEP_2)
	v_mad_u64_u32 v[4:5], null, 0xcd9e8d57, v8, 0
	v_xor3_b32 v6, v31, v10, v6
	s_delay_alu instid0(VALU_DEP_2) | instskip(NEXT) | instid1(VALU_DEP_2)
	v_xor3_b32 v8, v32, v5, v9
	v_mad_u64_u32 v[19:20], null, 0xd2511f53, v6, 0
	s_delay_alu instid0(VALU_DEP_2) | instskip(NEXT) | instid1(VALU_DEP_2)
	v_mad_u64_u32 v[5:6], null, 0xd2511f53, v8, 0
	v_xor3_b32 v9, v33, v20, v7
	s_delay_alu instid0(VALU_DEP_2) | instskip(NEXT) | instid1(VALU_DEP_2)
	v_xor3_b32 v6, v35, v6, v19
	v_mad_u64_u32 v[7:8], null, 0xcd9e8d57, v9, 0
	s_delay_alu instid0(VALU_DEP_1) | instskip(NEXT) | instid1(VALU_DEP_3)
	v_xor3_b32 v4, v34, v8, v4
	v_mad_u64_u32 v[8:9], null, 0xcd9e8d57, v6, 0
	s_delay_alu instid0(VALU_DEP_2) | instskip(NEXT) | instid1(VALU_DEP_2)
	v_mad_u64_u32 v[19:20], null, 0xd2511f53, v4, 0
	v_xor3_b32 v6, v38, v9, v7
	s_delay_alu instid0(VALU_DEP_2) | instskip(NEXT) | instid1(VALU_DEP_2)
	v_xor3_b32 v9, v39, v20, v5
	v_mad_u64_u32 v[4:5], null, 0xd2511f53, v6, 0
	s_delay_alu instid0(VALU_DEP_2) | instskip(NEXT) | instid1(VALU_DEP_2)
	v_mad_u64_u32 v[6:7], null, 0xcd9e8d57, v9, 0
	v_xor3_b32 v5, v42, v5, v19
	s_delay_alu instid0(VALU_DEP_2) | instskip(NEXT) | instid1(VALU_DEP_2)
	;; [unrolled: 6-line block ×6, first 2 shown]
	v_xor3_b32 v4, v6, v7, v37
	v_mov_b32_e32 v6, v10
	v_cmpx_lt_i32_e32 1, v36
	s_xor_b32 s0, exec_lo, s0
	s_cbranch_execnz .LBB103_11
; %bb.9:                                ;   in Loop: Header=BB103_8 Depth=1
	s_and_not1_saveexec_b32 s0, s0
	s_cbranch_execnz .LBB103_16
.LBB103_10:                             ;   in Loop: Header=BB103_8 Depth=1
	s_or_b32 exec_lo, exec_lo, s0
	v_cmp_gt_u64_e64 s0, s[6:7], v[17:18]
	s_delay_alu instid0(VALU_DEP_1)
	s_and_saveexec_b32 s4, s0
	s_cbranch_execnz .LBB103_19
	s_branch .LBB103_27
.LBB103_11:                             ;   in Loop: Header=BB103_8 Depth=1
	s_mov_b32 s1, exec_lo
	v_cmpx_lt_i32_e32 2, v36
	s_xor_b32 s1, exec_lo, s1
; %bb.12:                               ;   in Loop: Header=BB103_8 Depth=1
	v_dual_mov_b32 v7, v3 :: v_dual_mov_b32 v8, v4
	v_mov_b32_e32 v9, v5
	s_delay_alu instid0(VALU_DEP_2) | instskip(NEXT) | instid1(VALU_DEP_2)
	v_dual_mov_b32 v0, v7 :: v_dual_mov_b32 v1, v8
	v_dual_mov_b32 v2, v9 :: v_dual_mov_b32 v3, v10
; %bb.13:                               ;   in Loop: Header=BB103_8 Depth=1
	s_and_not1_saveexec_b32 s1, s1
; %bb.14:                               ;   in Loop: Header=BB103_8 Depth=1
	s_delay_alu instid0(VALU_DEP_1)
	v_dual_mov_b32 v0, v2 :: v_dual_mov_b32 v1, v3
	v_dual_mov_b32 v2, v4 :: v_dual_mov_b32 v3, v5
; %bb.15:                               ;   in Loop: Header=BB103_8 Depth=1
	s_or_b32 exec_lo, exec_lo, s1
	s_and_not1_saveexec_b32 s0, s0
	s_cbranch_execz .LBB103_10
.LBB103_16:                             ;   in Loop: Header=BB103_8 Depth=1
	s_mov_b32 s1, exec_lo
	v_cmpx_eq_u32_e32 1, v36
; %bb.17:                               ;   in Loop: Header=BB103_8 Depth=1
	v_dual_mov_b32 v0, v1 :: v_dual_mov_b32 v1, v2
	v_dual_mov_b32 v2, v3 :: v_dual_mov_b32 v3, v4
; %bb.18:                               ;   in Loop: Header=BB103_8 Depth=1
	s_or_b32 exec_lo, exec_lo, s1
	s_delay_alu instid0(SALU_CYCLE_1) | instskip(SKIP_1) | instid1(VALU_DEP_1)
	s_or_b32 exec_lo, exec_lo, s0
	v_cmp_gt_u64_e64 s0, s[6:7], v[17:18]
	s_and_saveexec_b32 s4, s0
	s_cbranch_execz .LBB103_27
.LBB103_19:                             ;   in Loop: Header=BB103_8 Depth=1
	v_mov_b32_e32 v7, 0
	v_dual_mov_b32 v8, 0 :: v_dual_mov_b32 v9, v17
	v_mov_b32_e32 v10, v18
	v_dual_mov_b32 v21, v18 :: v_dual_mov_b32 v20, v17
	s_and_not1_b32 vcc_lo, exec_lo, s30
	s_mov_b64 s[2:3], s[20:21]
	s_mov_b32 s24, s33
	s_cbranch_vccnz .LBB103_26
.LBB103_20:                             ;   Parent Loop BB103_8 Depth=1
                                        ; =>  This Inner Loop Header: Depth=2
	s_load_b64 s[22:23], s[2:3], 0x0
                                        ; implicit-def: $vgpr20_vgpr21
	s_mov_b32 s1, exec_lo
	s_waitcnt lgkmcnt(0)
	v_or_b32_e32 v16, s23, v10
	s_delay_alu instid0(VALU_DEP_1)
	v_cmpx_ne_u64_e32 0, v[15:16]
	s_xor_b32 s25, exec_lo, s1
	s_cbranch_execz .LBB103_22
; %bb.21:                               ;   in Loop: Header=BB103_20 Depth=2
	v_cvt_f32_u32_e32 v16, s22
	v_cvt_f32_u32_e32 v20, s23
	s_sub_u32 s1, 0, s22
	s_subb_u32 s34, 0, s23
	s_delay_alu instid0(VALU_DEP_1) | instskip(NEXT) | instid1(VALU_DEP_1)
	v_fmac_f32_e32 v16, 0x4f800000, v20
	v_rcp_f32_e32 v16, v16
	s_waitcnt_depctr 0xfff
	v_mul_f32_e32 v16, 0x5f7ffffc, v16
	s_delay_alu instid0(VALU_DEP_1) | instskip(NEXT) | instid1(VALU_DEP_1)
	v_mul_f32_e32 v20, 0x2f800000, v16
	v_trunc_f32_e32 v20, v20
	s_delay_alu instid0(VALU_DEP_1) | instskip(SKIP_1) | instid1(VALU_DEP_2)
	v_fmac_f32_e32 v16, 0xcf800000, v20
	v_cvt_u32_f32_e32 v20, v20
	v_cvt_u32_f32_e32 v16, v16
	s_delay_alu instid0(VALU_DEP_2) | instskip(NEXT) | instid1(VALU_DEP_2)
	v_mul_lo_u32 v21, s1, v20
	v_mul_hi_u32 v22, s1, v16
	v_mul_lo_u32 v23, s34, v16
	s_delay_alu instid0(VALU_DEP_2) | instskip(SKIP_1) | instid1(VALU_DEP_2)
	v_add_nc_u32_e32 v21, v22, v21
	v_mul_lo_u32 v22, s1, v16
	v_add_nc_u32_e32 v21, v21, v23
	s_delay_alu instid0(VALU_DEP_2) | instskip(NEXT) | instid1(VALU_DEP_2)
	v_mul_hi_u32 v23, v16, v22
	v_mul_lo_u32 v24, v16, v21
	v_mul_hi_u32 v25, v16, v21
	v_mul_hi_u32 v27, v20, v22
	v_mul_lo_u32 v22, v20, v22
	v_mul_hi_u32 v52, v20, v21
	v_mul_lo_u32 v21, v20, v21
	v_add_co_u32 v23, vcc_lo, v23, v24
	v_add_co_ci_u32_e32 v24, vcc_lo, 0, v25, vcc_lo
	s_delay_alu instid0(VALU_DEP_2) | instskip(NEXT) | instid1(VALU_DEP_2)
	v_add_co_u32 v22, vcc_lo, v23, v22
	v_add_co_ci_u32_e32 v22, vcc_lo, v24, v27, vcc_lo
	v_add_co_ci_u32_e32 v23, vcc_lo, 0, v52, vcc_lo
	s_delay_alu instid0(VALU_DEP_2) | instskip(NEXT) | instid1(VALU_DEP_2)
	v_add_co_u32 v21, vcc_lo, v22, v21
	v_add_co_ci_u32_e32 v22, vcc_lo, 0, v23, vcc_lo
	s_delay_alu instid0(VALU_DEP_2) | instskip(NEXT) | instid1(VALU_DEP_2)
	v_add_co_u32 v16, vcc_lo, v16, v21
	v_add_co_ci_u32_e32 v20, vcc_lo, v20, v22, vcc_lo
	s_delay_alu instid0(VALU_DEP_2) | instskip(SKIP_1) | instid1(VALU_DEP_3)
	v_mul_hi_u32 v21, s1, v16
	v_mul_lo_u32 v23, s34, v16
	v_mul_lo_u32 v22, s1, v20
	s_delay_alu instid0(VALU_DEP_1) | instskip(SKIP_1) | instid1(VALU_DEP_2)
	v_add_nc_u32_e32 v21, v21, v22
	v_mul_lo_u32 v22, s1, v16
	v_add_nc_u32_e32 v21, v21, v23
	s_delay_alu instid0(VALU_DEP_2) | instskip(NEXT) | instid1(VALU_DEP_2)
	v_mul_hi_u32 v23, v16, v22
	v_mul_lo_u32 v24, v16, v21
	v_mul_hi_u32 v25, v16, v21
	v_mul_hi_u32 v27, v20, v22
	v_mul_lo_u32 v22, v20, v22
	v_mul_hi_u32 v52, v20, v21
	v_mul_lo_u32 v21, v20, v21
	v_add_co_u32 v23, vcc_lo, v23, v24
	v_add_co_ci_u32_e32 v24, vcc_lo, 0, v25, vcc_lo
	s_delay_alu instid0(VALU_DEP_2) | instskip(NEXT) | instid1(VALU_DEP_2)
	v_add_co_u32 v22, vcc_lo, v23, v22
	v_add_co_ci_u32_e32 v22, vcc_lo, v24, v27, vcc_lo
	v_add_co_ci_u32_e32 v23, vcc_lo, 0, v52, vcc_lo
	s_delay_alu instid0(VALU_DEP_2) | instskip(NEXT) | instid1(VALU_DEP_2)
	v_add_co_u32 v21, vcc_lo, v22, v21
	v_add_co_ci_u32_e32 v22, vcc_lo, 0, v23, vcc_lo
	s_delay_alu instid0(VALU_DEP_2) | instskip(NEXT) | instid1(VALU_DEP_2)
	v_add_co_u32 v16, vcc_lo, v16, v21
	v_add_co_ci_u32_e32 v27, vcc_lo, v20, v22, vcc_lo
	s_delay_alu instid0(VALU_DEP_2) | instskip(SKIP_1) | instid1(VALU_DEP_3)
	v_mul_hi_u32 v52, v9, v16
	v_mad_u64_u32 v[22:23], null, v10, v16, 0
	v_mad_u64_u32 v[20:21], null, v9, v27, 0
	;; [unrolled: 1-line block ×3, first 2 shown]
	s_delay_alu instid0(VALU_DEP_2) | instskip(NEXT) | instid1(VALU_DEP_3)
	v_add_co_u32 v16, vcc_lo, v52, v20
	v_add_co_ci_u32_e32 v20, vcc_lo, 0, v21, vcc_lo
	s_delay_alu instid0(VALU_DEP_2) | instskip(NEXT) | instid1(VALU_DEP_2)
	v_add_co_u32 v16, vcc_lo, v16, v22
	v_add_co_ci_u32_e32 v16, vcc_lo, v20, v23, vcc_lo
	v_add_co_ci_u32_e32 v20, vcc_lo, 0, v25, vcc_lo
	s_delay_alu instid0(VALU_DEP_2) | instskip(NEXT) | instid1(VALU_DEP_2)
	v_add_co_u32 v16, vcc_lo, v16, v24
	v_add_co_ci_u32_e32 v22, vcc_lo, 0, v20, vcc_lo
	s_delay_alu instid0(VALU_DEP_2) | instskip(SKIP_1) | instid1(VALU_DEP_3)
	v_mul_lo_u32 v23, s23, v16
	v_mad_u64_u32 v[20:21], null, s22, v16, 0
	v_mul_lo_u32 v24, s22, v22
	s_delay_alu instid0(VALU_DEP_2) | instskip(NEXT) | instid1(VALU_DEP_2)
	v_sub_co_u32 v20, vcc_lo, v9, v20
	v_add3_u32 v21, v21, v24, v23
	s_delay_alu instid0(VALU_DEP_1) | instskip(NEXT) | instid1(VALU_DEP_1)
	v_sub_nc_u32_e32 v23, v10, v21
	v_subrev_co_ci_u32_e64 v23, s1, s23, v23, vcc_lo
	v_add_co_u32 v24, s1, v16, 2
	s_delay_alu instid0(VALU_DEP_1) | instskip(SKIP_3) | instid1(VALU_DEP_3)
	v_add_co_ci_u32_e64 v25, s1, 0, v22, s1
	v_sub_co_u32 v27, s1, v20, s22
	v_sub_co_ci_u32_e32 v21, vcc_lo, v10, v21, vcc_lo
	v_subrev_co_ci_u32_e64 v23, s1, 0, v23, s1
	v_cmp_le_u32_e32 vcc_lo, s22, v27
	s_delay_alu instid0(VALU_DEP_3) | instskip(SKIP_1) | instid1(VALU_DEP_4)
	v_cmp_eq_u32_e64 s1, s23, v21
	v_cndmask_b32_e64 v27, 0, -1, vcc_lo
	v_cmp_le_u32_e32 vcc_lo, s23, v23
	v_cndmask_b32_e64 v52, 0, -1, vcc_lo
	v_cmp_le_u32_e32 vcc_lo, s22, v20
	;; [unrolled: 2-line block ×3, first 2 shown]
	v_cndmask_b32_e64 v53, 0, -1, vcc_lo
	v_cmp_eq_u32_e32 vcc_lo, s23, v23
	s_delay_alu instid0(VALU_DEP_2) | instskip(SKIP_3) | instid1(VALU_DEP_3)
	v_cndmask_b32_e64 v20, v53, v20, s1
	v_cndmask_b32_e32 v23, v52, v27, vcc_lo
	v_add_co_u32 v27, vcc_lo, v16, 1
	v_add_co_ci_u32_e32 v52, vcc_lo, 0, v22, vcc_lo
	v_cmp_ne_u32_e32 vcc_lo, 0, v23
	s_delay_alu instid0(VALU_DEP_2) | instskip(NEXT) | instid1(VALU_DEP_4)
	v_cndmask_b32_e32 v21, v52, v25, vcc_lo
	v_cndmask_b32_e32 v23, v27, v24, vcc_lo
	v_cmp_ne_u32_e32 vcc_lo, 0, v20
	s_delay_alu instid0(VALU_DEP_2)
	v_dual_cndmask_b32 v21, v22, v21 :: v_dual_cndmask_b32 v20, v16, v23
.LBB103_22:                             ;   in Loop: Header=BB103_20 Depth=2
	s_and_not1_saveexec_b32 s1, s25
	s_cbranch_execz .LBB103_24
; %bb.23:                               ;   in Loop: Header=BB103_20 Depth=2
	v_cvt_f32_u32_e32 v16, s22
	s_sub_i32 s25, 0, s22
	s_delay_alu instid0(VALU_DEP_1) | instskip(SKIP_2) | instid1(VALU_DEP_1)
	v_rcp_iflag_f32_e32 v16, v16
	s_waitcnt_depctr 0xfff
	v_mul_f32_e32 v16, 0x4f7ffffe, v16
	v_cvt_u32_f32_e32 v16, v16
	s_delay_alu instid0(VALU_DEP_1) | instskip(NEXT) | instid1(VALU_DEP_1)
	v_mul_lo_u32 v20, s25, v16
	v_mul_hi_u32 v20, v16, v20
	s_delay_alu instid0(VALU_DEP_1) | instskip(NEXT) | instid1(VALU_DEP_1)
	v_add_nc_u32_e32 v16, v16, v20
	v_mul_hi_u32 v16, v9, v16
	s_delay_alu instid0(VALU_DEP_1) | instskip(NEXT) | instid1(VALU_DEP_1)
	v_mul_lo_u32 v20, v16, s22
	v_sub_nc_u32_e32 v20, v9, v20
	s_delay_alu instid0(VALU_DEP_1) | instskip(SKIP_1) | instid1(VALU_DEP_2)
	v_subrev_nc_u32_e32 v22, s22, v20
	v_cmp_le_u32_e32 vcc_lo, s22, v20
	v_dual_cndmask_b32 v20, v20, v22 :: v_dual_add_nc_u32 v21, 1, v16
	s_delay_alu instid0(VALU_DEP_1) | instskip(NEXT) | instid1(VALU_DEP_2)
	v_cndmask_b32_e32 v16, v16, v21, vcc_lo
	v_cmp_le_u32_e32 vcc_lo, s22, v20
	s_delay_alu instid0(VALU_DEP_2) | instskip(NEXT) | instid1(VALU_DEP_1)
	v_add_nc_u32_e32 v21, 1, v16
	v_dual_cndmask_b32 v20, v16, v21 :: v_dual_mov_b32 v21, v15
.LBB103_24:                             ;   in Loop: Header=BB103_20 Depth=2
	s_or_b32 exec_lo, exec_lo, s1
	s_load_b64 s[34:35], s[2:3], 0xc8
	s_delay_alu instid0(VALU_DEP_1) | instskip(NEXT) | instid1(VALU_DEP_2)
	v_mul_lo_u32 v16, v21, s22
	v_mul_lo_u32 v24, v20, s23
	v_mad_u64_u32 v[22:23], null, v20, s22, 0
	s_add_i32 s24, s24, -1
	s_add_u32 s2, s2, -8
	s_addc_u32 s3, s3, -1
	s_cmp_gt_u32 s24, 2
	s_delay_alu instid0(VALU_DEP_1) | instskip(NEXT) | instid1(VALU_DEP_2)
	v_add3_u32 v16, v23, v24, v16
	v_sub_co_u32 v22, vcc_lo, v9, v22
	s_delay_alu instid0(VALU_DEP_2) | instskip(SKIP_1) | instid1(VALU_DEP_2)
	v_sub_co_ci_u32_e32 v9, vcc_lo, v10, v16, vcc_lo
	s_waitcnt lgkmcnt(0)
	v_mul_lo_u32 v23, s35, v22
	s_delay_alu instid0(VALU_DEP_2) | instskip(SKIP_1) | instid1(VALU_DEP_1)
	v_mul_lo_u32 v16, s34, v9
	v_mad_u64_u32 v[9:10], null, s34, v22, v[7:8]
	v_add3_u32 v8, v23, v10, v16
	s_delay_alu instid0(VALU_DEP_2)
	v_mov_b32_e32 v7, v9
	s_cbranch_scc0 .LBB103_26
; %bb.25:                               ;   in Loop: Header=BB103_20 Depth=2
	v_dual_mov_b32 v9, v20 :: v_dual_mov_b32 v10, v21
	s_branch .LBB103_20
.LBB103_26:                             ;   in Loop: Header=BB103_8 Depth=1
	v_mul_lo_u32 v16, s17, v20
	v_mul_lo_u32 v21, s16, v21
	v_mad_u64_u32 v[9:10], null, s16, v20, 0
	v_lshlrev_b64 v[7:8], 1, v[7:8]
	s_delay_alu instid0(VALU_DEP_2) | instskip(NEXT) | instid1(VALU_DEP_1)
	v_add3_u32 v10, v10, v21, v16
	v_lshlrev_b64 v[9:10], 1, v[9:10]
	s_delay_alu instid0(VALU_DEP_1) | instskip(NEXT) | instid1(VALU_DEP_2)
	v_add_co_u32 v9, vcc_lo, s18, v9
	v_add_co_ci_u32_e32 v10, vcc_lo, s19, v10, vcc_lo
	s_delay_alu instid0(VALU_DEP_2) | instskip(NEXT) | instid1(VALU_DEP_2)
	v_add_co_u32 v7, vcc_lo, v9, v7
	v_add_co_ci_u32_e32 v8, vcc_lo, v10, v8, vcc_lo
	global_load_u16 v52, v[7:8], off
.LBB103_27:                             ;   in Loop: Header=BB103_8 Depth=1
	s_or_b32 exec_lo, exec_lo, s4
	v_add_co_u32 v7, vcc_lo, v17, s26
	v_add_co_ci_u32_e32 v8, vcc_lo, 0, v18, vcc_lo
	s_delay_alu instid0(VALU_DEP_1) | instskip(NEXT) | instid1(VALU_DEP_1)
	v_cmp_gt_u64_e64 s1, s[6:7], v[7:8]
	s_and_saveexec_b32 s3, s1
	s_cbranch_execz .LBB103_36
; %bb.28:                               ;   in Loop: Header=BB103_8 Depth=1
	v_mov_b32_e32 v9, 0
	v_dual_mov_b32 v10, 0 :: v_dual_mov_b32 v21, v8
	v_dual_mov_b32 v20, v7 :: v_dual_mov_b32 v23, v8
	v_mov_b32_e32 v22, v7
	s_and_not1_b32 vcc_lo, exec_lo, s30
	s_mov_b64 s[22:23], s[20:21]
	s_mov_b32 s4, s33
	s_cbranch_vccnz .LBB103_35
.LBB103_29:                             ;   Parent Loop BB103_8 Depth=1
                                        ; =>  This Inner Loop Header: Depth=2
	s_load_b64 s[24:25], s[22:23], 0x0
                                        ; implicit-def: $vgpr22_vgpr23
	s_mov_b32 s2, exec_lo
	s_waitcnt lgkmcnt(0)
	v_or_b32_e32 v16, s25, v21
	s_delay_alu instid0(VALU_DEP_1)
	v_cmpx_ne_u64_e32 0, v[15:16]
	s_xor_b32 s34, exec_lo, s2
	s_cbranch_execz .LBB103_31
; %bb.30:                               ;   in Loop: Header=BB103_29 Depth=2
	v_cvt_f32_u32_e32 v16, s24
	v_cvt_f32_u32_e32 v22, s25
	s_sub_u32 s2, 0, s24
	s_subb_u32 s35, 0, s25
	s_delay_alu instid0(VALU_DEP_1) | instskip(NEXT) | instid1(VALU_DEP_1)
	v_fmac_f32_e32 v16, 0x4f800000, v22
	v_rcp_f32_e32 v16, v16
	s_waitcnt_depctr 0xfff
	v_mul_f32_e32 v16, 0x5f7ffffc, v16
	s_delay_alu instid0(VALU_DEP_1) | instskip(NEXT) | instid1(VALU_DEP_1)
	v_mul_f32_e32 v22, 0x2f800000, v16
	v_trunc_f32_e32 v22, v22
	s_delay_alu instid0(VALU_DEP_1) | instskip(SKIP_1) | instid1(VALU_DEP_2)
	v_fmac_f32_e32 v16, 0xcf800000, v22
	v_cvt_u32_f32_e32 v22, v22
	v_cvt_u32_f32_e32 v16, v16
	s_delay_alu instid0(VALU_DEP_2) | instskip(NEXT) | instid1(VALU_DEP_2)
	v_mul_lo_u32 v23, s2, v22
	v_mul_hi_u32 v24, s2, v16
	v_mul_lo_u32 v25, s35, v16
	s_delay_alu instid0(VALU_DEP_2) | instskip(SKIP_1) | instid1(VALU_DEP_2)
	v_add_nc_u32_e32 v23, v24, v23
	v_mul_lo_u32 v24, s2, v16
	v_add_nc_u32_e32 v23, v23, v25
	s_delay_alu instid0(VALU_DEP_2) | instskip(NEXT) | instid1(VALU_DEP_2)
	v_mul_hi_u32 v25, v16, v24
	v_mul_lo_u32 v27, v16, v23
	v_mul_hi_u32 v51, v16, v23
	v_mul_hi_u32 v53, v22, v24
	v_mul_lo_u32 v24, v22, v24
	v_mul_hi_u32 v54, v22, v23
	v_mul_lo_u32 v23, v22, v23
	v_add_co_u32 v25, vcc_lo, v25, v27
	v_add_co_ci_u32_e32 v27, vcc_lo, 0, v51, vcc_lo
	s_delay_alu instid0(VALU_DEP_2) | instskip(NEXT) | instid1(VALU_DEP_2)
	v_add_co_u32 v24, vcc_lo, v25, v24
	v_add_co_ci_u32_e32 v24, vcc_lo, v27, v53, vcc_lo
	v_add_co_ci_u32_e32 v25, vcc_lo, 0, v54, vcc_lo
	s_delay_alu instid0(VALU_DEP_2) | instskip(NEXT) | instid1(VALU_DEP_2)
	v_add_co_u32 v23, vcc_lo, v24, v23
	v_add_co_ci_u32_e32 v24, vcc_lo, 0, v25, vcc_lo
	s_delay_alu instid0(VALU_DEP_2) | instskip(NEXT) | instid1(VALU_DEP_2)
	v_add_co_u32 v16, vcc_lo, v16, v23
	v_add_co_ci_u32_e32 v22, vcc_lo, v22, v24, vcc_lo
	s_delay_alu instid0(VALU_DEP_2) | instskip(SKIP_1) | instid1(VALU_DEP_3)
	v_mul_hi_u32 v23, s2, v16
	v_mul_lo_u32 v25, s35, v16
	v_mul_lo_u32 v24, s2, v22
	s_delay_alu instid0(VALU_DEP_1) | instskip(SKIP_1) | instid1(VALU_DEP_2)
	v_add_nc_u32_e32 v23, v23, v24
	v_mul_lo_u32 v24, s2, v16
	v_add_nc_u32_e32 v23, v23, v25
	s_delay_alu instid0(VALU_DEP_2) | instskip(NEXT) | instid1(VALU_DEP_2)
	v_mul_hi_u32 v25, v16, v24
	v_mul_lo_u32 v27, v16, v23
	v_mul_hi_u32 v51, v16, v23
	v_mul_hi_u32 v53, v22, v24
	v_mul_lo_u32 v24, v22, v24
	v_mul_hi_u32 v54, v22, v23
	v_mul_lo_u32 v23, v22, v23
	v_add_co_u32 v25, vcc_lo, v25, v27
	v_add_co_ci_u32_e32 v27, vcc_lo, 0, v51, vcc_lo
	s_delay_alu instid0(VALU_DEP_2) | instskip(NEXT) | instid1(VALU_DEP_2)
	v_add_co_u32 v24, vcc_lo, v25, v24
	v_add_co_ci_u32_e32 v24, vcc_lo, v27, v53, vcc_lo
	v_add_co_ci_u32_e32 v25, vcc_lo, 0, v54, vcc_lo
	s_delay_alu instid0(VALU_DEP_2) | instskip(NEXT) | instid1(VALU_DEP_2)
	v_add_co_u32 v23, vcc_lo, v24, v23
	v_add_co_ci_u32_e32 v24, vcc_lo, 0, v25, vcc_lo
	s_delay_alu instid0(VALU_DEP_2) | instskip(NEXT) | instid1(VALU_DEP_2)
	v_add_co_u32 v16, vcc_lo, v16, v23
	v_add_co_ci_u32_e32 v27, vcc_lo, v22, v24, vcc_lo
	s_delay_alu instid0(VALU_DEP_2) | instskip(SKIP_1) | instid1(VALU_DEP_3)
	v_mul_hi_u32 v51, v20, v16
	v_mad_u64_u32 v[24:25], null, v21, v16, 0
	v_mad_u64_u32 v[22:23], null, v20, v27, 0
	;; [unrolled: 1-line block ×3, first 2 shown]
	s_delay_alu instid0(VALU_DEP_2) | instskip(NEXT) | instid1(VALU_DEP_3)
	v_add_co_u32 v16, vcc_lo, v51, v22
	v_add_co_ci_u32_e32 v22, vcc_lo, 0, v23, vcc_lo
	s_delay_alu instid0(VALU_DEP_2) | instskip(NEXT) | instid1(VALU_DEP_2)
	v_add_co_u32 v16, vcc_lo, v16, v24
	v_add_co_ci_u32_e32 v16, vcc_lo, v22, v25, vcc_lo
	v_add_co_ci_u32_e32 v22, vcc_lo, 0, v54, vcc_lo
	s_delay_alu instid0(VALU_DEP_2) | instskip(NEXT) | instid1(VALU_DEP_2)
	v_add_co_u32 v16, vcc_lo, v16, v53
	v_add_co_ci_u32_e32 v24, vcc_lo, 0, v22, vcc_lo
	s_delay_alu instid0(VALU_DEP_2) | instskip(SKIP_1) | instid1(VALU_DEP_3)
	v_mul_lo_u32 v25, s25, v16
	v_mad_u64_u32 v[22:23], null, s24, v16, 0
	v_mul_lo_u32 v27, s24, v24
	s_delay_alu instid0(VALU_DEP_2) | instskip(NEXT) | instid1(VALU_DEP_2)
	v_sub_co_u32 v22, vcc_lo, v20, v22
	v_add3_u32 v23, v23, v27, v25
	s_delay_alu instid0(VALU_DEP_1) | instskip(NEXT) | instid1(VALU_DEP_1)
	v_sub_nc_u32_e32 v25, v21, v23
	v_subrev_co_ci_u32_e64 v25, s2, s25, v25, vcc_lo
	v_add_co_u32 v27, s2, v16, 2
	s_delay_alu instid0(VALU_DEP_1) | instskip(SKIP_3) | instid1(VALU_DEP_3)
	v_add_co_ci_u32_e64 v51, s2, 0, v24, s2
	v_sub_co_u32 v53, s2, v22, s24
	v_sub_co_ci_u32_e32 v23, vcc_lo, v21, v23, vcc_lo
	v_subrev_co_ci_u32_e64 v25, s2, 0, v25, s2
	v_cmp_le_u32_e32 vcc_lo, s24, v53
	s_delay_alu instid0(VALU_DEP_3) | instskip(SKIP_1) | instid1(VALU_DEP_4)
	v_cmp_eq_u32_e64 s2, s25, v23
	v_cndmask_b32_e64 v53, 0, -1, vcc_lo
	v_cmp_le_u32_e32 vcc_lo, s25, v25
	v_cndmask_b32_e64 v54, 0, -1, vcc_lo
	v_cmp_le_u32_e32 vcc_lo, s24, v22
	;; [unrolled: 2-line block ×3, first 2 shown]
	v_cndmask_b32_e64 v55, 0, -1, vcc_lo
	v_cmp_eq_u32_e32 vcc_lo, s25, v25
	s_delay_alu instid0(VALU_DEP_2) | instskip(SKIP_3) | instid1(VALU_DEP_3)
	v_cndmask_b32_e64 v22, v55, v22, s2
	v_cndmask_b32_e32 v25, v54, v53, vcc_lo
	v_add_co_u32 v53, vcc_lo, v16, 1
	v_add_co_ci_u32_e32 v54, vcc_lo, 0, v24, vcc_lo
	v_cmp_ne_u32_e32 vcc_lo, 0, v25
	s_delay_alu instid0(VALU_DEP_3) | instskip(NEXT) | instid1(VALU_DEP_3)
	v_cndmask_b32_e32 v25, v53, v27, vcc_lo
	v_cndmask_b32_e32 v23, v54, v51, vcc_lo
	v_cmp_ne_u32_e32 vcc_lo, 0, v22
	s_delay_alu instid0(VALU_DEP_3) | instskip(NEXT) | instid1(VALU_DEP_3)
	v_cndmask_b32_e32 v22, v16, v25, vcc_lo
	v_cndmask_b32_e32 v23, v24, v23, vcc_lo
.LBB103_31:                             ;   in Loop: Header=BB103_29 Depth=2
	s_and_not1_saveexec_b32 s2, s34
	s_cbranch_execz .LBB103_33
; %bb.32:                               ;   in Loop: Header=BB103_29 Depth=2
	v_cvt_f32_u32_e32 v16, s24
	s_sub_i32 s34, 0, s24
	s_delay_alu instid0(VALU_DEP_1) | instskip(SKIP_2) | instid1(VALU_DEP_1)
	v_rcp_iflag_f32_e32 v16, v16
	s_waitcnt_depctr 0xfff
	v_mul_f32_e32 v16, 0x4f7ffffe, v16
	v_cvt_u32_f32_e32 v16, v16
	s_delay_alu instid0(VALU_DEP_1) | instskip(NEXT) | instid1(VALU_DEP_1)
	v_mul_lo_u32 v22, s34, v16
	v_mul_hi_u32 v22, v16, v22
	s_delay_alu instid0(VALU_DEP_1) | instskip(NEXT) | instid1(VALU_DEP_1)
	v_add_nc_u32_e32 v16, v16, v22
	v_mul_hi_u32 v16, v20, v16
	s_delay_alu instid0(VALU_DEP_1) | instskip(SKIP_1) | instid1(VALU_DEP_2)
	v_mul_lo_u32 v22, v16, s24
	v_add_nc_u32_e32 v23, 1, v16
	v_sub_nc_u32_e32 v22, v20, v22
	s_delay_alu instid0(VALU_DEP_1) | instskip(SKIP_1) | instid1(VALU_DEP_2)
	v_subrev_nc_u32_e32 v24, s24, v22
	v_cmp_le_u32_e32 vcc_lo, s24, v22
	v_cndmask_b32_e32 v22, v22, v24, vcc_lo
	v_cndmask_b32_e32 v16, v16, v23, vcc_lo
	s_delay_alu instid0(VALU_DEP_2) | instskip(NEXT) | instid1(VALU_DEP_2)
	v_cmp_le_u32_e32 vcc_lo, s24, v22
	v_add_nc_u32_e32 v23, 1, v16
	s_delay_alu instid0(VALU_DEP_1)
	v_dual_cndmask_b32 v22, v16, v23 :: v_dual_mov_b32 v23, v15
.LBB103_33:                             ;   in Loop: Header=BB103_29 Depth=2
	s_or_b32 exec_lo, exec_lo, s2
	s_load_b64 s[34:35], s[22:23], 0xc8
	s_delay_alu instid0(VALU_DEP_1) | instskip(NEXT) | instid1(VALU_DEP_2)
	v_mul_lo_u32 v16, v23, s24
	v_mul_lo_u32 v27, v22, s25
	v_mad_u64_u32 v[24:25], null, v22, s24, 0
	s_add_i32 s4, s4, -1
	s_add_u32 s22, s22, -8
	s_addc_u32 s23, s23, -1
	s_cmp_gt_u32 s4, 2
	s_delay_alu instid0(VALU_DEP_1) | instskip(NEXT) | instid1(VALU_DEP_2)
	v_add3_u32 v16, v25, v27, v16
	v_sub_co_u32 v24, vcc_lo, v20, v24
	s_delay_alu instid0(VALU_DEP_2) | instskip(SKIP_1) | instid1(VALU_DEP_2)
	v_sub_co_ci_u32_e32 v16, vcc_lo, v21, v16, vcc_lo
	s_waitcnt lgkmcnt(0)
	v_mul_lo_u32 v25, s35, v24
	s_delay_alu instid0(VALU_DEP_2) | instskip(SKIP_1) | instid1(VALU_DEP_1)
	v_mul_lo_u32 v16, s34, v16
	v_mad_u64_u32 v[20:21], null, s34, v24, v[9:10]
	v_add3_u32 v10, v25, v21, v16
	s_delay_alu instid0(VALU_DEP_2)
	v_mov_b32_e32 v9, v20
	s_cbranch_scc0 .LBB103_35
; %bb.34:                               ;   in Loop: Header=BB103_29 Depth=2
	v_dual_mov_b32 v20, v22 :: v_dual_mov_b32 v21, v23
	s_branch .LBB103_29
.LBB103_35:                             ;   in Loop: Header=BB103_8 Depth=1
	v_mul_lo_u32 v16, s17, v22
	v_mul_lo_u32 v23, s16, v23
	v_mad_u64_u32 v[20:21], null, s16, v22, 0
	v_lshlrev_b64 v[9:10], 1, v[9:10]
	s_delay_alu instid0(VALU_DEP_2) | instskip(NEXT) | instid1(VALU_DEP_1)
	v_add3_u32 v21, v21, v23, v16
	v_lshlrev_b64 v[20:21], 1, v[20:21]
	s_delay_alu instid0(VALU_DEP_1) | instskip(NEXT) | instid1(VALU_DEP_2)
	v_add_co_u32 v16, vcc_lo, s18, v20
	v_add_co_ci_u32_e32 v20, vcc_lo, s19, v21, vcc_lo
	s_delay_alu instid0(VALU_DEP_2) | instskip(NEXT) | instid1(VALU_DEP_2)
	v_add_co_u32 v9, vcc_lo, v16, v9
	v_add_co_ci_u32_e32 v10, vcc_lo, v20, v10, vcc_lo
	global_load_u16 v51, v[9:10], off
.LBB103_36:                             ;   in Loop: Header=BB103_8 Depth=1
	s_or_b32 exec_lo, exec_lo, s3
	v_add_co_u32 v9, vcc_lo, v17, s31
	v_add_co_ci_u32_e32 v10, vcc_lo, 0, v18, vcc_lo
	s_delay_alu instid0(VALU_DEP_1) | instskip(NEXT) | instid1(VALU_DEP_1)
	v_cmp_gt_u64_e64 s2, s[6:7], v[9:10]
	s_and_saveexec_b32 s4, s2
	s_cbranch_execz .LBB103_45
; %bb.37:                               ;   in Loop: Header=BB103_8 Depth=1
	v_dual_mov_b32 v20, 0 :: v_dual_mov_b32 v23, v10
	v_dual_mov_b32 v21, 0 :: v_dual_mov_b32 v22, v9
	;; [unrolled: 1-line block ×3, first 2 shown]
	s_and_not1_b32 vcc_lo, exec_lo, s30
	s_mov_b64 s[22:23], s[20:21]
	s_mov_b32 s34, s33
	s_cbranch_vccnz .LBB103_44
.LBB103_38:                             ;   Parent Loop BB103_8 Depth=1
                                        ; =>  This Inner Loop Header: Depth=2
	s_load_b64 s[24:25], s[22:23], 0x0
                                        ; implicit-def: $vgpr24_vgpr25
	s_mov_b32 s3, exec_lo
	s_waitcnt lgkmcnt(0)
	v_or_b32_e32 v16, s25, v23
	s_delay_alu instid0(VALU_DEP_1)
	v_cmpx_ne_u64_e32 0, v[15:16]
	s_xor_b32 s35, exec_lo, s3
	s_cbranch_execz .LBB103_40
; %bb.39:                               ;   in Loop: Header=BB103_38 Depth=2
	v_cvt_f32_u32_e32 v16, s24
	v_cvt_f32_u32_e32 v24, s25
	s_sub_u32 s3, 0, s24
	s_subb_u32 s36, 0, s25
	s_delay_alu instid0(VALU_DEP_1) | instskip(NEXT) | instid1(VALU_DEP_1)
	v_fmac_f32_e32 v16, 0x4f800000, v24
	v_rcp_f32_e32 v16, v16
	s_waitcnt_depctr 0xfff
	v_mul_f32_e32 v16, 0x5f7ffffc, v16
	s_delay_alu instid0(VALU_DEP_1) | instskip(NEXT) | instid1(VALU_DEP_1)
	v_mul_f32_e32 v24, 0x2f800000, v16
	v_trunc_f32_e32 v24, v24
	s_delay_alu instid0(VALU_DEP_1) | instskip(SKIP_1) | instid1(VALU_DEP_2)
	v_fmac_f32_e32 v16, 0xcf800000, v24
	v_cvt_u32_f32_e32 v24, v24
	v_cvt_u32_f32_e32 v16, v16
	s_delay_alu instid0(VALU_DEP_2) | instskip(NEXT) | instid1(VALU_DEP_2)
	v_mul_lo_u32 v25, s3, v24
	v_mul_hi_u32 v27, s3, v16
	v_mul_lo_u32 v50, s36, v16
	s_delay_alu instid0(VALU_DEP_2) | instskip(SKIP_1) | instid1(VALU_DEP_2)
	v_add_nc_u32_e32 v25, v27, v25
	v_mul_lo_u32 v27, s3, v16
	v_add_nc_u32_e32 v25, v25, v50
	s_delay_alu instid0(VALU_DEP_2) | instskip(NEXT) | instid1(VALU_DEP_2)
	v_mul_hi_u32 v50, v16, v27
	v_mul_lo_u32 v53, v16, v25
	v_mul_hi_u32 v54, v16, v25
	v_mul_hi_u32 v55, v24, v27
	v_mul_lo_u32 v27, v24, v27
	v_mul_hi_u32 v56, v24, v25
	v_mul_lo_u32 v25, v24, v25
	v_add_co_u32 v50, vcc_lo, v50, v53
	v_add_co_ci_u32_e32 v53, vcc_lo, 0, v54, vcc_lo
	s_delay_alu instid0(VALU_DEP_2) | instskip(NEXT) | instid1(VALU_DEP_2)
	v_add_co_u32 v27, vcc_lo, v50, v27
	v_add_co_ci_u32_e32 v27, vcc_lo, v53, v55, vcc_lo
	v_add_co_ci_u32_e32 v50, vcc_lo, 0, v56, vcc_lo
	s_delay_alu instid0(VALU_DEP_2) | instskip(NEXT) | instid1(VALU_DEP_2)
	v_add_co_u32 v25, vcc_lo, v27, v25
	v_add_co_ci_u32_e32 v27, vcc_lo, 0, v50, vcc_lo
	s_delay_alu instid0(VALU_DEP_2) | instskip(NEXT) | instid1(VALU_DEP_2)
	v_add_co_u32 v16, vcc_lo, v16, v25
	v_add_co_ci_u32_e32 v24, vcc_lo, v24, v27, vcc_lo
	s_delay_alu instid0(VALU_DEP_2) | instskip(SKIP_1) | instid1(VALU_DEP_3)
	v_mul_hi_u32 v25, s3, v16
	v_mul_lo_u32 v50, s36, v16
	v_mul_lo_u32 v27, s3, v24
	s_delay_alu instid0(VALU_DEP_1) | instskip(SKIP_1) | instid1(VALU_DEP_2)
	v_add_nc_u32_e32 v25, v25, v27
	v_mul_lo_u32 v27, s3, v16
	v_add_nc_u32_e32 v25, v25, v50
	s_delay_alu instid0(VALU_DEP_2) | instskip(NEXT) | instid1(VALU_DEP_2)
	v_mul_hi_u32 v50, v16, v27
	v_mul_lo_u32 v53, v16, v25
	v_mul_hi_u32 v54, v16, v25
	v_mul_hi_u32 v55, v24, v27
	v_mul_lo_u32 v27, v24, v27
	v_mul_hi_u32 v56, v24, v25
	v_mul_lo_u32 v25, v24, v25
	v_add_co_u32 v50, vcc_lo, v50, v53
	v_add_co_ci_u32_e32 v53, vcc_lo, 0, v54, vcc_lo
	s_delay_alu instid0(VALU_DEP_2) | instskip(NEXT) | instid1(VALU_DEP_2)
	v_add_co_u32 v27, vcc_lo, v50, v27
	v_add_co_ci_u32_e32 v27, vcc_lo, v53, v55, vcc_lo
	v_add_co_ci_u32_e32 v50, vcc_lo, 0, v56, vcc_lo
	s_delay_alu instid0(VALU_DEP_2) | instskip(NEXT) | instid1(VALU_DEP_2)
	v_add_co_u32 v25, vcc_lo, v27, v25
	v_add_co_ci_u32_e32 v27, vcc_lo, 0, v50, vcc_lo
	s_delay_alu instid0(VALU_DEP_2) | instskip(NEXT) | instid1(VALU_DEP_2)
	v_add_co_u32 v16, vcc_lo, v16, v25
	v_add_co_ci_u32_e32 v27, vcc_lo, v24, v27, vcc_lo
	s_delay_alu instid0(VALU_DEP_2) | instskip(SKIP_1) | instid1(VALU_DEP_3)
	v_mul_hi_u32 v50, v22, v16
	v_mad_u64_u32 v[53:54], null, v23, v16, 0
	v_mad_u64_u32 v[24:25], null, v22, v27, 0
	;; [unrolled: 1-line block ×3, first 2 shown]
	s_delay_alu instid0(VALU_DEP_2) | instskip(NEXT) | instid1(VALU_DEP_3)
	v_add_co_u32 v16, vcc_lo, v50, v24
	v_add_co_ci_u32_e32 v24, vcc_lo, 0, v25, vcc_lo
	s_delay_alu instid0(VALU_DEP_2) | instskip(NEXT) | instid1(VALU_DEP_2)
	v_add_co_u32 v16, vcc_lo, v16, v53
	v_add_co_ci_u32_e32 v16, vcc_lo, v24, v54, vcc_lo
	v_add_co_ci_u32_e32 v24, vcc_lo, 0, v56, vcc_lo
	s_delay_alu instid0(VALU_DEP_2) | instskip(NEXT) | instid1(VALU_DEP_2)
	v_add_co_u32 v16, vcc_lo, v16, v55
	v_add_co_ci_u32_e32 v27, vcc_lo, 0, v24, vcc_lo
	s_delay_alu instid0(VALU_DEP_2) | instskip(SKIP_1) | instid1(VALU_DEP_3)
	v_mul_lo_u32 v50, s25, v16
	v_mad_u64_u32 v[24:25], null, s24, v16, 0
	v_mul_lo_u32 v53, s24, v27
	s_delay_alu instid0(VALU_DEP_2) | instskip(NEXT) | instid1(VALU_DEP_2)
	v_sub_co_u32 v24, vcc_lo, v22, v24
	v_add3_u32 v25, v25, v53, v50
	s_delay_alu instid0(VALU_DEP_1) | instskip(NEXT) | instid1(VALU_DEP_1)
	v_sub_nc_u32_e32 v50, v23, v25
	v_subrev_co_ci_u32_e64 v50, s3, s25, v50, vcc_lo
	v_add_co_u32 v53, s3, v16, 2
	s_delay_alu instid0(VALU_DEP_1) | instskip(SKIP_3) | instid1(VALU_DEP_3)
	v_add_co_ci_u32_e64 v54, s3, 0, v27, s3
	v_sub_co_u32 v55, s3, v24, s24
	v_sub_co_ci_u32_e32 v25, vcc_lo, v23, v25, vcc_lo
	v_subrev_co_ci_u32_e64 v50, s3, 0, v50, s3
	v_cmp_le_u32_e32 vcc_lo, s24, v55
	s_delay_alu instid0(VALU_DEP_3) | instskip(SKIP_1) | instid1(VALU_DEP_4)
	v_cmp_eq_u32_e64 s3, s25, v25
	v_cndmask_b32_e64 v55, 0, -1, vcc_lo
	v_cmp_le_u32_e32 vcc_lo, s25, v50
	v_cndmask_b32_e64 v56, 0, -1, vcc_lo
	v_cmp_le_u32_e32 vcc_lo, s24, v24
	;; [unrolled: 2-line block ×3, first 2 shown]
	v_cndmask_b32_e64 v57, 0, -1, vcc_lo
	v_cmp_eq_u32_e32 vcc_lo, s25, v50
	s_delay_alu instid0(VALU_DEP_2) | instskip(SKIP_3) | instid1(VALU_DEP_3)
	v_cndmask_b32_e64 v24, v57, v24, s3
	v_cndmask_b32_e32 v50, v56, v55, vcc_lo
	v_add_co_u32 v55, vcc_lo, v16, 1
	v_add_co_ci_u32_e32 v56, vcc_lo, 0, v27, vcc_lo
	v_cmp_ne_u32_e32 vcc_lo, 0, v50
	s_delay_alu instid0(VALU_DEP_2) | instskip(SKIP_1) | instid1(VALU_DEP_2)
	v_dual_cndmask_b32 v25, v56, v54 :: v_dual_cndmask_b32 v50, v55, v53
	v_cmp_ne_u32_e32 vcc_lo, 0, v24
	v_dual_cndmask_b32 v25, v27, v25 :: v_dual_cndmask_b32 v24, v16, v50
.LBB103_40:                             ;   in Loop: Header=BB103_38 Depth=2
	s_and_not1_saveexec_b32 s3, s35
	s_cbranch_execz .LBB103_42
; %bb.41:                               ;   in Loop: Header=BB103_38 Depth=2
	v_cvt_f32_u32_e32 v16, s24
	s_sub_i32 s35, 0, s24
	s_delay_alu instid0(VALU_DEP_1) | instskip(SKIP_2) | instid1(VALU_DEP_1)
	v_rcp_iflag_f32_e32 v16, v16
	s_waitcnt_depctr 0xfff
	v_mul_f32_e32 v16, 0x4f7ffffe, v16
	v_cvt_u32_f32_e32 v16, v16
	s_delay_alu instid0(VALU_DEP_1) | instskip(NEXT) | instid1(VALU_DEP_1)
	v_mul_lo_u32 v24, s35, v16
	v_mul_hi_u32 v24, v16, v24
	s_delay_alu instid0(VALU_DEP_1) | instskip(NEXT) | instid1(VALU_DEP_1)
	v_add_nc_u32_e32 v16, v16, v24
	v_mul_hi_u32 v16, v22, v16
	s_delay_alu instid0(VALU_DEP_1) | instskip(NEXT) | instid1(VALU_DEP_1)
	v_mul_lo_u32 v24, v16, s24
	v_sub_nc_u32_e32 v24, v22, v24
	s_delay_alu instid0(VALU_DEP_1) | instskip(SKIP_1) | instid1(VALU_DEP_2)
	v_subrev_nc_u32_e32 v27, s24, v24
	v_cmp_le_u32_e32 vcc_lo, s24, v24
	v_dual_cndmask_b32 v24, v24, v27 :: v_dual_add_nc_u32 v25, 1, v16
	s_delay_alu instid0(VALU_DEP_1) | instskip(NEXT) | instid1(VALU_DEP_2)
	v_cndmask_b32_e32 v16, v16, v25, vcc_lo
	v_cmp_le_u32_e32 vcc_lo, s24, v24
	s_delay_alu instid0(VALU_DEP_2) | instskip(NEXT) | instid1(VALU_DEP_1)
	v_add_nc_u32_e32 v25, 1, v16
	v_dual_cndmask_b32 v24, v16, v25 :: v_dual_mov_b32 v25, v15
.LBB103_42:                             ;   in Loop: Header=BB103_38 Depth=2
	s_or_b32 exec_lo, exec_lo, s3
	s_load_b64 s[36:37], s[22:23], 0xc8
	s_delay_alu instid0(VALU_DEP_1) | instskip(NEXT) | instid1(VALU_DEP_2)
	v_mul_lo_u32 v16, v25, s24
	v_mul_lo_u32 v27, v24, s25
	v_mad_u64_u32 v[53:54], null, v24, s24, 0
	s_add_i32 s34, s34, -1
	s_add_u32 s22, s22, -8
	s_addc_u32 s23, s23, -1
	s_cmp_gt_u32 s34, 2
	s_delay_alu instid0(VALU_DEP_1) | instskip(NEXT) | instid1(VALU_DEP_2)
	v_add3_u32 v16, v54, v27, v16
	v_sub_co_u32 v27, vcc_lo, v22, v53
	s_delay_alu instid0(VALU_DEP_2) | instskip(SKIP_1) | instid1(VALU_DEP_2)
	v_sub_co_ci_u32_e32 v16, vcc_lo, v23, v16, vcc_lo
	s_waitcnt lgkmcnt(0)
	v_mul_lo_u32 v50, s37, v27
	s_delay_alu instid0(VALU_DEP_2) | instskip(SKIP_1) | instid1(VALU_DEP_1)
	v_mul_lo_u32 v16, s36, v16
	v_mad_u64_u32 v[22:23], null, s36, v27, v[20:21]
	v_add3_u32 v21, v50, v23, v16
	s_delay_alu instid0(VALU_DEP_2)
	v_mov_b32_e32 v20, v22
	s_cbranch_scc0 .LBB103_44
; %bb.43:                               ;   in Loop: Header=BB103_38 Depth=2
	v_dual_mov_b32 v22, v24 :: v_dual_mov_b32 v23, v25
	s_branch .LBB103_38
.LBB103_44:                             ;   in Loop: Header=BB103_8 Depth=1
	v_mul_lo_u32 v16, s17, v24
	v_mul_lo_u32 v25, s16, v25
	v_mad_u64_u32 v[22:23], null, s16, v24, 0
	v_lshlrev_b64 v[20:21], 1, v[20:21]
	s_delay_alu instid0(VALU_DEP_2) | instskip(NEXT) | instid1(VALU_DEP_1)
	v_add3_u32 v23, v23, v25, v16
	v_lshlrev_b64 v[22:23], 1, v[22:23]
	s_delay_alu instid0(VALU_DEP_1) | instskip(NEXT) | instid1(VALU_DEP_2)
	v_add_co_u32 v16, vcc_lo, s18, v22
	v_add_co_ci_u32_e32 v22, vcc_lo, s19, v23, vcc_lo
	s_delay_alu instid0(VALU_DEP_2) | instskip(NEXT) | instid1(VALU_DEP_2)
	v_add_co_u32 v20, vcc_lo, v16, v20
	v_add_co_ci_u32_e32 v21, vcc_lo, v22, v21, vcc_lo
	global_load_u16 v50, v[20:21], off
.LBB103_45:                             ;   in Loop: Header=BB103_8 Depth=1
	s_or_b32 exec_lo, exec_lo, s4
	v_add_co_u32 v20, vcc_lo, v17, s29
	v_add_co_ci_u32_e32 v21, vcc_lo, 0, v18, vcc_lo
	s_delay_alu instid0(VALU_DEP_1) | instskip(NEXT) | instid1(VALU_DEP_1)
	v_cmp_gt_u64_e64 s3, s[6:7], v[20:21]
	s_and_saveexec_b32 s34, s3
	s_cbranch_execnz .LBB103_50
; %bb.46:                               ;   in Loop: Header=BB103_8 Depth=1
	s_or_b32 exec_lo, exec_lo, s34
	s_and_saveexec_b32 s4, s0
	s_cbranch_execnz .LBB103_58
.LBB103_47:                             ;   in Loop: Header=BB103_8 Depth=1
	s_or_b32 exec_lo, exec_lo, s4
	s_and_saveexec_b32 s4, s1
	s_cbranch_execnz .LBB103_59
.LBB103_48:                             ;   in Loop: Header=BB103_8 Depth=1
	s_or_b32 exec_lo, exec_lo, s4
	s_and_saveexec_b32 s1, s2
	s_cbranch_execnz .LBB103_60
.LBB103_49:                             ;   in Loop: Header=BB103_8 Depth=1
	s_or_b32 exec_lo, exec_lo, s1
	s_and_saveexec_b32 s1, s3
	s_cbranch_execz .LBB103_7
	s_branch .LBB103_61
.LBB103_50:                             ;   in Loop: Header=BB103_8 Depth=1
	v_dual_mov_b32 v22, 0 :: v_dual_mov_b32 v25, v21
	v_dual_mov_b32 v23, 0 :: v_dual_mov_b32 v24, v20
	v_dual_mov_b32 v27, v21 :: v_dual_mov_b32 v26, v20
	s_and_not1_b32 vcc_lo, exec_lo, s30
	s_mov_b64 s[22:23], s[20:21]
	s_mov_b32 s35, s33
	s_cbranch_vccnz .LBB103_57
.LBB103_51:                             ;   Parent Loop BB103_8 Depth=1
                                        ; =>  This Inner Loop Header: Depth=2
	s_load_b64 s[24:25], s[22:23], 0x0
                                        ; implicit-def: $vgpr26_vgpr27
	s_mov_b32 s4, exec_lo
	s_waitcnt lgkmcnt(0)
	v_or_b32_e32 v16, s25, v25
	s_delay_alu instid0(VALU_DEP_1)
	v_cmpx_ne_u64_e32 0, v[15:16]
	s_xor_b32 s36, exec_lo, s4
	s_cbranch_execz .LBB103_53
; %bb.52:                               ;   in Loop: Header=BB103_51 Depth=2
	v_cvt_f32_u32_e32 v16, s24
	v_cvt_f32_u32_e32 v26, s25
	s_sub_u32 s4, 0, s24
	s_subb_u32 s37, 0, s25
	s_delay_alu instid0(VALU_DEP_1) | instskip(NEXT) | instid1(VALU_DEP_1)
	v_fmac_f32_e32 v16, 0x4f800000, v26
	v_rcp_f32_e32 v16, v16
	s_waitcnt_depctr 0xfff
	v_mul_f32_e32 v16, 0x5f7ffffc, v16
	s_delay_alu instid0(VALU_DEP_1) | instskip(NEXT) | instid1(VALU_DEP_1)
	v_mul_f32_e32 v26, 0x2f800000, v16
	v_trunc_f32_e32 v26, v26
	s_delay_alu instid0(VALU_DEP_1) | instskip(SKIP_1) | instid1(VALU_DEP_2)
	v_fmac_f32_e32 v16, 0xcf800000, v26
	v_cvt_u32_f32_e32 v26, v26
	v_cvt_u32_f32_e32 v16, v16
	s_delay_alu instid0(VALU_DEP_2) | instskip(NEXT) | instid1(VALU_DEP_2)
	v_mul_lo_u32 v27, s4, v26
	v_mul_hi_u32 v53, s4, v16
	v_mul_lo_u32 v54, s37, v16
	s_delay_alu instid0(VALU_DEP_2) | instskip(SKIP_1) | instid1(VALU_DEP_2)
	v_add_nc_u32_e32 v27, v53, v27
	v_mul_lo_u32 v53, s4, v16
	v_add_nc_u32_e32 v27, v27, v54
	s_delay_alu instid0(VALU_DEP_2) | instskip(NEXT) | instid1(VALU_DEP_2)
	v_mul_hi_u32 v54, v16, v53
	v_mul_lo_u32 v55, v16, v27
	v_mul_hi_u32 v56, v16, v27
	v_mul_hi_u32 v57, v26, v53
	v_mul_lo_u32 v53, v26, v53
	v_mul_hi_u32 v58, v26, v27
	v_mul_lo_u32 v27, v26, v27
	v_add_co_u32 v54, vcc_lo, v54, v55
	v_add_co_ci_u32_e32 v55, vcc_lo, 0, v56, vcc_lo
	s_delay_alu instid0(VALU_DEP_2) | instskip(NEXT) | instid1(VALU_DEP_2)
	v_add_co_u32 v53, vcc_lo, v54, v53
	v_add_co_ci_u32_e32 v53, vcc_lo, v55, v57, vcc_lo
	v_add_co_ci_u32_e32 v54, vcc_lo, 0, v58, vcc_lo
	s_delay_alu instid0(VALU_DEP_2) | instskip(NEXT) | instid1(VALU_DEP_2)
	v_add_co_u32 v27, vcc_lo, v53, v27
	v_add_co_ci_u32_e32 v53, vcc_lo, 0, v54, vcc_lo
	s_delay_alu instid0(VALU_DEP_2) | instskip(NEXT) | instid1(VALU_DEP_2)
	v_add_co_u32 v16, vcc_lo, v16, v27
	v_add_co_ci_u32_e32 v26, vcc_lo, v26, v53, vcc_lo
	s_delay_alu instid0(VALU_DEP_2) | instskip(SKIP_1) | instid1(VALU_DEP_3)
	v_mul_hi_u32 v27, s4, v16
	v_mul_lo_u32 v54, s37, v16
	v_mul_lo_u32 v53, s4, v26
	s_delay_alu instid0(VALU_DEP_1) | instskip(SKIP_1) | instid1(VALU_DEP_2)
	v_add_nc_u32_e32 v27, v27, v53
	v_mul_lo_u32 v53, s4, v16
	v_add_nc_u32_e32 v27, v27, v54
	s_delay_alu instid0(VALU_DEP_2) | instskip(NEXT) | instid1(VALU_DEP_2)
	v_mul_hi_u32 v54, v16, v53
	v_mul_lo_u32 v55, v16, v27
	v_mul_hi_u32 v56, v16, v27
	v_mul_hi_u32 v57, v26, v53
	v_mul_lo_u32 v53, v26, v53
	v_mul_hi_u32 v58, v26, v27
	v_mul_lo_u32 v27, v26, v27
	v_add_co_u32 v54, vcc_lo, v54, v55
	v_add_co_ci_u32_e32 v55, vcc_lo, 0, v56, vcc_lo
	s_delay_alu instid0(VALU_DEP_2) | instskip(NEXT) | instid1(VALU_DEP_2)
	v_add_co_u32 v53, vcc_lo, v54, v53
	v_add_co_ci_u32_e32 v53, vcc_lo, v55, v57, vcc_lo
	v_add_co_ci_u32_e32 v54, vcc_lo, 0, v58, vcc_lo
	s_delay_alu instid0(VALU_DEP_2) | instskip(NEXT) | instid1(VALU_DEP_2)
	v_add_co_u32 v27, vcc_lo, v53, v27
	v_add_co_ci_u32_e32 v53, vcc_lo, 0, v54, vcc_lo
	s_delay_alu instid0(VALU_DEP_2) | instskip(NEXT) | instid1(VALU_DEP_2)
	v_add_co_u32 v16, vcc_lo, v16, v27
	v_add_co_ci_u32_e32 v57, vcc_lo, v26, v53, vcc_lo
	s_delay_alu instid0(VALU_DEP_2) | instskip(SKIP_1) | instid1(VALU_DEP_3)
	v_mul_hi_u32 v58, v24, v16
	v_mad_u64_u32 v[53:54], null, v25, v16, 0
	v_mad_u64_u32 v[26:27], null, v24, v57, 0
	;; [unrolled: 1-line block ×3, first 2 shown]
	s_delay_alu instid0(VALU_DEP_2) | instskip(NEXT) | instid1(VALU_DEP_3)
	v_add_co_u32 v16, vcc_lo, v58, v26
	v_add_co_ci_u32_e32 v26, vcc_lo, 0, v27, vcc_lo
	s_delay_alu instid0(VALU_DEP_2) | instskip(NEXT) | instid1(VALU_DEP_2)
	v_add_co_u32 v16, vcc_lo, v16, v53
	v_add_co_ci_u32_e32 v16, vcc_lo, v26, v54, vcc_lo
	v_add_co_ci_u32_e32 v26, vcc_lo, 0, v56, vcc_lo
	s_delay_alu instid0(VALU_DEP_2) | instskip(NEXT) | instid1(VALU_DEP_2)
	v_add_co_u32 v16, vcc_lo, v16, v55
	v_add_co_ci_u32_e32 v53, vcc_lo, 0, v26, vcc_lo
	s_delay_alu instid0(VALU_DEP_2) | instskip(SKIP_1) | instid1(VALU_DEP_3)
	v_mul_lo_u32 v54, s25, v16
	v_mad_u64_u32 v[26:27], null, s24, v16, 0
	v_mul_lo_u32 v55, s24, v53
	s_delay_alu instid0(VALU_DEP_2) | instskip(NEXT) | instid1(VALU_DEP_2)
	v_sub_co_u32 v26, vcc_lo, v24, v26
	v_add3_u32 v27, v27, v55, v54
	s_delay_alu instid0(VALU_DEP_1) | instskip(NEXT) | instid1(VALU_DEP_1)
	v_sub_nc_u32_e32 v54, v25, v27
	v_subrev_co_ci_u32_e64 v54, s4, s25, v54, vcc_lo
	v_add_co_u32 v55, s4, v16, 2
	s_delay_alu instid0(VALU_DEP_1) | instskip(SKIP_3) | instid1(VALU_DEP_3)
	v_add_co_ci_u32_e64 v56, s4, 0, v53, s4
	v_sub_co_u32 v57, s4, v26, s24
	v_sub_co_ci_u32_e32 v27, vcc_lo, v25, v27, vcc_lo
	v_subrev_co_ci_u32_e64 v54, s4, 0, v54, s4
	v_cmp_le_u32_e32 vcc_lo, s24, v57
	s_delay_alu instid0(VALU_DEP_3) | instskip(SKIP_1) | instid1(VALU_DEP_4)
	v_cmp_eq_u32_e64 s4, s25, v27
	v_cndmask_b32_e64 v57, 0, -1, vcc_lo
	v_cmp_le_u32_e32 vcc_lo, s25, v54
	v_cndmask_b32_e64 v58, 0, -1, vcc_lo
	v_cmp_le_u32_e32 vcc_lo, s24, v26
	;; [unrolled: 2-line block ×3, first 2 shown]
	v_cndmask_b32_e64 v59, 0, -1, vcc_lo
	v_cmp_eq_u32_e32 vcc_lo, s25, v54
	s_delay_alu instid0(VALU_DEP_2) | instskip(SKIP_3) | instid1(VALU_DEP_3)
	v_cndmask_b32_e64 v26, v59, v26, s4
	v_cndmask_b32_e32 v54, v58, v57, vcc_lo
	v_add_co_u32 v57, vcc_lo, v16, 1
	v_add_co_ci_u32_e32 v58, vcc_lo, 0, v53, vcc_lo
	v_cmp_ne_u32_e32 vcc_lo, 0, v54
	s_delay_alu instid0(VALU_DEP_2) | instskip(SKIP_1) | instid1(VALU_DEP_2)
	v_dual_cndmask_b32 v27, v58, v56 :: v_dual_cndmask_b32 v54, v57, v55
	v_cmp_ne_u32_e32 vcc_lo, 0, v26
	v_dual_cndmask_b32 v27, v53, v27 :: v_dual_cndmask_b32 v26, v16, v54
.LBB103_53:                             ;   in Loop: Header=BB103_51 Depth=2
	s_and_not1_saveexec_b32 s4, s36
	s_cbranch_execz .LBB103_55
; %bb.54:                               ;   in Loop: Header=BB103_51 Depth=2
	v_cvt_f32_u32_e32 v16, s24
	s_sub_i32 s36, 0, s24
	s_delay_alu instid0(VALU_DEP_1) | instskip(SKIP_2) | instid1(VALU_DEP_1)
	v_rcp_iflag_f32_e32 v16, v16
	s_waitcnt_depctr 0xfff
	v_mul_f32_e32 v16, 0x4f7ffffe, v16
	v_cvt_u32_f32_e32 v16, v16
	s_delay_alu instid0(VALU_DEP_1) | instskip(NEXT) | instid1(VALU_DEP_1)
	v_mul_lo_u32 v26, s36, v16
	v_mul_hi_u32 v26, v16, v26
	s_delay_alu instid0(VALU_DEP_1) | instskip(NEXT) | instid1(VALU_DEP_1)
	v_add_nc_u32_e32 v16, v16, v26
	v_mul_hi_u32 v16, v24, v16
	s_delay_alu instid0(VALU_DEP_1) | instskip(NEXT) | instid1(VALU_DEP_1)
	v_mul_lo_u32 v26, v16, s24
	v_sub_nc_u32_e32 v26, v24, v26
	s_delay_alu instid0(VALU_DEP_1) | instskip(SKIP_1) | instid1(VALU_DEP_2)
	v_subrev_nc_u32_e32 v53, s24, v26
	v_cmp_le_u32_e32 vcc_lo, s24, v26
	v_dual_cndmask_b32 v26, v26, v53 :: v_dual_add_nc_u32 v27, 1, v16
	s_delay_alu instid0(VALU_DEP_1) | instskip(NEXT) | instid1(VALU_DEP_2)
	v_cndmask_b32_e32 v16, v16, v27, vcc_lo
	v_cmp_le_u32_e32 vcc_lo, s24, v26
	s_delay_alu instid0(VALU_DEP_2) | instskip(NEXT) | instid1(VALU_DEP_1)
	v_add_nc_u32_e32 v27, 1, v16
	v_dual_cndmask_b32 v26, v16, v27 :: v_dual_mov_b32 v27, v15
.LBB103_55:                             ;   in Loop: Header=BB103_51 Depth=2
	s_or_b32 exec_lo, exec_lo, s4
	s_load_b64 s[36:37], s[22:23], 0xc8
	s_delay_alu instid0(VALU_DEP_1) | instskip(NEXT) | instid1(VALU_DEP_2)
	v_mul_lo_u32 v16, v27, s24
	v_mul_lo_u32 v55, v26, s25
	v_mad_u64_u32 v[53:54], null, v26, s24, 0
	s_add_i32 s35, s35, -1
	s_add_u32 s22, s22, -8
	s_addc_u32 s23, s23, -1
	s_cmp_gt_u32 s35, 2
	s_delay_alu instid0(VALU_DEP_1) | instskip(NEXT) | instid1(VALU_DEP_2)
	v_add3_u32 v16, v54, v55, v16
	v_sub_co_u32 v53, vcc_lo, v24, v53
	s_delay_alu instid0(VALU_DEP_2) | instskip(SKIP_1) | instid1(VALU_DEP_2)
	v_sub_co_ci_u32_e32 v16, vcc_lo, v25, v16, vcc_lo
	s_waitcnt lgkmcnt(0)
	v_mul_lo_u32 v54, s37, v53
	s_delay_alu instid0(VALU_DEP_2) | instskip(SKIP_1) | instid1(VALU_DEP_1)
	v_mul_lo_u32 v16, s36, v16
	v_mad_u64_u32 v[24:25], null, s36, v53, v[22:23]
	v_add3_u32 v23, v54, v25, v16
	s_delay_alu instid0(VALU_DEP_2)
	v_mov_b32_e32 v22, v24
	s_cbranch_scc0 .LBB103_57
; %bb.56:                               ;   in Loop: Header=BB103_51 Depth=2
	v_dual_mov_b32 v24, v26 :: v_dual_mov_b32 v25, v27
	s_branch .LBB103_51
.LBB103_57:                             ;   in Loop: Header=BB103_8 Depth=1
	v_mul_lo_u32 v16, s17, v26
	v_mul_lo_u32 v27, s16, v27
	v_mad_u64_u32 v[24:25], null, s16, v26, 0
	v_lshlrev_b64 v[22:23], 1, v[22:23]
	s_delay_alu instid0(VALU_DEP_2) | instskip(NEXT) | instid1(VALU_DEP_1)
	v_add3_u32 v25, v25, v27, v16
	v_lshlrev_b64 v[24:25], 1, v[24:25]
	s_delay_alu instid0(VALU_DEP_1) | instskip(NEXT) | instid1(VALU_DEP_2)
	v_add_co_u32 v16, vcc_lo, s18, v24
	v_add_co_ci_u32_e32 v24, vcc_lo, s19, v25, vcc_lo
	s_delay_alu instid0(VALU_DEP_2) | instskip(NEXT) | instid1(VALU_DEP_2)
	v_add_co_u32 v22, vcc_lo, v16, v22
	v_add_co_ci_u32_e32 v23, vcc_lo, v24, v23, vcc_lo
	global_load_u16 v26, v[22:23], off
	s_or_b32 exec_lo, exec_lo, s34
	s_and_saveexec_b32 s4, s0
	s_cbranch_execz .LBB103_47
.LBB103_58:                             ;   in Loop: Header=BB103_8 Depth=1
	v_cvt_f32_u32_e32 v0, v0
	v_mul_lo_u32 v16, v18, s10
	v_mul_lo_u32 v24, v17, s11
	v_mad_u64_u32 v[22:23], null, v17, s10, 0
	s_delay_alu instid0(VALU_DEP_4) | instskip(NEXT) | instid1(VALU_DEP_1)
	v_fmaak_f32 v0, 0x2f800000, v0, 0x2f800000
	v_cmp_gt_f32_e32 vcc_lo, s28, v0
	s_delay_alu instid0(VALU_DEP_3) | instskip(SKIP_3) | instid1(VALU_DEP_3)
	v_add3_u32 v23, v23, v24, v16
	s_waitcnt vmcnt(0)
	v_cvt_f32_f16_e32 v16, v52
	v_cndmask_b32_e64 v0, 0, 1.0, vcc_lo
	v_lshlrev_b64 v[24:25], 1, v[22:23]
	v_add_co_u32 v22, s0, s12, v22
	s_delay_alu instid0(VALU_DEP_1) | instskip(NEXT) | instid1(VALU_DEP_4)
	v_add_co_ci_u32_e64 v23, s0, s13, v23, s0
	v_mul_f32_e32 v0, v0, v16
	s_delay_alu instid0(VALU_DEP_4) | instskip(NEXT) | instid1(VALU_DEP_1)
	v_add_co_u32 v24, s0, s14, v24
	v_add_co_ci_u32_e64 v25, s0, s15, v25, s0
	s_delay_alu instid0(VALU_DEP_3)
	v_fma_mixlo_f16 v0, v48, v0, 0
	v_cndmask_b32_e64 v16, 0, 1, vcc_lo
	global_store_b16 v[24:25], v0, off
	global_store_b8 v[22:23], v16, off
	s_or_b32 exec_lo, exec_lo, s4
	s_and_saveexec_b32 s4, s1
	s_cbranch_execz .LBB103_48
.LBB103_59:                             ;   in Loop: Header=BB103_8 Depth=1
	v_cvt_f32_u32_e32 v1, v1
	v_mul_lo_u32 v0, v8, s10
	v_mul_lo_u32 v8, v7, s11
	v_mad_u64_u32 v[22:23], null, v7, s10, 0
	s_waitcnt vmcnt(0)
	v_cvt_f32_f16_e32 v16, v51
	v_fmaak_f32 v1, 0x2f800000, v1, 0x2f800000
	s_delay_alu instid0(VALU_DEP_3) | instskip(NEXT) | instid1(VALU_DEP_2)
	v_add3_u32 v23, v23, v8, v0
	v_cmp_gt_f32_e32 vcc_lo, s28, v1
	v_add_co_u32 v7, s0, s12, v22
	s_delay_alu instid0(VALU_DEP_3) | instskip(SKIP_3) | instid1(VALU_DEP_3)
	v_lshlrev_b64 v[0:1], 1, v[22:23]
	v_cndmask_b32_e64 v24, 0, 1.0, vcc_lo
	v_add_co_ci_u32_e64 v8, s0, s13, v23, s0
	v_cndmask_b32_e64 v22, 0, 1, vcc_lo
	v_mul_f32_e32 v16, v24, v16
	v_add_co_u32 v0, s0, s14, v0
	s_delay_alu instid0(VALU_DEP_1) | instskip(NEXT) | instid1(VALU_DEP_3)
	v_add_co_ci_u32_e64 v1, s0, s15, v1, s0
	v_fma_mixlo_f16 v16, v48, v16, 0
	global_store_b16 v[0:1], v16, off
	global_store_b8 v[7:8], v22, off
	s_or_b32 exec_lo, exec_lo, s4
	s_and_saveexec_b32 s1, s2
	s_cbranch_execz .LBB103_49
.LBB103_60:                             ;   in Loop: Header=BB103_8 Depth=1
	v_cvt_f32_u32_e32 v2, v2
	v_mul_lo_u32 v7, v10, s10
	v_mul_lo_u32 v8, v9, s11
	v_mad_u64_u32 v[0:1], null, v9, s10, 0
	s_delay_alu instid0(VALU_DEP_4) | instskip(SKIP_2) | instid1(VALU_DEP_2)
	v_fmaak_f32 v2, 0x2f800000, v2, 0x2f800000
	s_waitcnt vmcnt(0)
	v_cvt_f32_f16_e32 v9, v50
	v_cmp_gt_f32_e32 vcc_lo, s28, v2
	s_delay_alu instid0(VALU_DEP_4) | instskip(SKIP_1) | instid1(VALU_DEP_2)
	v_add3_u32 v1, v1, v8, v7
	v_cndmask_b32_e64 v2, 0, 1.0, vcc_lo
	v_lshlrev_b64 v[7:8], 1, v[0:1]
	v_add_co_u32 v0, s0, s12, v0
	s_delay_alu instid0(VALU_DEP_1) | instskip(NEXT) | instid1(VALU_DEP_4)
	v_add_co_ci_u32_e64 v1, s0, s13, v1, s0
	v_mul_f32_e32 v2, v2, v9
	s_delay_alu instid0(VALU_DEP_4) | instskip(NEXT) | instid1(VALU_DEP_1)
	v_add_co_u32 v7, s0, s14, v7
	v_add_co_ci_u32_e64 v8, s0, s15, v8, s0
	s_delay_alu instid0(VALU_DEP_3)
	v_fma_mixlo_f16 v2, v48, v2, 0
	v_cndmask_b32_e64 v9, 0, 1, vcc_lo
	global_store_b16 v[7:8], v2, off
	global_store_b8 v[0:1], v9, off
	s_or_b32 exec_lo, exec_lo, s1
	s_and_saveexec_b32 s1, s3
	s_cbranch_execz .LBB103_7
.LBB103_61:                             ;   in Loop: Header=BB103_8 Depth=1
	v_cvt_f32_u32_e32 v3, v3
	v_mul_lo_u32 v2, v21, s10
	v_mul_lo_u32 v7, v20, s11
	v_mad_u64_u32 v[0:1], null, v20, s10, 0
	s_delay_alu instid0(VALU_DEP_4) | instskip(NEXT) | instid1(VALU_DEP_1)
	v_fmaak_f32 v3, 0x2f800000, v3, 0x2f800000
	v_cmp_gt_f32_e32 vcc_lo, s28, v3
	s_delay_alu instid0(VALU_DEP_3) | instskip(SKIP_3) | instid1(VALU_DEP_3)
	v_add3_u32 v1, v1, v7, v2
	s_waitcnt vmcnt(0)
	v_cvt_f32_f16_e32 v7, v26
	v_cndmask_b32_e64 v8, 0, 1.0, vcc_lo
	v_lshlrev_b64 v[2:3], 1, v[0:1]
	v_add_co_u32 v0, s0, s12, v0
	s_delay_alu instid0(VALU_DEP_1) | instskip(NEXT) | instid1(VALU_DEP_4)
	v_add_co_ci_u32_e64 v1, s0, s13, v1, s0
	v_mul_f32_e32 v7, v8, v7
	s_delay_alu instid0(VALU_DEP_4) | instskip(NEXT) | instid1(VALU_DEP_1)
	v_add_co_u32 v2, s0, s14, v2
	v_add_co_ci_u32_e64 v3, s0, s15, v3, s0
	s_delay_alu instid0(VALU_DEP_3)
	v_fma_mixlo_f16 v7, v48, v7, 0
	v_cndmask_b32_e64 v8, 0, 1, vcc_lo
	global_store_b16 v[2:3], v7, off
	global_store_b8 v[0:1], v8, off
	s_branch .LBB103_7
.LBB103_62:
	s_endpgm
.LBB103_63:
                                        ; implicit-def: $sgpr2_sgpr3
	s_branch .LBB103_4
	.section	.rodata,"a",@progbits
	.p2align	6, 0x0
	.amdhsa_kernel _ZN2at6native12_GLOBAL__N_120fused_dropout_kernelIN3c104HalfEfmLin1ELi1EhEEvNS_4cuda6detail10TensorInfoIKT_T1_EENS7_IS8_SA_EENS7_IT4_SA_EESA_T0_NS_15PhiloxCudaStateE
		.amdhsa_group_segment_fixed_size 0
		.amdhsa_private_segment_fixed_size 0
		.amdhsa_kernarg_size 1552
		.amdhsa_user_sgpr_count 15
		.amdhsa_user_sgpr_dispatch_ptr 0
		.amdhsa_user_sgpr_queue_ptr 0
		.amdhsa_user_sgpr_kernarg_segment_ptr 1
		.amdhsa_user_sgpr_dispatch_id 0
		.amdhsa_user_sgpr_private_segment_size 0
		.amdhsa_wavefront_size32 1
		.amdhsa_uses_dynamic_stack 0
		.amdhsa_enable_private_segment 0
		.amdhsa_system_sgpr_workgroup_id_x 1
		.amdhsa_system_sgpr_workgroup_id_y 0
		.amdhsa_system_sgpr_workgroup_id_z 0
		.amdhsa_system_sgpr_workgroup_info 0
		.amdhsa_system_vgpr_workitem_id 0
		.amdhsa_next_free_vgpr 60
		.amdhsa_next_free_sgpr 38
		.amdhsa_reserve_vcc 1
		.amdhsa_float_round_mode_32 0
		.amdhsa_float_round_mode_16_64 0
		.amdhsa_float_denorm_mode_32 3
		.amdhsa_float_denorm_mode_16_64 3
		.amdhsa_dx10_clamp 1
		.amdhsa_ieee_mode 1
		.amdhsa_fp16_overflow 0
		.amdhsa_workgroup_processor_mode 1
		.amdhsa_memory_ordered 1
		.amdhsa_forward_progress 0
		.amdhsa_shared_vgpr_count 0
		.amdhsa_exception_fp_ieee_invalid_op 0
		.amdhsa_exception_fp_denorm_src 0
		.amdhsa_exception_fp_ieee_div_zero 0
		.amdhsa_exception_fp_ieee_overflow 0
		.amdhsa_exception_fp_ieee_underflow 0
		.amdhsa_exception_fp_ieee_inexact 0
		.amdhsa_exception_int_div_zero 0
	.end_amdhsa_kernel
	.section	.text._ZN2at6native12_GLOBAL__N_120fused_dropout_kernelIN3c104HalfEfmLin1ELi1EhEEvNS_4cuda6detail10TensorInfoIKT_T1_EENS7_IS8_SA_EENS7_IT4_SA_EESA_T0_NS_15PhiloxCudaStateE,"axG",@progbits,_ZN2at6native12_GLOBAL__N_120fused_dropout_kernelIN3c104HalfEfmLin1ELi1EhEEvNS_4cuda6detail10TensorInfoIKT_T1_EENS7_IS8_SA_EENS7_IT4_SA_EESA_T0_NS_15PhiloxCudaStateE,comdat
.Lfunc_end103:
	.size	_ZN2at6native12_GLOBAL__N_120fused_dropout_kernelIN3c104HalfEfmLin1ELi1EhEEvNS_4cuda6detail10TensorInfoIKT_T1_EENS7_IS8_SA_EENS7_IT4_SA_EESA_T0_NS_15PhiloxCudaStateE, .Lfunc_end103-_ZN2at6native12_GLOBAL__N_120fused_dropout_kernelIN3c104HalfEfmLin1ELi1EhEEvNS_4cuda6detail10TensorInfoIKT_T1_EENS7_IS8_SA_EENS7_IT4_SA_EESA_T0_NS_15PhiloxCudaStateE
                                        ; -- End function
	.section	.AMDGPU.csdata,"",@progbits
; Kernel info:
; codeLenInByte = 8204
; NumSgprs: 40
; NumVgprs: 60
; ScratchSize: 0
; MemoryBound: 0
; FloatMode: 240
; IeeeMode: 1
; LDSByteSize: 0 bytes/workgroup (compile time only)
; SGPRBlocks: 4
; VGPRBlocks: 7
; NumSGPRsForWavesPerEU: 40
; NumVGPRsForWavesPerEU: 60
; Occupancy: 16
; WaveLimiterHint : 1
; COMPUTE_PGM_RSRC2:SCRATCH_EN: 0
; COMPUTE_PGM_RSRC2:USER_SGPR: 15
; COMPUTE_PGM_RSRC2:TRAP_HANDLER: 0
; COMPUTE_PGM_RSRC2:TGID_X_EN: 1
; COMPUTE_PGM_RSRC2:TGID_Y_EN: 0
; COMPUTE_PGM_RSRC2:TGID_Z_EN: 0
; COMPUTE_PGM_RSRC2:TIDIG_COMP_CNT: 0
	.section	.text._ZN2at6native12_GLOBAL__N_120fused_dropout_kernelIN3c104HalfEfmLin1ELin1EhEEvNS_4cuda6detail10TensorInfoIKT_T1_EENS7_IS8_SA_EENS7_IT4_SA_EESA_T0_NS_15PhiloxCudaStateE,"axG",@progbits,_ZN2at6native12_GLOBAL__N_120fused_dropout_kernelIN3c104HalfEfmLin1ELin1EhEEvNS_4cuda6detail10TensorInfoIKT_T1_EENS7_IS8_SA_EENS7_IT4_SA_EESA_T0_NS_15PhiloxCudaStateE,comdat
	.globl	_ZN2at6native12_GLOBAL__N_120fused_dropout_kernelIN3c104HalfEfmLin1ELin1EhEEvNS_4cuda6detail10TensorInfoIKT_T1_EENS7_IS8_SA_EENS7_IT4_SA_EESA_T0_NS_15PhiloxCudaStateE ; -- Begin function _ZN2at6native12_GLOBAL__N_120fused_dropout_kernelIN3c104HalfEfmLin1ELin1EhEEvNS_4cuda6detail10TensorInfoIKT_T1_EENS7_IS8_SA_EENS7_IT4_SA_EESA_T0_NS_15PhiloxCudaStateE
	.p2align	8
	.type	_ZN2at6native12_GLOBAL__N_120fused_dropout_kernelIN3c104HalfEfmLin1ELin1EhEEvNS_4cuda6detail10TensorInfoIKT_T1_EENS7_IS8_SA_EENS7_IT4_SA_EESA_T0_NS_15PhiloxCudaStateE,@function
_ZN2at6native12_GLOBAL__N_120fused_dropout_kernelIN3c104HalfEfmLin1ELin1EhEEvNS_4cuda6detail10TensorInfoIKT_T1_EENS7_IS8_SA_EENS7_IT4_SA_EESA_T0_NS_15PhiloxCudaStateE: ; @_ZN2at6native12_GLOBAL__N_120fused_dropout_kernelIN3c104HalfEfmLin1ELin1EhEEvNS_4cuda6detail10TensorInfoIKT_T1_EENS7_IS8_SA_EENS7_IT4_SA_EESA_T0_NS_15PhiloxCudaStateE
; %bb.0:
	s_clause 0x1
	s_load_b128 s[4:7], s[0:1], 0x4f0
	s_load_b32 s2, s[0:1], 0x508
	s_waitcnt lgkmcnt(0)
	v_dual_mov_b32 v1, s6 :: v_dual_mov_b32 v2, s7
	v_dual_mov_b32 v12, s5 :: v_dual_mov_b32 v11, s4
	s_bitcmp0_b32 s2, 0
	s_mov_b32 s2, 0
	s_cbranch_scc1 .LBB104_2
; %bb.1:
	v_dual_mov_b32 v1, s6 :: v_dual_mov_b32 v2, s7
	v_dual_mov_b32 v3, s4 :: v_dual_mov_b32 v4, s5
	s_load_b64 s[4:5], s[0:1], 0x500
	flat_load_b64 v[1:2], v[1:2]
	flat_load_b64 v[11:12], v[3:4]
	s_waitcnt vmcnt(1) lgkmcnt(0)
	v_add_co_u32 v1, vcc_lo, v1, s4
	v_add_co_ci_u32_e32 v2, vcc_lo, s5, v2, vcc_lo
.LBB104_2:
	s_clause 0x2
	s_load_b32 s3, s[0:1], 0x51c
	s_load_b64 s[6:7], s[0:1], 0x4e0
	s_load_b32 s4, s[0:1], 0x510
	s_waitcnt lgkmcnt(0)
	s_and_b32 s5, s3, 0xffff
	s_add_u32 s8, s6, -1
	s_mul_i32 s28, s4, s5
	s_addc_u32 s3, s7, -1
	s_lshl_b32 s29, s28, 2
	s_cmp_lg_u64 s[2:3], 0
	s_cbranch_scc0 .LBB104_88
; %bb.3:
	v_cvt_f32_u32_e32 v3, s29
	s_sub_u32 s10, 0, s29
	s_subb_u32 s11, 0, 0
	s_delay_alu instid0(VALU_DEP_1) | instskip(NEXT) | instid1(VALU_DEP_1)
	v_fmamk_f32 v3, 0, 0x4f800000, v3
	v_rcp_f32_e32 v3, v3
	s_waitcnt_depctr 0xfff
	v_mul_f32_e32 v3, 0x5f7ffffc, v3
	s_delay_alu instid0(VALU_DEP_1) | instskip(NEXT) | instid1(VALU_DEP_1)
	v_mul_f32_e32 v4, 0x2f800000, v3
	v_trunc_f32_e32 v4, v4
	s_delay_alu instid0(VALU_DEP_1) | instskip(SKIP_1) | instid1(VALU_DEP_2)
	v_fmamk_f32 v3, v4, 0xcf800000, v3
	v_cvt_u32_f32_e32 v4, v4
	v_cvt_u32_f32_e32 v3, v3
	s_delay_alu instid0(VALU_DEP_2) | instskip(NEXT) | instid1(VALU_DEP_2)
	v_readfirstlane_b32 s2, v4
	v_readfirstlane_b32 s9, v3
	s_delay_alu instid0(VALU_DEP_2) | instskip(NEXT) | instid1(VALU_DEP_1)
	s_mul_i32 s12, s10, s2
	s_mul_hi_u32 s14, s10, s9
	s_mul_i32 s13, s11, s9
	s_add_i32 s12, s14, s12
	s_mul_i32 s16, s10, s9
	s_add_i32 s12, s12, s13
	s_mul_hi_u32 s14, s9, s16
	s_mul_hi_u32 s17, s2, s16
	s_mul_i32 s13, s2, s16
	s_mul_hi_u32 s16, s9, s12
	s_mul_i32 s9, s9, s12
	s_mul_hi_u32 s18, s2, s12
	s_add_u32 s9, s14, s9
	s_addc_u32 s14, 0, s16
	s_add_u32 s9, s9, s13
	s_mul_i32 s12, s2, s12
	s_addc_u32 s9, s14, s17
	s_addc_u32 s13, s18, 0
	s_add_u32 s9, s9, s12
	s_addc_u32 s12, 0, s13
	v_add_co_u32 v3, s9, v3, s9
	s_delay_alu instid0(VALU_DEP_1) | instskip(SKIP_1) | instid1(VALU_DEP_1)
	s_cmp_lg_u32 s9, 0
	s_addc_u32 s2, s2, s12
	v_readfirstlane_b32 s9, v3
	s_mul_i32 s12, s10, s2
	s_delay_alu instid0(VALU_DEP_1)
	s_mul_hi_u32 s13, s10, s9
	s_mul_i32 s11, s11, s9
	s_add_i32 s12, s13, s12
	s_mul_i32 s10, s10, s9
	s_add_i32 s12, s12, s11
	s_mul_hi_u32 s13, s2, s10
	s_mul_i32 s14, s2, s10
	s_mul_hi_u32 s10, s9, s10
	s_mul_hi_u32 s16, s9, s12
	s_mul_i32 s9, s9, s12
	s_mul_hi_u32 s11, s2, s12
	s_add_u32 s9, s10, s9
	s_addc_u32 s10, 0, s16
	s_add_u32 s9, s9, s14
	s_mul_i32 s12, s2, s12
	s_addc_u32 s9, s10, s13
	s_addc_u32 s10, s11, 0
	s_add_u32 s9, s9, s12
	s_addc_u32 s10, 0, s10
	v_add_co_u32 v3, s9, v3, s9
	s_delay_alu instid0(VALU_DEP_1) | instskip(SKIP_1) | instid1(VALU_DEP_1)
	s_cmp_lg_u32 s9, 0
	s_addc_u32 s2, s2, s10
	v_readfirstlane_b32 s9, v3
	s_mul_i32 s11, s8, s2
	s_mul_hi_u32 s10, s8, s2
	s_mul_hi_u32 s12, s3, s2
	s_mul_i32 s2, s3, s2
	s_mul_hi_u32 s13, s8, s9
	s_mul_hi_u32 s14, s3, s9
	s_mul_i32 s9, s3, s9
	s_add_u32 s11, s13, s11
	s_addc_u32 s10, 0, s10
	s_add_u32 s9, s11, s9
	s_addc_u32 s9, s10, s14
	s_addc_u32 s10, s12, 0
	s_add_u32 s2, s9, s2
	s_addc_u32 s10, 0, s10
	s_mul_i32 s11, s29, s2
	s_add_u32 s9, s2, 1
	v_sub_co_u32 v3, s11, s8, s11
	s_mul_hi_u32 s12, s29, s2
	s_addc_u32 s13, s10, 0
	s_mul_i32 s14, s29, s10
	s_delay_alu instid0(VALU_DEP_1)
	v_sub_co_u32 v4, s16, v3, s29
	s_add_u32 s17, s2, 2
	s_addc_u32 s18, s10, 0
	s_add_i32 s12, s12, s14
	s_cmp_lg_u32 s11, 0
	v_readfirstlane_b32 s11, v4
	s_subb_u32 s3, s3, s12
	s_cmp_lg_u32 s16, 0
	s_subb_u32 s12, s3, 0
	s_delay_alu instid0(VALU_DEP_1) | instskip(SKIP_4) | instid1(SALU_CYCLE_1)
	s_cmp_ge_u32 s11, s29
	s_cselect_b32 s11, -1, 0
	s_cmp_eq_u32 s12, 0
	v_readfirstlane_b32 s12, v3
	s_cselect_b32 s11, s11, -1
	s_cmp_lg_u32 s11, 0
	s_cselect_b32 s11, s17, s9
	s_cselect_b32 s13, s18, s13
	s_cmp_ge_u32 s12, s29
	s_cselect_b32 s9, -1, 0
	s_cmp_eq_u32 s3, 0
	s_cselect_b32 s3, s9, -1
	s_delay_alu instid0(SALU_CYCLE_1)
	s_cmp_lg_u32 s3, 0
	s_cselect_b32 s3, s13, s10
	s_cselect_b32 s2, s11, s2
	s_cbranch_execnz .LBB104_5
.LBB104_4:
	v_cvt_f32_u32_e32 v3, s29
	s_sub_i32 s3, 0, s29
	s_delay_alu instid0(VALU_DEP_1) | instskip(SKIP_2) | instid1(VALU_DEP_1)
	v_rcp_iflag_f32_e32 v3, v3
	s_waitcnt_depctr 0xfff
	v_mul_f32_e32 v3, 0x4f7ffffe, v3
	v_cvt_u32_f32_e32 v3, v3
	s_delay_alu instid0(VALU_DEP_1) | instskip(NEXT) | instid1(VALU_DEP_1)
	v_readfirstlane_b32 s2, v3
	s_mul_i32 s3, s3, s2
	s_delay_alu instid0(SALU_CYCLE_1) | instskip(NEXT) | instid1(SALU_CYCLE_1)
	s_mul_hi_u32 s3, s2, s3
	s_add_i32 s2, s2, s3
	s_delay_alu instid0(SALU_CYCLE_1) | instskip(NEXT) | instid1(SALU_CYCLE_1)
	s_mul_hi_u32 s2, s8, s2
	s_mul_i32 s3, s2, s29
	s_delay_alu instid0(SALU_CYCLE_1)
	s_sub_i32 s3, s8, s3
	s_add_i32 s8, s2, 1
	s_sub_i32 s9, s3, s29
	s_cmp_ge_u32 s3, s29
	s_cselect_b32 s2, s8, s2
	s_cselect_b32 s3, s9, s3
	s_add_i32 s8, s2, 1
	s_cmp_ge_u32 s3, s29
	s_mov_b32 s3, 0
	s_cselect_b32 s2, s8, s2
.LBB104_5:
	s_delay_alu instid0(SALU_CYCLE_1)
	s_add_u32 s2, s2, 1
	s_addc_u32 s3, s3, 0
	v_mov_b32_e32 v15, 0
	v_mad_u64_u32 v[13:14], null, s15, s5, v[0:1]
	s_mul_i32 s3, s28, s3
	s_mul_hi_u32 s8, s28, s2
	s_mul_hi_u32 s4, s4, s5
	s_add_i32 s3, s8, s3
	s_mul_i32 s4, s4, s2
	v_mov_b32_e32 v14, v15
	s_add_i32 s3, s3, s4
	s_mul_i32 s2, s28, s2
	s_delay_alu instid0(SALU_CYCLE_1)
	s_lshl_b64 s[8:9], s[2:3], 2
	s_mov_b32 s2, exec_lo
	v_cmpx_gt_u64_e64 s[8:9], v[13:14]
	s_cbranch_execz .LBB104_87
; %bb.6:
	v_alignbit_b32 v28, v2, v1, 2
	v_mad_u64_u32 v[3:4], null, 0xcd9e8d57, v13, 0
	v_lshrrev_b32_e32 v29, 2, v2
	s_waitcnt vmcnt(0)
	v_dual_mov_b32 v10, v12 :: v_dual_add_nc_u32 v35, 0x8ff34781, v11
	v_mad_u64_u32 v[5:6], null, 0xd2511f53, v28, 0
	v_add_co_u32 v31, null, 0x9e3779b9, v11
	v_xor3_b32 v0, v11, v4, v29
	s_delay_alu instid0(VALU_DEP_4) | instskip(SKIP_2) | instid1(VALU_DEP_4)
	v_add_co_u32 v30, null, 0xbb67ae85, v10
	v_add_co_u32 v32, null, 0x3c6ef372, v11
	v_xor_b32_e32 v2, v6, v12
	v_mad_u64_u32 v[6:7], null, 0xd2511f53, v0, 0
	v_add_co_u32 v33, null, 0x76cf5d0a, v10
	s_delay_alu instid0(VALU_DEP_3)
	v_mad_u64_u32 v[8:9], null, 0xcd9e8d57, v2, 0
	v_and_b32_e32 v34, 3, v1
	v_add_co_u32 v37, null, 0x32370b8f, v10
	v_xor3_b32 v0, v30, v7, v5
	v_add_co_u32 v38, null, 0xdaa66d2b, v11
	v_xor3_b32 v7, v9, v31, v3
	s_clause 0x1
	s_load_b32 s30, s[0:1], 0x4e8
	s_load_b64 s[18:19], s[0:1], 0x270
	v_mad_u64_u32 v[2:3], null, 0xcd9e8d57, v0, 0
	v_mad_u64_u32 v[4:5], null, 0xd2511f53, v7, 0
	v_add_co_u32 v40, null, 0x78dde6e4, v11
	v_add_co_u32 v41, null, 0xed9eba14, v10
	s_delay_alu instid0(VALU_DEP_4) | instskip(SKIP_3) | instid1(VALU_DEP_4)
	v_xor3_b32 v3, v32, v3, v8
	v_add_co_u32 v42, null, 0x1715609d, v11
	v_xor3_b32 v7, v5, v33, v6
	v_add_co_u32 v43, null, 0xa9066899, v10
	v_mad_u64_u32 v[0:1], null, 0xd2511f53, v3, 0
	s_delay_alu instid0(VALU_DEP_3) | instskip(SKIP_4) | instid1(VALU_DEP_4)
	v_mad_u64_u32 v[5:6], null, 0xcd9e8d57, v7, 0
	s_waitcnt lgkmcnt(0)
	v_div_scale_f32 v8, null, s30, s30, 1.0
	s_load_b64 s[12:13], s[0:1], 0x1a0
	v_add_co_u32 v39, null, 0xb54cda56, v11
	v_xor3_b32 v3, v37, v1, v4
	s_delay_alu instid0(VALU_DEP_4) | instskip(SKIP_2) | instid1(VALU_DEP_3)
	v_xor3_b32 v6, v6, v38, v2
	v_rcp_f32_e32 v9, v8
	v_add_co_u32 v46, null, 0x646e171e, v10
	v_mad_u64_u32 v[1:2], null, 0xcd9e8d57, v3, 0
	s_delay_alu instid0(VALU_DEP_3)
	v_mad_u64_u32 v[3:4], null, 0xd2511f53, v6, 0
	s_clause 0x2
	s_load_b32 s20, s[0:1], 0x198
	s_load_b64 s[10:11], s[0:1], 0x340
	s_load_b32 s23, s[0:1], 0x338
	v_add_co_u32 v44, null, 0x5384540f, v11
	s_delay_alu instid0(VALU_DEP_3) | instskip(SKIP_3) | instid1(VALU_DEP_4)
	v_xor3_b32 v2, v40, v2, v5
	v_add_co_u32 v47, null, 0x1fd5c5a3, v10
	v_xor3_b32 v0, v4, v41, v0
	v_div_scale_f32 v16, vcc_lo, 1.0, s30, 1.0
	v_mad_u64_u32 v[4:5], null, 0xd2511f53, v2, 0
	s_delay_alu instid0(VALU_DEP_3) | instskip(SKIP_2) | instid1(VALU_DEP_4)
	v_mad_u64_u32 v[6:7], null, 0xcd9e8d57, v0, 0
	v_add_co_u32 v45, null, 0xf1bbcdc8, v11
	v_add_co_u32 v48, null, 0xdb3d7428, v10
	v_xor3_b32 v2, v43, v5, v3
	s_add_u32 s22, s0, 0x1a0
	s_delay_alu instid0(VALU_DEP_4)
	v_xor3_b32 v5, v7, v42, v1
	s_addc_u32 s24, s1, 0
	s_clause 0x1
	s_load_b64 s[14:15], s[0:1], 0xd0
	s_load_b64 s[16:17], s[0:1], 0x0
	v_mad_u64_u32 v[0:1], null, 0xcd9e8d57, v2, 0
	v_mad_u64_u32 v[2:3], null, 0xd2511f53, v5, 0
	v_fma_f32 v5, -v8, v9, 1.0
	v_add_nc_u32_e32 v36, 0x96a522ad, v12
	s_waitcnt lgkmcnt(0)
	s_cmp_gt_i32 s20, 1
	s_mov_b32 s5, 0
	s_delay_alu instid0(VALU_DEP_4)
	v_xor3_b32 v1, v39, v1, v6
	v_fmac_f32_e32 v9, v5, v9
	v_xor3_b32 v7, v3, v46, v4
	s_cselect_b32 s31, -1, 0
	s_cmp_gt_i32 s23, 1
	v_mad_u64_u32 v[3:4], null, 0xd2511f53, v1, 0
	s_delay_alu instid0(VALU_DEP_2) | instskip(SKIP_4) | instid1(VALU_DEP_3)
	v_mad_u64_u32 v[5:6], null, 0xcd9e8d57, v7, 0
	v_mul_f32_e32 v17, v16, v9
	s_cselect_b32 s33, -1, 0
	s_add_i32 s4, s20, -1
	s_lshl_b32 s34, s28, 1
	v_xor3_b32 v2, v47, v4, v2
	v_fma_f32 v18, -v8, v17, v16
	s_delay_alu instid0(VALU_DEP_4) | instskip(SKIP_3) | instid1(VALU_DEP_2)
	v_xor3_b32 v4, v6, v44, v0
	s_lshl_b64 s[2:3], s[4:5], 3
	s_add_i32 s35, s20, 1
	v_mad_u64_u32 v[0:1], null, 0xcd9e8d57, v2, 0
	v_mad_u64_u32 v[6:7], null, 0xd2511f53, v4, 0
	v_fmac_f32_e32 v17, v18, v9
	s_add_u32 s0, s2, s0
	s_addc_u32 s1, s3, s1
	s_add_u32 s20, s0, 8
	s_delay_alu instid0(VALU_DEP_3) | instskip(SKIP_1) | instid1(VALU_DEP_3)
	v_xor3_b32 v1, v45, v1, v5
	s_addc_u32 s21, s1, 0
	v_xor3_b32 v5, v7, v48, v3
	v_fma_f32 v7, -v8, v17, v16
	s_add_i32 s4, s23, -1
	v_mad_u64_u32 v[3:4], null, 0xd2511f53, v1, 0
	s_delay_alu instid0(VALU_DEP_3) | instskip(NEXT) | instid1(VALU_DEP_3)
	v_mad_u64_u32 v[1:2], null, 0xcd9e8d57, v5, 0
	v_div_fmas_f32 v5, v7, v9, v17
	s_lshl_b64 s[0:1], s[4:5], 3
	s_add_i32 s37, s23, 1
	v_mov_b32_e32 v18, v14
	s_add_u32 s0, s0, s22
	v_div_fixup_f32 v49, v5, s30, 1.0
	s_delay_alu instid0(VALU_DEP_4)
	v_xor3_b32 v0, v0, v2, v35
	v_xor3_b32 v2, v4, v6, v36
	v_dual_mov_b32 v17, v13 :: v_dual_mov_b32 v14, 0
	s_addc_u32 s1, s1, s24
	s_add_u32 s22, s0, 8
	s_mul_i32 s36, s28, 3
	s_addc_u32 s23, s1, 0
                                        ; implicit-def: $vgpr50
                                        ; implicit-def: $vgpr51
                                        ; implicit-def: $vgpr52
                                        ; implicit-def: $vgpr53
	s_branch .LBB104_9
.LBB104_7:                              ;   in Loop: Header=BB104_9 Depth=1
	v_cvt_f32_u32_e32 v2, v3
	s_delay_alu instid0(VALU_DEP_3) | instskip(NEXT) | instid1(VALU_DEP_3)
	v_mad_u64_u32 v[9:10], null, s18, v7, v[0:1]
	v_mul_lo_u32 v0, s18, v8
	v_mul_lo_u32 v1, s19, v7
	s_waitcnt vmcnt(0)
	v_cvt_f32_f16_e32 v7, v50
	v_fmaak_f32 v2, 0x2f800000, v2, 0x2f800000
	s_delay_alu instid0(VALU_DEP_1) | instskip(NEXT) | instid1(VALU_DEP_4)
	v_cmp_gt_f32_e32 vcc_lo, s30, v2
	v_add3_u32 v10, v1, v10, v0
	v_add_co_u32 v2, s0, s10, v9
	v_cndmask_b32_e64 v8, 0, 1.0, vcc_lo
	s_delay_alu instid0(VALU_DEP_3) | instskip(SKIP_1) | instid1(VALU_DEP_3)
	v_lshlrev_b64 v[0:1], 1, v[9:10]
	v_add_co_ci_u32_e64 v3, s0, s11, v10, s0
	v_mul_f32_e32 v7, v8, v7
	v_cndmask_b32_e64 v8, 0, 1, vcc_lo
	s_delay_alu instid0(VALU_DEP_4) | instskip(NEXT) | instid1(VALU_DEP_1)
	v_add_co_u32 v0, s0, s12, v0
	v_add_co_ci_u32_e64 v1, s0, s13, v1, s0
	s_delay_alu instid0(VALU_DEP_4)
	v_fma_mixlo_f16 v7, v49, v7, 0
	global_store_b16 v[0:1], v7, off
	global_store_b8 v[2:3], v8, off
.LBB104_8:                              ;   in Loop: Header=BB104_9 Depth=1
	s_or_b32 exec_lo, exec_lo, s1
	v_add_co_u32 v17, vcc_lo, v17, s29
	v_add_co_ci_u32_e32 v18, vcc_lo, 0, v18, vcc_lo
	v_mov_b32_e32 v7, v19
	v_dual_mov_b32 v0, v4 :: v_dual_mov_b32 v1, v5
	s_delay_alu instid0(VALU_DEP_3) | instskip(NEXT) | instid1(VALU_DEP_3)
	v_cmp_le_u64_e32 vcc_lo, s[8:9], v[17:18]
	v_dual_mov_b32 v2, v6 :: v_dual_mov_b32 v3, v7
	s_waitcnt vmcnt(0)
	s_waitcnt_vscnt null, 0x0
	s_barrier
	buffer_gl0_inv
	s_or_b32 s5, vcc_lo, s5
	s_delay_alu instid0(SALU_CYCLE_1)
	s_and_not1_b32 exec_lo, exec_lo, s5
	s_cbranch_execz .LBB104_87
.LBB104_9:                              ; =>This Loop Header: Depth=1
                                        ;     Child Loop BB104_21 Depth 2
                                        ;     Child Loop BB104_30 Depth 2
	;; [unrolled: 1-line block ×8, first 2 shown]
	v_add_co_u32 v28, vcc_lo, v28, 1
	s_delay_alu instid0(VALU_DEP_1) | instskip(SKIP_2) | instid1(VALU_DEP_1)
	v_cndmask_b32_e64 v4, 0, 1, vcc_lo
	v_add_co_ci_u32_e32 v29, vcc_lo, 0, v29, vcc_lo
	s_mov_b32 s0, exec_lo
	v_cmp_eq_u32_e32 vcc_lo, 0, v29
	s_delay_alu instid0(VALU_DEP_3) | instskip(NEXT) | instid1(VALU_DEP_1)
	v_cndmask_b32_e32 v4, 0, v4, vcc_lo
	v_add_nc_u32_e32 v13, v4, v13
	s_delay_alu instid0(VALU_DEP_1) | instskip(SKIP_2) | instid1(VALU_DEP_2)
	v_cmp_eq_u32_e32 vcc_lo, 0, v13
	v_cndmask_b32_e32 v4, 0, v4, vcc_lo
	v_mad_u64_u32 v[6:7], null, 0xcd9e8d57, v13, 0
	v_add_nc_u32_e32 v14, v4, v14
	v_mad_u64_u32 v[4:5], null, 0xd2511f53, v28, 0
	s_delay_alu instid0(VALU_DEP_3) | instskip(NEXT) | instid1(VALU_DEP_2)
	v_xor3_b32 v9, v7, v11, v29
	v_xor_b32_e32 v5, v5, v12
	s_delay_alu instid0(VALU_DEP_2) | instskip(NEXT) | instid1(VALU_DEP_2)
	v_mad_u64_u32 v[7:8], null, 0xd2511f53, v9, 0
	v_xor_b32_e32 v5, v14, v5
	s_delay_alu instid0(VALU_DEP_2) | instskip(NEXT) | instid1(VALU_DEP_2)
	v_xor3_b32 v8, v30, v8, v4
	v_mad_u64_u32 v[9:10], null, 0xcd9e8d57, v5, 0
	s_delay_alu instid0(VALU_DEP_2) | instskip(NEXT) | instid1(VALU_DEP_2)
	v_mad_u64_u32 v[4:5], null, 0xcd9e8d57, v8, 0
	v_xor3_b32 v6, v31, v10, v6
	s_delay_alu instid0(VALU_DEP_2) | instskip(NEXT) | instid1(VALU_DEP_2)
	v_xor3_b32 v8, v32, v5, v9
	v_mad_u64_u32 v[19:20], null, 0xd2511f53, v6, 0
	s_delay_alu instid0(VALU_DEP_2) | instskip(NEXT) | instid1(VALU_DEP_2)
	v_mad_u64_u32 v[5:6], null, 0xd2511f53, v8, 0
	v_xor3_b32 v9, v33, v20, v7
	s_delay_alu instid0(VALU_DEP_2) | instskip(NEXT) | instid1(VALU_DEP_2)
	v_xor3_b32 v6, v37, v6, v19
	v_mad_u64_u32 v[7:8], null, 0xcd9e8d57, v9, 0
	s_delay_alu instid0(VALU_DEP_1) | instskip(NEXT) | instid1(VALU_DEP_3)
	v_xor3_b32 v4, v38, v8, v4
	v_mad_u64_u32 v[8:9], null, 0xcd9e8d57, v6, 0
	s_delay_alu instid0(VALU_DEP_2) | instskip(NEXT) | instid1(VALU_DEP_2)
	v_mad_u64_u32 v[19:20], null, 0xd2511f53, v4, 0
	v_xor3_b32 v6, v40, v9, v7
	s_delay_alu instid0(VALU_DEP_2) | instskip(NEXT) | instid1(VALU_DEP_2)
	v_xor3_b32 v9, v41, v20, v5
	v_mad_u64_u32 v[4:5], null, 0xd2511f53, v6, 0
	s_delay_alu instid0(VALU_DEP_2) | instskip(NEXT) | instid1(VALU_DEP_2)
	v_mad_u64_u32 v[6:7], null, 0xcd9e8d57, v9, 0
	v_xor3_b32 v5, v43, v5, v19
	s_delay_alu instid0(VALU_DEP_2) | instskip(NEXT) | instid1(VALU_DEP_2)
	;; [unrolled: 6-line block ×6, first 2 shown]
	v_xor3_b32 v4, v6, v7, v35
	v_mov_b32_e32 v6, v10
	v_cmpx_lt_i32_e32 1, v34
	s_xor_b32 s0, exec_lo, s0
	s_cbranch_execnz .LBB104_12
; %bb.10:                               ;   in Loop: Header=BB104_9 Depth=1
	s_and_not1_saveexec_b32 s0, s0
	s_cbranch_execnz .LBB104_17
.LBB104_11:                             ;   in Loop: Header=BB104_9 Depth=1
	s_or_b32 exec_lo, exec_lo, s0
	v_cmp_gt_u64_e64 s3, s[6:7], v[17:18]
	s_delay_alu instid0(VALU_DEP_1)
	s_and_saveexec_b32 s1, s3
	s_cbranch_execnz .LBB104_20
	s_branch .LBB104_28
.LBB104_12:                             ;   in Loop: Header=BB104_9 Depth=1
	s_mov_b32 s1, exec_lo
	v_cmpx_lt_i32_e32 2, v34
	s_xor_b32 s1, exec_lo, s1
; %bb.13:                               ;   in Loop: Header=BB104_9 Depth=1
	v_dual_mov_b32 v7, v3 :: v_dual_mov_b32 v8, v4
	v_mov_b32_e32 v9, v5
	s_delay_alu instid0(VALU_DEP_2) | instskip(NEXT) | instid1(VALU_DEP_2)
	v_dual_mov_b32 v0, v7 :: v_dual_mov_b32 v1, v8
	v_dual_mov_b32 v2, v9 :: v_dual_mov_b32 v3, v10
; %bb.14:                               ;   in Loop: Header=BB104_9 Depth=1
	s_and_not1_saveexec_b32 s1, s1
; %bb.15:                               ;   in Loop: Header=BB104_9 Depth=1
	s_delay_alu instid0(VALU_DEP_1)
	v_dual_mov_b32 v0, v2 :: v_dual_mov_b32 v1, v3
	v_dual_mov_b32 v2, v4 :: v_dual_mov_b32 v3, v5
; %bb.16:                               ;   in Loop: Header=BB104_9 Depth=1
	s_or_b32 exec_lo, exec_lo, s1
	s_and_not1_saveexec_b32 s0, s0
	s_cbranch_execz .LBB104_11
.LBB104_17:                             ;   in Loop: Header=BB104_9 Depth=1
	s_mov_b32 s1, exec_lo
	v_cmpx_eq_u32_e32 1, v34
; %bb.18:                               ;   in Loop: Header=BB104_9 Depth=1
	v_dual_mov_b32 v0, v1 :: v_dual_mov_b32 v1, v2
	v_dual_mov_b32 v2, v3 :: v_dual_mov_b32 v3, v4
; %bb.19:                               ;   in Loop: Header=BB104_9 Depth=1
	s_or_b32 exec_lo, exec_lo, s1
	s_delay_alu instid0(SALU_CYCLE_1) | instskip(SKIP_1) | instid1(VALU_DEP_1)
	s_or_b32 exec_lo, exec_lo, s0
	v_cmp_gt_u64_e64 s3, s[6:7], v[17:18]
	s_and_saveexec_b32 s1, s3
	s_cbranch_execz .LBB104_28
.LBB104_20:                             ;   in Loop: Header=BB104_9 Depth=1
	v_mov_b32_e32 v7, 0
	v_dual_mov_b32 v8, 0 :: v_dual_mov_b32 v9, v17
	v_mov_b32_e32 v10, v18
	v_dual_mov_b32 v21, v18 :: v_dual_mov_b32 v20, v17
	s_and_not1_b32 vcc_lo, exec_lo, s31
	s_mov_b64 s[24:25], s[20:21]
	s_mov_b32 s2, s35
	s_cbranch_vccnz .LBB104_27
.LBB104_21:                             ;   Parent Loop BB104_9 Depth=1
                                        ; =>  This Inner Loop Header: Depth=2
	s_load_b64 s[26:27], s[24:25], 0x0
                                        ; implicit-def: $vgpr20_vgpr21
	s_mov_b32 s0, exec_lo
	s_waitcnt lgkmcnt(0)
	v_or_b32_e32 v16, s27, v10
	s_delay_alu instid0(VALU_DEP_1)
	v_cmpx_ne_u64_e32 0, v[15:16]
	s_xor_b32 s4, exec_lo, s0
	s_cbranch_execz .LBB104_23
; %bb.22:                               ;   in Loop: Header=BB104_21 Depth=2
	v_cvt_f32_u32_e32 v16, s26
	v_cvt_f32_u32_e32 v20, s27
	s_sub_u32 s0, 0, s26
	s_subb_u32 s38, 0, s27
	s_delay_alu instid0(VALU_DEP_1) | instskip(NEXT) | instid1(VALU_DEP_1)
	v_fmac_f32_e32 v16, 0x4f800000, v20
	v_rcp_f32_e32 v16, v16
	s_waitcnt_depctr 0xfff
	v_mul_f32_e32 v16, 0x5f7ffffc, v16
	s_delay_alu instid0(VALU_DEP_1) | instskip(NEXT) | instid1(VALU_DEP_1)
	v_mul_f32_e32 v20, 0x2f800000, v16
	v_trunc_f32_e32 v20, v20
	s_delay_alu instid0(VALU_DEP_1) | instskip(SKIP_1) | instid1(VALU_DEP_2)
	v_fmac_f32_e32 v16, 0xcf800000, v20
	v_cvt_u32_f32_e32 v20, v20
	v_cvt_u32_f32_e32 v16, v16
	s_delay_alu instid0(VALU_DEP_2) | instskip(NEXT) | instid1(VALU_DEP_2)
	v_mul_lo_u32 v21, s0, v20
	v_mul_hi_u32 v22, s0, v16
	v_mul_lo_u32 v23, s38, v16
	s_delay_alu instid0(VALU_DEP_2) | instskip(SKIP_1) | instid1(VALU_DEP_2)
	v_add_nc_u32_e32 v21, v22, v21
	v_mul_lo_u32 v22, s0, v16
	v_add_nc_u32_e32 v21, v21, v23
	s_delay_alu instid0(VALU_DEP_2) | instskip(NEXT) | instid1(VALU_DEP_2)
	v_mul_hi_u32 v23, v16, v22
	v_mul_lo_u32 v24, v16, v21
	v_mul_hi_u32 v25, v16, v21
	v_mul_hi_u32 v26, v20, v22
	v_mul_lo_u32 v22, v20, v22
	v_mul_hi_u32 v27, v20, v21
	v_mul_lo_u32 v21, v20, v21
	v_add_co_u32 v23, vcc_lo, v23, v24
	v_add_co_ci_u32_e32 v24, vcc_lo, 0, v25, vcc_lo
	s_delay_alu instid0(VALU_DEP_2) | instskip(NEXT) | instid1(VALU_DEP_2)
	v_add_co_u32 v22, vcc_lo, v23, v22
	v_add_co_ci_u32_e32 v22, vcc_lo, v24, v26, vcc_lo
	v_add_co_ci_u32_e32 v23, vcc_lo, 0, v27, vcc_lo
	s_delay_alu instid0(VALU_DEP_2) | instskip(NEXT) | instid1(VALU_DEP_2)
	v_add_co_u32 v21, vcc_lo, v22, v21
	v_add_co_ci_u32_e32 v22, vcc_lo, 0, v23, vcc_lo
	s_delay_alu instid0(VALU_DEP_2) | instskip(NEXT) | instid1(VALU_DEP_2)
	v_add_co_u32 v16, vcc_lo, v16, v21
	v_add_co_ci_u32_e32 v20, vcc_lo, v20, v22, vcc_lo
	s_delay_alu instid0(VALU_DEP_2) | instskip(SKIP_1) | instid1(VALU_DEP_3)
	v_mul_hi_u32 v21, s0, v16
	v_mul_lo_u32 v23, s38, v16
	v_mul_lo_u32 v22, s0, v20
	s_delay_alu instid0(VALU_DEP_1) | instskip(SKIP_1) | instid1(VALU_DEP_2)
	v_add_nc_u32_e32 v21, v21, v22
	v_mul_lo_u32 v22, s0, v16
	v_add_nc_u32_e32 v21, v21, v23
	s_delay_alu instid0(VALU_DEP_2) | instskip(NEXT) | instid1(VALU_DEP_2)
	v_mul_hi_u32 v23, v16, v22
	v_mul_lo_u32 v24, v16, v21
	v_mul_hi_u32 v25, v16, v21
	v_mul_hi_u32 v26, v20, v22
	v_mul_lo_u32 v22, v20, v22
	v_mul_hi_u32 v27, v20, v21
	v_mul_lo_u32 v21, v20, v21
	v_add_co_u32 v23, vcc_lo, v23, v24
	v_add_co_ci_u32_e32 v24, vcc_lo, 0, v25, vcc_lo
	s_delay_alu instid0(VALU_DEP_2) | instskip(NEXT) | instid1(VALU_DEP_2)
	v_add_co_u32 v22, vcc_lo, v23, v22
	v_add_co_ci_u32_e32 v22, vcc_lo, v24, v26, vcc_lo
	v_add_co_ci_u32_e32 v23, vcc_lo, 0, v27, vcc_lo
	s_delay_alu instid0(VALU_DEP_2) | instskip(NEXT) | instid1(VALU_DEP_2)
	v_add_co_u32 v21, vcc_lo, v22, v21
	v_add_co_ci_u32_e32 v22, vcc_lo, 0, v23, vcc_lo
	s_delay_alu instid0(VALU_DEP_2) | instskip(NEXT) | instid1(VALU_DEP_2)
	v_add_co_u32 v16, vcc_lo, v16, v21
	v_add_co_ci_u32_e32 v26, vcc_lo, v20, v22, vcc_lo
	s_delay_alu instid0(VALU_DEP_2) | instskip(SKIP_1) | instid1(VALU_DEP_3)
	v_mul_hi_u32 v27, v9, v16
	v_mad_u64_u32 v[22:23], null, v10, v16, 0
	v_mad_u64_u32 v[20:21], null, v9, v26, 0
	;; [unrolled: 1-line block ×3, first 2 shown]
	s_delay_alu instid0(VALU_DEP_2) | instskip(NEXT) | instid1(VALU_DEP_3)
	v_add_co_u32 v16, vcc_lo, v27, v20
	v_add_co_ci_u32_e32 v20, vcc_lo, 0, v21, vcc_lo
	s_delay_alu instid0(VALU_DEP_2) | instskip(NEXT) | instid1(VALU_DEP_2)
	v_add_co_u32 v16, vcc_lo, v16, v22
	v_add_co_ci_u32_e32 v16, vcc_lo, v20, v23, vcc_lo
	v_add_co_ci_u32_e32 v20, vcc_lo, 0, v25, vcc_lo
	s_delay_alu instid0(VALU_DEP_2) | instskip(NEXT) | instid1(VALU_DEP_2)
	v_add_co_u32 v16, vcc_lo, v16, v24
	v_add_co_ci_u32_e32 v22, vcc_lo, 0, v20, vcc_lo
	s_delay_alu instid0(VALU_DEP_2) | instskip(SKIP_1) | instid1(VALU_DEP_3)
	v_mul_lo_u32 v23, s27, v16
	v_mad_u64_u32 v[20:21], null, s26, v16, 0
	v_mul_lo_u32 v24, s26, v22
	s_delay_alu instid0(VALU_DEP_2) | instskip(NEXT) | instid1(VALU_DEP_2)
	v_sub_co_u32 v20, vcc_lo, v9, v20
	v_add3_u32 v21, v21, v24, v23
	s_delay_alu instid0(VALU_DEP_1) | instskip(NEXT) | instid1(VALU_DEP_1)
	v_sub_nc_u32_e32 v23, v10, v21
	v_subrev_co_ci_u32_e64 v23, s0, s27, v23, vcc_lo
	v_add_co_u32 v24, s0, v16, 2
	s_delay_alu instid0(VALU_DEP_1) | instskip(SKIP_3) | instid1(VALU_DEP_3)
	v_add_co_ci_u32_e64 v25, s0, 0, v22, s0
	v_sub_co_u32 v26, s0, v20, s26
	v_sub_co_ci_u32_e32 v21, vcc_lo, v10, v21, vcc_lo
	v_subrev_co_ci_u32_e64 v23, s0, 0, v23, s0
	v_cmp_le_u32_e32 vcc_lo, s26, v26
	s_delay_alu instid0(VALU_DEP_3) | instskip(SKIP_1) | instid1(VALU_DEP_4)
	v_cmp_eq_u32_e64 s0, s27, v21
	v_cndmask_b32_e64 v26, 0, -1, vcc_lo
	v_cmp_le_u32_e32 vcc_lo, s27, v23
	v_cndmask_b32_e64 v27, 0, -1, vcc_lo
	v_cmp_le_u32_e32 vcc_lo, s26, v20
	v_cndmask_b32_e64 v20, 0, -1, vcc_lo
	v_cmp_le_u32_e32 vcc_lo, s27, v21
	v_cndmask_b32_e64 v53, 0, -1, vcc_lo
	v_cmp_eq_u32_e32 vcc_lo, s27, v23
	s_delay_alu instid0(VALU_DEP_2) | instskip(SKIP_3) | instid1(VALU_DEP_3)
	v_cndmask_b32_e64 v20, v53, v20, s0
	v_cndmask_b32_e32 v23, v27, v26, vcc_lo
	v_add_co_u32 v26, vcc_lo, v16, 1
	v_add_co_ci_u32_e32 v27, vcc_lo, 0, v22, vcc_lo
	v_cmp_ne_u32_e32 vcc_lo, 0, v23
	s_delay_alu instid0(VALU_DEP_3) | instskip(NEXT) | instid1(VALU_DEP_3)
	v_cndmask_b32_e32 v23, v26, v24, vcc_lo
	v_cndmask_b32_e32 v21, v27, v25, vcc_lo
	v_cmp_ne_u32_e32 vcc_lo, 0, v20
	s_delay_alu instid0(VALU_DEP_2)
	v_dual_cndmask_b32 v20, v16, v23 :: v_dual_cndmask_b32 v21, v22, v21
.LBB104_23:                             ;   in Loop: Header=BB104_21 Depth=2
	s_and_not1_saveexec_b32 s0, s4
	s_cbranch_execz .LBB104_25
; %bb.24:                               ;   in Loop: Header=BB104_21 Depth=2
	v_cvt_f32_u32_e32 v16, s26
	s_sub_i32 s4, 0, s26
	s_delay_alu instid0(VALU_DEP_1) | instskip(SKIP_2) | instid1(VALU_DEP_1)
	v_rcp_iflag_f32_e32 v16, v16
	s_waitcnt_depctr 0xfff
	v_mul_f32_e32 v16, 0x4f7ffffe, v16
	v_cvt_u32_f32_e32 v16, v16
	s_delay_alu instid0(VALU_DEP_1) | instskip(NEXT) | instid1(VALU_DEP_1)
	v_mul_lo_u32 v20, s4, v16
	v_mul_hi_u32 v20, v16, v20
	s_delay_alu instid0(VALU_DEP_1) | instskip(NEXT) | instid1(VALU_DEP_1)
	v_add_nc_u32_e32 v16, v16, v20
	v_mul_hi_u32 v16, v9, v16
	s_delay_alu instid0(VALU_DEP_1) | instskip(NEXT) | instid1(VALU_DEP_1)
	v_mul_lo_u32 v20, v16, s26
	v_sub_nc_u32_e32 v20, v9, v20
	s_delay_alu instid0(VALU_DEP_1) | instskip(SKIP_1) | instid1(VALU_DEP_2)
	v_subrev_nc_u32_e32 v22, s26, v20
	v_cmp_le_u32_e32 vcc_lo, s26, v20
	v_dual_cndmask_b32 v20, v20, v22 :: v_dual_add_nc_u32 v21, 1, v16
	s_delay_alu instid0(VALU_DEP_1) | instskip(NEXT) | instid1(VALU_DEP_2)
	v_cndmask_b32_e32 v16, v16, v21, vcc_lo
	v_cmp_le_u32_e32 vcc_lo, s26, v20
	s_delay_alu instid0(VALU_DEP_2) | instskip(NEXT) | instid1(VALU_DEP_1)
	v_add_nc_u32_e32 v21, 1, v16
	v_dual_cndmask_b32 v20, v16, v21 :: v_dual_mov_b32 v21, v15
.LBB104_25:                             ;   in Loop: Header=BB104_21 Depth=2
	s_or_b32 exec_lo, exec_lo, s0
	s_load_b64 s[38:39], s[24:25], 0xc8
	s_delay_alu instid0(VALU_DEP_1) | instskip(NEXT) | instid1(VALU_DEP_2)
	v_mul_lo_u32 v16, v21, s26
	v_mul_lo_u32 v24, v20, s27
	v_mad_u64_u32 v[22:23], null, v20, s26, 0
	s_add_i32 s2, s2, -1
	s_add_u32 s24, s24, -8
	s_addc_u32 s25, s25, -1
	s_cmp_gt_u32 s2, 2
	s_delay_alu instid0(VALU_DEP_1) | instskip(NEXT) | instid1(VALU_DEP_2)
	v_add3_u32 v16, v23, v24, v16
	v_sub_co_u32 v22, vcc_lo, v9, v22
	s_delay_alu instid0(VALU_DEP_2) | instskip(SKIP_1) | instid1(VALU_DEP_2)
	v_sub_co_ci_u32_e32 v9, vcc_lo, v10, v16, vcc_lo
	s_waitcnt lgkmcnt(0)
	v_mul_lo_u32 v23, s39, v22
	s_delay_alu instid0(VALU_DEP_2) | instskip(SKIP_1) | instid1(VALU_DEP_1)
	v_mul_lo_u32 v16, s38, v9
	v_mad_u64_u32 v[9:10], null, s38, v22, v[7:8]
	v_add3_u32 v8, v23, v10, v16
	s_delay_alu instid0(VALU_DEP_2)
	v_mov_b32_e32 v7, v9
	s_cbranch_scc0 .LBB104_27
; %bb.26:                               ;   in Loop: Header=BB104_21 Depth=2
	v_dual_mov_b32 v9, v20 :: v_dual_mov_b32 v10, v21
	s_branch .LBB104_21
.LBB104_27:                             ;   in Loop: Header=BB104_9 Depth=1
	v_mul_lo_u32 v16, s15, v20
	v_mul_lo_u32 v21, s14, v21
	v_mad_u64_u32 v[9:10], null, s14, v20, 0
	v_lshlrev_b64 v[7:8], 1, v[7:8]
	s_delay_alu instid0(VALU_DEP_2) | instskip(NEXT) | instid1(VALU_DEP_1)
	v_add3_u32 v10, v10, v21, v16
	v_lshlrev_b64 v[9:10], 1, v[9:10]
	s_delay_alu instid0(VALU_DEP_1) | instskip(NEXT) | instid1(VALU_DEP_2)
	v_add_co_u32 v9, vcc_lo, s16, v9
	v_add_co_ci_u32_e32 v10, vcc_lo, s17, v10, vcc_lo
	s_delay_alu instid0(VALU_DEP_2) | instskip(NEXT) | instid1(VALU_DEP_2)
	v_add_co_u32 v7, vcc_lo, v9, v7
	v_add_co_ci_u32_e32 v8, vcc_lo, v10, v8, vcc_lo
	global_load_u16 v53, v[7:8], off
.LBB104_28:                             ;   in Loop: Header=BB104_9 Depth=1
	s_or_b32 exec_lo, exec_lo, s1
	v_add_co_u32 v20, vcc_lo, v17, s28
	v_add_co_ci_u32_e32 v21, vcc_lo, 0, v18, vcc_lo
	s_delay_alu instid0(VALU_DEP_1) | instskip(NEXT) | instid1(VALU_DEP_1)
	v_cmp_gt_u64_e64 s2, s[6:7], v[20:21]
	s_and_saveexec_b32 s1, s2
	s_cbranch_execz .LBB104_37
; %bb.29:                               ;   in Loop: Header=BB104_9 Depth=1
	v_mov_b32_e32 v7, 0
	v_dual_mov_b32 v8, 0 :: v_dual_mov_b32 v9, v20
	v_mov_b32_e32 v10, v21
	v_dual_mov_b32 v23, v21 :: v_dual_mov_b32 v22, v20
	s_and_not1_b32 vcc_lo, exec_lo, s31
	s_mov_b64 s[24:25], s[20:21]
	s_mov_b32 s4, s35
	s_cbranch_vccnz .LBB104_36
.LBB104_30:                             ;   Parent Loop BB104_9 Depth=1
                                        ; =>  This Inner Loop Header: Depth=2
	s_load_b64 s[26:27], s[24:25], 0x0
                                        ; implicit-def: $vgpr22_vgpr23
	s_mov_b32 s0, exec_lo
	s_waitcnt lgkmcnt(0)
	v_or_b32_e32 v16, s27, v10
	s_delay_alu instid0(VALU_DEP_1)
	v_cmpx_ne_u64_e32 0, v[15:16]
	s_xor_b32 s38, exec_lo, s0
	s_cbranch_execz .LBB104_32
; %bb.31:                               ;   in Loop: Header=BB104_30 Depth=2
	v_cvt_f32_u32_e32 v16, s26
	v_cvt_f32_u32_e32 v22, s27
	s_sub_u32 s0, 0, s26
	s_subb_u32 s39, 0, s27
	s_delay_alu instid0(VALU_DEP_1) | instskip(NEXT) | instid1(VALU_DEP_1)
	v_fmac_f32_e32 v16, 0x4f800000, v22
	v_rcp_f32_e32 v16, v16
	s_waitcnt_depctr 0xfff
	v_mul_f32_e32 v16, 0x5f7ffffc, v16
	s_delay_alu instid0(VALU_DEP_1) | instskip(NEXT) | instid1(VALU_DEP_1)
	v_mul_f32_e32 v22, 0x2f800000, v16
	v_trunc_f32_e32 v22, v22
	s_delay_alu instid0(VALU_DEP_1) | instskip(SKIP_1) | instid1(VALU_DEP_2)
	v_fmac_f32_e32 v16, 0xcf800000, v22
	v_cvt_u32_f32_e32 v22, v22
	v_cvt_u32_f32_e32 v16, v16
	s_delay_alu instid0(VALU_DEP_2) | instskip(NEXT) | instid1(VALU_DEP_2)
	v_mul_lo_u32 v23, s0, v22
	v_mul_hi_u32 v24, s0, v16
	v_mul_lo_u32 v25, s39, v16
	s_delay_alu instid0(VALU_DEP_2) | instskip(SKIP_1) | instid1(VALU_DEP_2)
	v_add_nc_u32_e32 v23, v24, v23
	v_mul_lo_u32 v24, s0, v16
	v_add_nc_u32_e32 v23, v23, v25
	s_delay_alu instid0(VALU_DEP_2) | instskip(NEXT) | instid1(VALU_DEP_2)
	v_mul_hi_u32 v25, v16, v24
	v_mul_lo_u32 v26, v16, v23
	v_mul_hi_u32 v27, v16, v23
	v_mul_hi_u32 v52, v22, v24
	v_mul_lo_u32 v24, v22, v24
	v_mul_hi_u32 v54, v22, v23
	v_mul_lo_u32 v23, v22, v23
	v_add_co_u32 v25, vcc_lo, v25, v26
	v_add_co_ci_u32_e32 v26, vcc_lo, 0, v27, vcc_lo
	s_delay_alu instid0(VALU_DEP_2) | instskip(NEXT) | instid1(VALU_DEP_2)
	v_add_co_u32 v24, vcc_lo, v25, v24
	v_add_co_ci_u32_e32 v24, vcc_lo, v26, v52, vcc_lo
	v_add_co_ci_u32_e32 v25, vcc_lo, 0, v54, vcc_lo
	s_delay_alu instid0(VALU_DEP_2) | instskip(NEXT) | instid1(VALU_DEP_2)
	v_add_co_u32 v23, vcc_lo, v24, v23
	v_add_co_ci_u32_e32 v24, vcc_lo, 0, v25, vcc_lo
	s_delay_alu instid0(VALU_DEP_2) | instskip(NEXT) | instid1(VALU_DEP_2)
	v_add_co_u32 v16, vcc_lo, v16, v23
	v_add_co_ci_u32_e32 v22, vcc_lo, v22, v24, vcc_lo
	s_delay_alu instid0(VALU_DEP_2) | instskip(SKIP_1) | instid1(VALU_DEP_3)
	v_mul_hi_u32 v23, s0, v16
	v_mul_lo_u32 v25, s39, v16
	v_mul_lo_u32 v24, s0, v22
	s_delay_alu instid0(VALU_DEP_1) | instskip(SKIP_1) | instid1(VALU_DEP_2)
	v_add_nc_u32_e32 v23, v23, v24
	v_mul_lo_u32 v24, s0, v16
	v_add_nc_u32_e32 v23, v23, v25
	s_delay_alu instid0(VALU_DEP_2) | instskip(NEXT) | instid1(VALU_DEP_2)
	v_mul_hi_u32 v25, v16, v24
	v_mul_lo_u32 v26, v16, v23
	v_mul_hi_u32 v27, v16, v23
	v_mul_hi_u32 v52, v22, v24
	v_mul_lo_u32 v24, v22, v24
	v_mul_hi_u32 v54, v22, v23
	v_mul_lo_u32 v23, v22, v23
	v_add_co_u32 v25, vcc_lo, v25, v26
	v_add_co_ci_u32_e32 v26, vcc_lo, 0, v27, vcc_lo
	s_delay_alu instid0(VALU_DEP_2) | instskip(NEXT) | instid1(VALU_DEP_2)
	v_add_co_u32 v24, vcc_lo, v25, v24
	v_add_co_ci_u32_e32 v24, vcc_lo, v26, v52, vcc_lo
	v_add_co_ci_u32_e32 v25, vcc_lo, 0, v54, vcc_lo
	s_delay_alu instid0(VALU_DEP_2) | instskip(NEXT) | instid1(VALU_DEP_2)
	v_add_co_u32 v23, vcc_lo, v24, v23
	v_add_co_ci_u32_e32 v24, vcc_lo, 0, v25, vcc_lo
	s_delay_alu instid0(VALU_DEP_2) | instskip(NEXT) | instid1(VALU_DEP_2)
	v_add_co_u32 v16, vcc_lo, v16, v23
	v_add_co_ci_u32_e32 v52, vcc_lo, v22, v24, vcc_lo
	s_delay_alu instid0(VALU_DEP_2) | instskip(SKIP_1) | instid1(VALU_DEP_3)
	v_mul_hi_u32 v54, v9, v16
	v_mad_u64_u32 v[24:25], null, v10, v16, 0
	v_mad_u64_u32 v[22:23], null, v9, v52, 0
	;; [unrolled: 1-line block ×3, first 2 shown]
	s_delay_alu instid0(VALU_DEP_2) | instskip(NEXT) | instid1(VALU_DEP_3)
	v_add_co_u32 v16, vcc_lo, v54, v22
	v_add_co_ci_u32_e32 v22, vcc_lo, 0, v23, vcc_lo
	s_delay_alu instid0(VALU_DEP_2) | instskip(NEXT) | instid1(VALU_DEP_2)
	v_add_co_u32 v16, vcc_lo, v16, v24
	v_add_co_ci_u32_e32 v16, vcc_lo, v22, v25, vcc_lo
	v_add_co_ci_u32_e32 v22, vcc_lo, 0, v27, vcc_lo
	s_delay_alu instid0(VALU_DEP_2) | instskip(NEXT) | instid1(VALU_DEP_2)
	v_add_co_u32 v16, vcc_lo, v16, v26
	v_add_co_ci_u32_e32 v24, vcc_lo, 0, v22, vcc_lo
	s_delay_alu instid0(VALU_DEP_2) | instskip(SKIP_1) | instid1(VALU_DEP_3)
	v_mul_lo_u32 v25, s27, v16
	v_mad_u64_u32 v[22:23], null, s26, v16, 0
	v_mul_lo_u32 v26, s26, v24
	s_delay_alu instid0(VALU_DEP_2) | instskip(NEXT) | instid1(VALU_DEP_2)
	v_sub_co_u32 v22, vcc_lo, v9, v22
	v_add3_u32 v23, v23, v26, v25
	s_delay_alu instid0(VALU_DEP_1) | instskip(NEXT) | instid1(VALU_DEP_1)
	v_sub_nc_u32_e32 v25, v10, v23
	v_subrev_co_ci_u32_e64 v25, s0, s27, v25, vcc_lo
	v_add_co_u32 v26, s0, v16, 2
	s_delay_alu instid0(VALU_DEP_1) | instskip(SKIP_3) | instid1(VALU_DEP_3)
	v_add_co_ci_u32_e64 v27, s0, 0, v24, s0
	v_sub_co_u32 v52, s0, v22, s26
	v_sub_co_ci_u32_e32 v23, vcc_lo, v10, v23, vcc_lo
	v_subrev_co_ci_u32_e64 v25, s0, 0, v25, s0
	v_cmp_le_u32_e32 vcc_lo, s26, v52
	s_delay_alu instid0(VALU_DEP_3) | instskip(SKIP_1) | instid1(VALU_DEP_4)
	v_cmp_eq_u32_e64 s0, s27, v23
	v_cndmask_b32_e64 v52, 0, -1, vcc_lo
	v_cmp_le_u32_e32 vcc_lo, s27, v25
	v_cndmask_b32_e64 v54, 0, -1, vcc_lo
	v_cmp_le_u32_e32 vcc_lo, s26, v22
	;; [unrolled: 2-line block ×3, first 2 shown]
	v_cndmask_b32_e64 v55, 0, -1, vcc_lo
	v_cmp_eq_u32_e32 vcc_lo, s27, v25
	s_delay_alu instid0(VALU_DEP_2) | instskip(SKIP_3) | instid1(VALU_DEP_3)
	v_cndmask_b32_e64 v22, v55, v22, s0
	v_cndmask_b32_e32 v25, v54, v52, vcc_lo
	v_add_co_u32 v52, vcc_lo, v16, 1
	v_add_co_ci_u32_e32 v54, vcc_lo, 0, v24, vcc_lo
	v_cmp_ne_u32_e32 vcc_lo, 0, v25
	s_delay_alu instid0(VALU_DEP_3) | instskip(NEXT) | instid1(VALU_DEP_3)
	v_cndmask_b32_e32 v25, v52, v26, vcc_lo
	v_cndmask_b32_e32 v23, v54, v27, vcc_lo
	v_cmp_ne_u32_e32 vcc_lo, 0, v22
	s_delay_alu instid0(VALU_DEP_3) | instskip(NEXT) | instid1(VALU_DEP_3)
	v_cndmask_b32_e32 v22, v16, v25, vcc_lo
	v_cndmask_b32_e32 v23, v24, v23, vcc_lo
.LBB104_32:                             ;   in Loop: Header=BB104_30 Depth=2
	s_and_not1_saveexec_b32 s0, s38
	s_cbranch_execz .LBB104_34
; %bb.33:                               ;   in Loop: Header=BB104_30 Depth=2
	v_cvt_f32_u32_e32 v16, s26
	s_sub_i32 s38, 0, s26
	s_delay_alu instid0(VALU_DEP_1) | instskip(SKIP_2) | instid1(VALU_DEP_1)
	v_rcp_iflag_f32_e32 v16, v16
	s_waitcnt_depctr 0xfff
	v_mul_f32_e32 v16, 0x4f7ffffe, v16
	v_cvt_u32_f32_e32 v16, v16
	s_delay_alu instid0(VALU_DEP_1) | instskip(NEXT) | instid1(VALU_DEP_1)
	v_mul_lo_u32 v22, s38, v16
	v_mul_hi_u32 v22, v16, v22
	s_delay_alu instid0(VALU_DEP_1) | instskip(NEXT) | instid1(VALU_DEP_1)
	v_add_nc_u32_e32 v16, v16, v22
	v_mul_hi_u32 v16, v9, v16
	s_delay_alu instid0(VALU_DEP_1) | instskip(SKIP_1) | instid1(VALU_DEP_2)
	v_mul_lo_u32 v22, v16, s26
	v_add_nc_u32_e32 v23, 1, v16
	v_sub_nc_u32_e32 v22, v9, v22
	s_delay_alu instid0(VALU_DEP_1) | instskip(SKIP_1) | instid1(VALU_DEP_2)
	v_subrev_nc_u32_e32 v24, s26, v22
	v_cmp_le_u32_e32 vcc_lo, s26, v22
	v_cndmask_b32_e32 v22, v22, v24, vcc_lo
	v_cndmask_b32_e32 v16, v16, v23, vcc_lo
	s_delay_alu instid0(VALU_DEP_2) | instskip(NEXT) | instid1(VALU_DEP_2)
	v_cmp_le_u32_e32 vcc_lo, s26, v22
	v_add_nc_u32_e32 v23, 1, v16
	s_delay_alu instid0(VALU_DEP_1)
	v_dual_cndmask_b32 v22, v16, v23 :: v_dual_mov_b32 v23, v15
.LBB104_34:                             ;   in Loop: Header=BB104_30 Depth=2
	s_or_b32 exec_lo, exec_lo, s0
	s_load_b64 s[38:39], s[24:25], 0xc8
	s_delay_alu instid0(VALU_DEP_1) | instskip(NEXT) | instid1(VALU_DEP_2)
	v_mul_lo_u32 v16, v23, s26
	v_mul_lo_u32 v26, v22, s27
	v_mad_u64_u32 v[24:25], null, v22, s26, 0
	s_add_i32 s4, s4, -1
	s_add_u32 s24, s24, -8
	s_addc_u32 s25, s25, -1
	s_cmp_gt_u32 s4, 2
	s_delay_alu instid0(VALU_DEP_1) | instskip(NEXT) | instid1(VALU_DEP_2)
	v_add3_u32 v16, v25, v26, v16
	v_sub_co_u32 v24, vcc_lo, v9, v24
	s_delay_alu instid0(VALU_DEP_2) | instskip(SKIP_1) | instid1(VALU_DEP_2)
	v_sub_co_ci_u32_e32 v9, vcc_lo, v10, v16, vcc_lo
	s_waitcnt lgkmcnt(0)
	v_mul_lo_u32 v25, s39, v24
	s_delay_alu instid0(VALU_DEP_2) | instskip(SKIP_1) | instid1(VALU_DEP_1)
	v_mul_lo_u32 v16, s38, v9
	v_mad_u64_u32 v[9:10], null, s38, v24, v[7:8]
	v_add3_u32 v8, v25, v10, v16
	s_delay_alu instid0(VALU_DEP_2)
	v_mov_b32_e32 v7, v9
	s_cbranch_scc0 .LBB104_36
; %bb.35:                               ;   in Loop: Header=BB104_30 Depth=2
	v_dual_mov_b32 v9, v22 :: v_dual_mov_b32 v10, v23
	s_branch .LBB104_30
.LBB104_36:                             ;   in Loop: Header=BB104_9 Depth=1
	v_mul_lo_u32 v16, s15, v22
	v_mul_lo_u32 v23, s14, v23
	v_mad_u64_u32 v[9:10], null, s14, v22, 0
	v_lshlrev_b64 v[7:8], 1, v[7:8]
	s_delay_alu instid0(VALU_DEP_2) | instskip(NEXT) | instid1(VALU_DEP_1)
	v_add3_u32 v10, v10, v23, v16
	v_lshlrev_b64 v[9:10], 1, v[9:10]
	s_delay_alu instid0(VALU_DEP_1) | instskip(NEXT) | instid1(VALU_DEP_2)
	v_add_co_u32 v9, vcc_lo, s16, v9
	v_add_co_ci_u32_e32 v10, vcc_lo, s17, v10, vcc_lo
	s_delay_alu instid0(VALU_DEP_2) | instskip(NEXT) | instid1(VALU_DEP_2)
	v_add_co_u32 v7, vcc_lo, v9, v7
	v_add_co_ci_u32_e32 v8, vcc_lo, v10, v8, vcc_lo
	global_load_u16 v52, v[7:8], off
.LBB104_37:                             ;   in Loop: Header=BB104_9 Depth=1
	s_or_b32 exec_lo, exec_lo, s1
	v_add_co_u32 v9, vcc_lo, v17, s34
	v_add_co_ci_u32_e32 v10, vcc_lo, 0, v18, vcc_lo
	s_delay_alu instid0(VALU_DEP_1) | instskip(NEXT) | instid1(VALU_DEP_1)
	v_cmp_gt_u64_e64 s1, s[6:7], v[9:10]
	s_and_saveexec_b32 s4, s1
	s_cbranch_execz .LBB104_46
; %bb.38:                               ;   in Loop: Header=BB104_9 Depth=1
	v_mov_b32_e32 v7, 0
	v_dual_mov_b32 v8, 0 :: v_dual_mov_b32 v23, v10
	v_dual_mov_b32 v22, v9 :: v_dual_mov_b32 v25, v10
	v_mov_b32_e32 v24, v9
	s_and_not1_b32 vcc_lo, exec_lo, s31
	s_mov_b64 s[24:25], s[20:21]
	s_mov_b32 s38, s35
	s_cbranch_vccnz .LBB104_45
.LBB104_39:                             ;   Parent Loop BB104_9 Depth=1
                                        ; =>  This Inner Loop Header: Depth=2
	s_load_b64 s[26:27], s[24:25], 0x0
                                        ; implicit-def: $vgpr24_vgpr25
	s_mov_b32 s0, exec_lo
	s_waitcnt lgkmcnt(0)
	v_or_b32_e32 v16, s27, v23
	s_delay_alu instid0(VALU_DEP_1)
	v_cmpx_ne_u64_e32 0, v[15:16]
	s_xor_b32 s39, exec_lo, s0
	s_cbranch_execz .LBB104_41
; %bb.40:                               ;   in Loop: Header=BB104_39 Depth=2
	v_cvt_f32_u32_e32 v16, s26
	v_cvt_f32_u32_e32 v24, s27
	s_sub_u32 s0, 0, s26
	s_subb_u32 s40, 0, s27
	s_delay_alu instid0(VALU_DEP_1) | instskip(NEXT) | instid1(VALU_DEP_1)
	v_fmac_f32_e32 v16, 0x4f800000, v24
	v_rcp_f32_e32 v16, v16
	s_waitcnt_depctr 0xfff
	v_mul_f32_e32 v16, 0x5f7ffffc, v16
	s_delay_alu instid0(VALU_DEP_1) | instskip(NEXT) | instid1(VALU_DEP_1)
	v_mul_f32_e32 v24, 0x2f800000, v16
	v_trunc_f32_e32 v24, v24
	s_delay_alu instid0(VALU_DEP_1) | instskip(SKIP_1) | instid1(VALU_DEP_2)
	v_fmac_f32_e32 v16, 0xcf800000, v24
	v_cvt_u32_f32_e32 v24, v24
	v_cvt_u32_f32_e32 v16, v16
	s_delay_alu instid0(VALU_DEP_2) | instskip(NEXT) | instid1(VALU_DEP_2)
	v_mul_lo_u32 v25, s0, v24
	v_mul_hi_u32 v26, s0, v16
	v_mul_lo_u32 v27, s40, v16
	s_delay_alu instid0(VALU_DEP_2) | instskip(SKIP_1) | instid1(VALU_DEP_2)
	v_add_nc_u32_e32 v25, v26, v25
	v_mul_lo_u32 v26, s0, v16
	v_add_nc_u32_e32 v25, v25, v27
	s_delay_alu instid0(VALU_DEP_2) | instskip(NEXT) | instid1(VALU_DEP_2)
	v_mul_hi_u32 v27, v16, v26
	v_mul_lo_u32 v51, v16, v25
	v_mul_hi_u32 v54, v16, v25
	v_mul_hi_u32 v55, v24, v26
	v_mul_lo_u32 v26, v24, v26
	v_mul_hi_u32 v56, v24, v25
	v_mul_lo_u32 v25, v24, v25
	v_add_co_u32 v27, vcc_lo, v27, v51
	v_add_co_ci_u32_e32 v51, vcc_lo, 0, v54, vcc_lo
	s_delay_alu instid0(VALU_DEP_2) | instskip(NEXT) | instid1(VALU_DEP_2)
	v_add_co_u32 v26, vcc_lo, v27, v26
	v_add_co_ci_u32_e32 v26, vcc_lo, v51, v55, vcc_lo
	v_add_co_ci_u32_e32 v27, vcc_lo, 0, v56, vcc_lo
	s_delay_alu instid0(VALU_DEP_2) | instskip(NEXT) | instid1(VALU_DEP_2)
	v_add_co_u32 v25, vcc_lo, v26, v25
	v_add_co_ci_u32_e32 v26, vcc_lo, 0, v27, vcc_lo
	s_delay_alu instid0(VALU_DEP_2) | instskip(NEXT) | instid1(VALU_DEP_2)
	v_add_co_u32 v16, vcc_lo, v16, v25
	v_add_co_ci_u32_e32 v24, vcc_lo, v24, v26, vcc_lo
	s_delay_alu instid0(VALU_DEP_2) | instskip(SKIP_1) | instid1(VALU_DEP_3)
	v_mul_hi_u32 v25, s0, v16
	v_mul_lo_u32 v27, s40, v16
	v_mul_lo_u32 v26, s0, v24
	s_delay_alu instid0(VALU_DEP_1) | instskip(SKIP_1) | instid1(VALU_DEP_2)
	v_add_nc_u32_e32 v25, v25, v26
	v_mul_lo_u32 v26, s0, v16
	v_add_nc_u32_e32 v25, v25, v27
	s_delay_alu instid0(VALU_DEP_2) | instskip(NEXT) | instid1(VALU_DEP_2)
	v_mul_hi_u32 v27, v16, v26
	v_mul_lo_u32 v51, v16, v25
	v_mul_hi_u32 v54, v16, v25
	v_mul_hi_u32 v55, v24, v26
	v_mul_lo_u32 v26, v24, v26
	v_mul_hi_u32 v56, v24, v25
	v_mul_lo_u32 v25, v24, v25
	v_add_co_u32 v27, vcc_lo, v27, v51
	v_add_co_ci_u32_e32 v51, vcc_lo, 0, v54, vcc_lo
	s_delay_alu instid0(VALU_DEP_2) | instskip(NEXT) | instid1(VALU_DEP_2)
	v_add_co_u32 v26, vcc_lo, v27, v26
	v_add_co_ci_u32_e32 v26, vcc_lo, v51, v55, vcc_lo
	v_add_co_ci_u32_e32 v27, vcc_lo, 0, v56, vcc_lo
	s_delay_alu instid0(VALU_DEP_2) | instskip(NEXT) | instid1(VALU_DEP_2)
	v_add_co_u32 v25, vcc_lo, v26, v25
	v_add_co_ci_u32_e32 v26, vcc_lo, 0, v27, vcc_lo
	s_delay_alu instid0(VALU_DEP_2) | instskip(NEXT) | instid1(VALU_DEP_2)
	v_add_co_u32 v16, vcc_lo, v16, v25
	v_add_co_ci_u32_e32 v51, vcc_lo, v24, v26, vcc_lo
	s_delay_alu instid0(VALU_DEP_2) | instskip(SKIP_1) | instid1(VALU_DEP_3)
	v_mul_hi_u32 v56, v22, v16
	v_mad_u64_u32 v[26:27], null, v23, v16, 0
	v_mad_u64_u32 v[24:25], null, v22, v51, 0
	;; [unrolled: 1-line block ×3, first 2 shown]
	s_delay_alu instid0(VALU_DEP_2) | instskip(NEXT) | instid1(VALU_DEP_3)
	v_add_co_u32 v16, vcc_lo, v56, v24
	v_add_co_ci_u32_e32 v24, vcc_lo, 0, v25, vcc_lo
	s_delay_alu instid0(VALU_DEP_2) | instskip(NEXT) | instid1(VALU_DEP_2)
	v_add_co_u32 v16, vcc_lo, v16, v26
	v_add_co_ci_u32_e32 v16, vcc_lo, v24, v27, vcc_lo
	v_add_co_ci_u32_e32 v24, vcc_lo, 0, v55, vcc_lo
	s_delay_alu instid0(VALU_DEP_2) | instskip(NEXT) | instid1(VALU_DEP_2)
	v_add_co_u32 v16, vcc_lo, v16, v54
	v_add_co_ci_u32_e32 v26, vcc_lo, 0, v24, vcc_lo
	s_delay_alu instid0(VALU_DEP_2) | instskip(SKIP_1) | instid1(VALU_DEP_3)
	v_mul_lo_u32 v27, s27, v16
	v_mad_u64_u32 v[24:25], null, s26, v16, 0
	v_mul_lo_u32 v51, s26, v26
	s_delay_alu instid0(VALU_DEP_2) | instskip(NEXT) | instid1(VALU_DEP_2)
	v_sub_co_u32 v24, vcc_lo, v22, v24
	v_add3_u32 v25, v25, v51, v27
	s_delay_alu instid0(VALU_DEP_1) | instskip(NEXT) | instid1(VALU_DEP_1)
	v_sub_nc_u32_e32 v27, v23, v25
	v_subrev_co_ci_u32_e64 v27, s0, s27, v27, vcc_lo
	v_add_co_u32 v51, s0, v16, 2
	s_delay_alu instid0(VALU_DEP_1) | instskip(SKIP_3) | instid1(VALU_DEP_3)
	v_add_co_ci_u32_e64 v54, s0, 0, v26, s0
	v_sub_co_u32 v55, s0, v24, s26
	v_sub_co_ci_u32_e32 v25, vcc_lo, v23, v25, vcc_lo
	v_subrev_co_ci_u32_e64 v27, s0, 0, v27, s0
	v_cmp_le_u32_e32 vcc_lo, s26, v55
	s_delay_alu instid0(VALU_DEP_3) | instskip(SKIP_1) | instid1(VALU_DEP_4)
	v_cmp_eq_u32_e64 s0, s27, v25
	v_cndmask_b32_e64 v55, 0, -1, vcc_lo
	v_cmp_le_u32_e32 vcc_lo, s27, v27
	v_cndmask_b32_e64 v56, 0, -1, vcc_lo
	v_cmp_le_u32_e32 vcc_lo, s26, v24
	;; [unrolled: 2-line block ×3, first 2 shown]
	v_cndmask_b32_e64 v57, 0, -1, vcc_lo
	v_cmp_eq_u32_e32 vcc_lo, s27, v27
	s_delay_alu instid0(VALU_DEP_2) | instskip(SKIP_3) | instid1(VALU_DEP_3)
	v_cndmask_b32_e64 v24, v57, v24, s0
	v_cndmask_b32_e32 v27, v56, v55, vcc_lo
	v_add_co_u32 v55, vcc_lo, v16, 1
	v_add_co_ci_u32_e32 v56, vcc_lo, 0, v26, vcc_lo
	v_cmp_ne_u32_e32 vcc_lo, 0, v27
	s_delay_alu instid0(VALU_DEP_2) | instskip(NEXT) | instid1(VALU_DEP_4)
	v_cndmask_b32_e32 v25, v56, v54, vcc_lo
	v_cndmask_b32_e32 v27, v55, v51, vcc_lo
	v_cmp_ne_u32_e32 vcc_lo, 0, v24
	s_delay_alu instid0(VALU_DEP_2)
	v_dual_cndmask_b32 v25, v26, v25 :: v_dual_cndmask_b32 v24, v16, v27
.LBB104_41:                             ;   in Loop: Header=BB104_39 Depth=2
	s_and_not1_saveexec_b32 s0, s39
	s_cbranch_execz .LBB104_43
; %bb.42:                               ;   in Loop: Header=BB104_39 Depth=2
	v_cvt_f32_u32_e32 v16, s26
	s_sub_i32 s39, 0, s26
	s_delay_alu instid0(VALU_DEP_1) | instskip(SKIP_2) | instid1(VALU_DEP_1)
	v_rcp_iflag_f32_e32 v16, v16
	s_waitcnt_depctr 0xfff
	v_mul_f32_e32 v16, 0x4f7ffffe, v16
	v_cvt_u32_f32_e32 v16, v16
	s_delay_alu instid0(VALU_DEP_1) | instskip(NEXT) | instid1(VALU_DEP_1)
	v_mul_lo_u32 v24, s39, v16
	v_mul_hi_u32 v24, v16, v24
	s_delay_alu instid0(VALU_DEP_1) | instskip(NEXT) | instid1(VALU_DEP_1)
	v_add_nc_u32_e32 v16, v16, v24
	v_mul_hi_u32 v16, v22, v16
	s_delay_alu instid0(VALU_DEP_1) | instskip(NEXT) | instid1(VALU_DEP_1)
	v_mul_lo_u32 v24, v16, s26
	v_sub_nc_u32_e32 v24, v22, v24
	s_delay_alu instid0(VALU_DEP_1) | instskip(SKIP_1) | instid1(VALU_DEP_2)
	v_subrev_nc_u32_e32 v26, s26, v24
	v_cmp_le_u32_e32 vcc_lo, s26, v24
	v_dual_cndmask_b32 v24, v24, v26 :: v_dual_add_nc_u32 v25, 1, v16
	s_delay_alu instid0(VALU_DEP_1) | instskip(NEXT) | instid1(VALU_DEP_2)
	v_cndmask_b32_e32 v16, v16, v25, vcc_lo
	v_cmp_le_u32_e32 vcc_lo, s26, v24
	s_delay_alu instid0(VALU_DEP_2) | instskip(NEXT) | instid1(VALU_DEP_1)
	v_add_nc_u32_e32 v25, 1, v16
	v_dual_cndmask_b32 v24, v16, v25 :: v_dual_mov_b32 v25, v15
.LBB104_43:                             ;   in Loop: Header=BB104_39 Depth=2
	s_or_b32 exec_lo, exec_lo, s0
	s_load_b64 s[40:41], s[24:25], 0xc8
	s_delay_alu instid0(VALU_DEP_1) | instskip(NEXT) | instid1(VALU_DEP_2)
	v_mul_lo_u32 v16, v25, s26
	v_mul_lo_u32 v51, v24, s27
	v_mad_u64_u32 v[26:27], null, v24, s26, 0
	s_add_i32 s38, s38, -1
	s_add_u32 s24, s24, -8
	s_addc_u32 s25, s25, -1
	s_cmp_gt_u32 s38, 2
	s_delay_alu instid0(VALU_DEP_1) | instskip(NEXT) | instid1(VALU_DEP_2)
	v_add3_u32 v16, v27, v51, v16
	v_sub_co_u32 v26, vcc_lo, v22, v26
	s_delay_alu instid0(VALU_DEP_2) | instskip(SKIP_1) | instid1(VALU_DEP_2)
	v_sub_co_ci_u32_e32 v16, vcc_lo, v23, v16, vcc_lo
	s_waitcnt lgkmcnt(0)
	v_mul_lo_u32 v27, s41, v26
	s_delay_alu instid0(VALU_DEP_2) | instskip(SKIP_1) | instid1(VALU_DEP_1)
	v_mul_lo_u32 v16, s40, v16
	v_mad_u64_u32 v[22:23], null, s40, v26, v[7:8]
	v_add3_u32 v8, v27, v23, v16
	s_delay_alu instid0(VALU_DEP_2)
	v_mov_b32_e32 v7, v22
	s_cbranch_scc0 .LBB104_45
; %bb.44:                               ;   in Loop: Header=BB104_39 Depth=2
	v_dual_mov_b32 v22, v24 :: v_dual_mov_b32 v23, v25
	s_branch .LBB104_39
.LBB104_45:                             ;   in Loop: Header=BB104_9 Depth=1
	v_mul_lo_u32 v16, s15, v24
	v_mul_lo_u32 v25, s14, v25
	v_mad_u64_u32 v[22:23], null, s14, v24, 0
	v_lshlrev_b64 v[7:8], 1, v[7:8]
	s_delay_alu instid0(VALU_DEP_2) | instskip(NEXT) | instid1(VALU_DEP_1)
	v_add3_u32 v23, v23, v25, v16
	v_lshlrev_b64 v[22:23], 1, v[22:23]
	s_delay_alu instid0(VALU_DEP_1) | instskip(NEXT) | instid1(VALU_DEP_2)
	v_add_co_u32 v16, vcc_lo, s16, v22
	v_add_co_ci_u32_e32 v22, vcc_lo, s17, v23, vcc_lo
	s_delay_alu instid0(VALU_DEP_2) | instskip(NEXT) | instid1(VALU_DEP_2)
	v_add_co_u32 v7, vcc_lo, v16, v7
	v_add_co_ci_u32_e32 v8, vcc_lo, v22, v8, vcc_lo
	global_load_u16 v51, v[7:8], off
.LBB104_46:                             ;   in Loop: Header=BB104_9 Depth=1
	s_or_b32 exec_lo, exec_lo, s4
	v_add_co_u32 v7, vcc_lo, v17, s36
	v_add_co_ci_u32_e32 v8, vcc_lo, 0, v18, vcc_lo
	s_delay_alu instid0(VALU_DEP_1) | instskip(NEXT) | instid1(VALU_DEP_1)
	v_cmp_gt_u64_e64 s0, s[6:7], v[7:8]
	s_and_saveexec_b32 s38, s0
	s_cbranch_execnz .LBB104_51
; %bb.47:                               ;   in Loop: Header=BB104_9 Depth=1
	s_or_b32 exec_lo, exec_lo, s38
	s_and_saveexec_b32 s4, s3
	s_cbranch_execnz .LBB104_59
.LBB104_48:                             ;   in Loop: Header=BB104_9 Depth=1
	s_or_b32 exec_lo, exec_lo, s4
	s_and_saveexec_b32 s3, s2
	s_cbranch_execnz .LBB104_67
.LBB104_49:                             ;   in Loop: Header=BB104_9 Depth=1
	s_or_b32 exec_lo, exec_lo, s3
	s_and_saveexec_b32 s4, s1
	s_cbranch_execnz .LBB104_69
.LBB104_50:                             ;   in Loop: Header=BB104_9 Depth=1
	s_or_b32 exec_lo, exec_lo, s4
	s_and_saveexec_b32 s1, s0
	s_cbranch_execz .LBB104_8
	s_branch .LBB104_71
.LBB104_51:                             ;   in Loop: Header=BB104_9 Depth=1
	v_dual_mov_b32 v22, 0 :: v_dual_mov_b32 v25, v8
	v_dual_mov_b32 v23, 0 :: v_dual_mov_b32 v24, v7
	;; [unrolled: 1-line block ×3, first 2 shown]
	s_and_not1_b32 vcc_lo, exec_lo, s31
	s_mov_b64 s[24:25], s[20:21]
	s_mov_b32 s39, s35
	s_cbranch_vccnz .LBB104_58
.LBB104_52:                             ;   Parent Loop BB104_9 Depth=1
                                        ; =>  This Inner Loop Header: Depth=2
	s_load_b64 s[26:27], s[24:25], 0x0
                                        ; implicit-def: $vgpr26_vgpr27
	s_mov_b32 s4, exec_lo
	s_waitcnt lgkmcnt(0)
	v_or_b32_e32 v16, s27, v25
	s_delay_alu instid0(VALU_DEP_1)
	v_cmpx_ne_u64_e32 0, v[15:16]
	s_xor_b32 s40, exec_lo, s4
	s_cbranch_execz .LBB104_54
; %bb.53:                               ;   in Loop: Header=BB104_52 Depth=2
	v_cvt_f32_u32_e32 v16, s26
	v_cvt_f32_u32_e32 v26, s27
	s_sub_u32 s4, 0, s26
	s_subb_u32 s41, 0, s27
	s_delay_alu instid0(VALU_DEP_1) | instskip(NEXT) | instid1(VALU_DEP_1)
	v_fmac_f32_e32 v16, 0x4f800000, v26
	v_rcp_f32_e32 v16, v16
	s_waitcnt_depctr 0xfff
	v_mul_f32_e32 v16, 0x5f7ffffc, v16
	s_delay_alu instid0(VALU_DEP_1) | instskip(NEXT) | instid1(VALU_DEP_1)
	v_mul_f32_e32 v26, 0x2f800000, v16
	v_trunc_f32_e32 v26, v26
	s_delay_alu instid0(VALU_DEP_1) | instskip(SKIP_1) | instid1(VALU_DEP_2)
	v_fmac_f32_e32 v16, 0xcf800000, v26
	v_cvt_u32_f32_e32 v26, v26
	v_cvt_u32_f32_e32 v16, v16
	s_delay_alu instid0(VALU_DEP_2) | instskip(NEXT) | instid1(VALU_DEP_2)
	v_mul_lo_u32 v27, s4, v26
	v_mul_hi_u32 v50, s4, v16
	v_mul_lo_u32 v54, s41, v16
	s_delay_alu instid0(VALU_DEP_2) | instskip(SKIP_1) | instid1(VALU_DEP_2)
	v_add_nc_u32_e32 v27, v50, v27
	v_mul_lo_u32 v50, s4, v16
	v_add_nc_u32_e32 v27, v27, v54
	s_delay_alu instid0(VALU_DEP_2) | instskip(NEXT) | instid1(VALU_DEP_2)
	v_mul_hi_u32 v54, v16, v50
	v_mul_lo_u32 v55, v16, v27
	v_mul_hi_u32 v56, v16, v27
	v_mul_hi_u32 v57, v26, v50
	v_mul_lo_u32 v50, v26, v50
	v_mul_hi_u32 v58, v26, v27
	v_mul_lo_u32 v27, v26, v27
	v_add_co_u32 v54, vcc_lo, v54, v55
	v_add_co_ci_u32_e32 v55, vcc_lo, 0, v56, vcc_lo
	s_delay_alu instid0(VALU_DEP_2) | instskip(NEXT) | instid1(VALU_DEP_2)
	v_add_co_u32 v50, vcc_lo, v54, v50
	v_add_co_ci_u32_e32 v50, vcc_lo, v55, v57, vcc_lo
	v_add_co_ci_u32_e32 v54, vcc_lo, 0, v58, vcc_lo
	s_delay_alu instid0(VALU_DEP_2) | instskip(NEXT) | instid1(VALU_DEP_2)
	v_add_co_u32 v27, vcc_lo, v50, v27
	v_add_co_ci_u32_e32 v50, vcc_lo, 0, v54, vcc_lo
	s_delay_alu instid0(VALU_DEP_2) | instskip(NEXT) | instid1(VALU_DEP_2)
	v_add_co_u32 v16, vcc_lo, v16, v27
	v_add_co_ci_u32_e32 v26, vcc_lo, v26, v50, vcc_lo
	s_delay_alu instid0(VALU_DEP_2) | instskip(SKIP_1) | instid1(VALU_DEP_3)
	v_mul_hi_u32 v27, s4, v16
	v_mul_lo_u32 v54, s41, v16
	v_mul_lo_u32 v50, s4, v26
	s_delay_alu instid0(VALU_DEP_1) | instskip(SKIP_1) | instid1(VALU_DEP_2)
	v_add_nc_u32_e32 v27, v27, v50
	v_mul_lo_u32 v50, s4, v16
	v_add_nc_u32_e32 v27, v27, v54
	s_delay_alu instid0(VALU_DEP_2) | instskip(NEXT) | instid1(VALU_DEP_2)
	v_mul_hi_u32 v54, v16, v50
	v_mul_lo_u32 v55, v16, v27
	v_mul_hi_u32 v56, v16, v27
	v_mul_hi_u32 v57, v26, v50
	v_mul_lo_u32 v50, v26, v50
	v_mul_hi_u32 v58, v26, v27
	v_mul_lo_u32 v27, v26, v27
	v_add_co_u32 v54, vcc_lo, v54, v55
	v_add_co_ci_u32_e32 v55, vcc_lo, 0, v56, vcc_lo
	s_delay_alu instid0(VALU_DEP_2) | instskip(NEXT) | instid1(VALU_DEP_2)
	v_add_co_u32 v50, vcc_lo, v54, v50
	v_add_co_ci_u32_e32 v50, vcc_lo, v55, v57, vcc_lo
	v_add_co_ci_u32_e32 v54, vcc_lo, 0, v58, vcc_lo
	s_delay_alu instid0(VALU_DEP_2) | instskip(NEXT) | instid1(VALU_DEP_2)
	v_add_co_u32 v27, vcc_lo, v50, v27
	v_add_co_ci_u32_e32 v50, vcc_lo, 0, v54, vcc_lo
	s_delay_alu instid0(VALU_DEP_2) | instskip(NEXT) | instid1(VALU_DEP_2)
	v_add_co_u32 v16, vcc_lo, v16, v27
	v_add_co_ci_u32_e32 v50, vcc_lo, v26, v50, vcc_lo
	s_delay_alu instid0(VALU_DEP_2) | instskip(SKIP_1) | instid1(VALU_DEP_3)
	v_mul_hi_u32 v58, v24, v16
	v_mad_u64_u32 v[54:55], null, v25, v16, 0
	v_mad_u64_u32 v[26:27], null, v24, v50, 0
	;; [unrolled: 1-line block ×3, first 2 shown]
	s_delay_alu instid0(VALU_DEP_2) | instskip(NEXT) | instid1(VALU_DEP_3)
	v_add_co_u32 v16, vcc_lo, v58, v26
	v_add_co_ci_u32_e32 v26, vcc_lo, 0, v27, vcc_lo
	s_delay_alu instid0(VALU_DEP_2) | instskip(NEXT) | instid1(VALU_DEP_2)
	v_add_co_u32 v16, vcc_lo, v16, v54
	v_add_co_ci_u32_e32 v16, vcc_lo, v26, v55, vcc_lo
	v_add_co_ci_u32_e32 v26, vcc_lo, 0, v57, vcc_lo
	s_delay_alu instid0(VALU_DEP_2) | instskip(NEXT) | instid1(VALU_DEP_2)
	v_add_co_u32 v16, vcc_lo, v16, v56
	v_add_co_ci_u32_e32 v50, vcc_lo, 0, v26, vcc_lo
	s_delay_alu instid0(VALU_DEP_2) | instskip(SKIP_1) | instid1(VALU_DEP_3)
	v_mul_lo_u32 v54, s27, v16
	v_mad_u64_u32 v[26:27], null, s26, v16, 0
	v_mul_lo_u32 v55, s26, v50
	s_delay_alu instid0(VALU_DEP_2) | instskip(NEXT) | instid1(VALU_DEP_2)
	v_sub_co_u32 v26, vcc_lo, v24, v26
	v_add3_u32 v27, v27, v55, v54
	s_delay_alu instid0(VALU_DEP_1) | instskip(NEXT) | instid1(VALU_DEP_1)
	v_sub_nc_u32_e32 v54, v25, v27
	v_subrev_co_ci_u32_e64 v54, s4, s27, v54, vcc_lo
	v_add_co_u32 v55, s4, v16, 2
	s_delay_alu instid0(VALU_DEP_1) | instskip(SKIP_3) | instid1(VALU_DEP_3)
	v_add_co_ci_u32_e64 v56, s4, 0, v50, s4
	v_sub_co_u32 v57, s4, v26, s26
	v_sub_co_ci_u32_e32 v27, vcc_lo, v25, v27, vcc_lo
	v_subrev_co_ci_u32_e64 v54, s4, 0, v54, s4
	v_cmp_le_u32_e32 vcc_lo, s26, v57
	s_delay_alu instid0(VALU_DEP_3) | instskip(SKIP_1) | instid1(VALU_DEP_4)
	v_cmp_eq_u32_e64 s4, s27, v27
	v_cndmask_b32_e64 v57, 0, -1, vcc_lo
	v_cmp_le_u32_e32 vcc_lo, s27, v54
	v_cndmask_b32_e64 v58, 0, -1, vcc_lo
	v_cmp_le_u32_e32 vcc_lo, s26, v26
	;; [unrolled: 2-line block ×3, first 2 shown]
	v_cndmask_b32_e64 v59, 0, -1, vcc_lo
	v_cmp_eq_u32_e32 vcc_lo, s27, v54
	s_delay_alu instid0(VALU_DEP_2) | instskip(SKIP_3) | instid1(VALU_DEP_3)
	v_cndmask_b32_e64 v26, v59, v26, s4
	v_cndmask_b32_e32 v54, v58, v57, vcc_lo
	v_add_co_u32 v57, vcc_lo, v16, 1
	v_add_co_ci_u32_e32 v58, vcc_lo, 0, v50, vcc_lo
	v_cmp_ne_u32_e32 vcc_lo, 0, v54
	s_delay_alu instid0(VALU_DEP_2) | instskip(SKIP_1) | instid1(VALU_DEP_2)
	v_dual_cndmask_b32 v27, v58, v56 :: v_dual_cndmask_b32 v54, v57, v55
	v_cmp_ne_u32_e32 vcc_lo, 0, v26
	v_dual_cndmask_b32 v27, v50, v27 :: v_dual_cndmask_b32 v26, v16, v54
.LBB104_54:                             ;   in Loop: Header=BB104_52 Depth=2
	s_and_not1_saveexec_b32 s4, s40
	s_cbranch_execz .LBB104_56
; %bb.55:                               ;   in Loop: Header=BB104_52 Depth=2
	v_cvt_f32_u32_e32 v16, s26
	s_sub_i32 s40, 0, s26
	s_delay_alu instid0(VALU_DEP_1) | instskip(SKIP_2) | instid1(VALU_DEP_1)
	v_rcp_iflag_f32_e32 v16, v16
	s_waitcnt_depctr 0xfff
	v_mul_f32_e32 v16, 0x4f7ffffe, v16
	v_cvt_u32_f32_e32 v16, v16
	s_delay_alu instid0(VALU_DEP_1) | instskip(NEXT) | instid1(VALU_DEP_1)
	v_mul_lo_u32 v26, s40, v16
	v_mul_hi_u32 v26, v16, v26
	s_delay_alu instid0(VALU_DEP_1) | instskip(NEXT) | instid1(VALU_DEP_1)
	v_add_nc_u32_e32 v16, v16, v26
	v_mul_hi_u32 v16, v24, v16
	s_delay_alu instid0(VALU_DEP_1) | instskip(NEXT) | instid1(VALU_DEP_1)
	v_mul_lo_u32 v26, v16, s26
	v_sub_nc_u32_e32 v26, v24, v26
	s_delay_alu instid0(VALU_DEP_1) | instskip(SKIP_1) | instid1(VALU_DEP_2)
	v_subrev_nc_u32_e32 v50, s26, v26
	v_cmp_le_u32_e32 vcc_lo, s26, v26
	v_dual_cndmask_b32 v26, v26, v50 :: v_dual_add_nc_u32 v27, 1, v16
	s_delay_alu instid0(VALU_DEP_1) | instskip(NEXT) | instid1(VALU_DEP_2)
	v_cndmask_b32_e32 v16, v16, v27, vcc_lo
	v_cmp_le_u32_e32 vcc_lo, s26, v26
	s_delay_alu instid0(VALU_DEP_2) | instskip(NEXT) | instid1(VALU_DEP_1)
	v_add_nc_u32_e32 v27, 1, v16
	v_dual_cndmask_b32 v26, v16, v27 :: v_dual_mov_b32 v27, v15
.LBB104_56:                             ;   in Loop: Header=BB104_52 Depth=2
	s_or_b32 exec_lo, exec_lo, s4
	s_load_b64 s[40:41], s[24:25], 0xc8
	s_delay_alu instid0(VALU_DEP_1) | instskip(NEXT) | instid1(VALU_DEP_2)
	v_mul_lo_u32 v16, v27, s26
	v_mul_lo_u32 v50, v26, s27
	v_mad_u64_u32 v[54:55], null, v26, s26, 0
	s_add_i32 s39, s39, -1
	s_add_u32 s24, s24, -8
	s_addc_u32 s25, s25, -1
	s_cmp_gt_u32 s39, 2
	s_delay_alu instid0(VALU_DEP_1) | instskip(NEXT) | instid1(VALU_DEP_2)
	v_add3_u32 v16, v55, v50, v16
	v_sub_co_u32 v50, vcc_lo, v24, v54
	s_delay_alu instid0(VALU_DEP_2) | instskip(SKIP_1) | instid1(VALU_DEP_2)
	v_sub_co_ci_u32_e32 v16, vcc_lo, v25, v16, vcc_lo
	s_waitcnt lgkmcnt(0)
	v_mul_lo_u32 v54, s41, v50
	s_delay_alu instid0(VALU_DEP_2) | instskip(SKIP_1) | instid1(VALU_DEP_1)
	v_mul_lo_u32 v16, s40, v16
	v_mad_u64_u32 v[24:25], null, s40, v50, v[22:23]
	v_add3_u32 v23, v54, v25, v16
	s_delay_alu instid0(VALU_DEP_2)
	v_mov_b32_e32 v22, v24
	s_cbranch_scc0 .LBB104_58
; %bb.57:                               ;   in Loop: Header=BB104_52 Depth=2
	v_dual_mov_b32 v24, v26 :: v_dual_mov_b32 v25, v27
	s_branch .LBB104_52
.LBB104_58:                             ;   in Loop: Header=BB104_9 Depth=1
	v_mul_lo_u32 v16, s15, v26
	v_mul_lo_u32 v27, s14, v27
	v_mad_u64_u32 v[24:25], null, s14, v26, 0
	v_lshlrev_b64 v[22:23], 1, v[22:23]
	s_delay_alu instid0(VALU_DEP_2) | instskip(NEXT) | instid1(VALU_DEP_1)
	v_add3_u32 v25, v25, v27, v16
	v_lshlrev_b64 v[24:25], 1, v[24:25]
	s_delay_alu instid0(VALU_DEP_1) | instskip(NEXT) | instid1(VALU_DEP_2)
	v_add_co_u32 v16, vcc_lo, s16, v24
	v_add_co_ci_u32_e32 v24, vcc_lo, s17, v25, vcc_lo
	s_delay_alu instid0(VALU_DEP_2) | instskip(NEXT) | instid1(VALU_DEP_2)
	v_add_co_u32 v22, vcc_lo, v16, v22
	v_add_co_ci_u32_e32 v23, vcc_lo, v24, v23, vcc_lo
	global_load_u16 v50, v[22:23], off
	s_or_b32 exec_lo, exec_lo, s38
	s_and_saveexec_b32 s4, s3
	s_cbranch_execz .LBB104_48
.LBB104_59:                             ;   in Loop: Header=BB104_9 Depth=1
	v_dual_mov_b32 v22, 0 :: v_dual_mov_b32 v25, v18
	v_dual_mov_b32 v23, 0 :: v_dual_mov_b32 v24, v17
	;; [unrolled: 1-line block ×3, first 2 shown]
	s_and_not1_b32 vcc_lo, exec_lo, s33
	s_mov_b64 s[24:25], s[22:23]
	s_mov_b32 s38, s37
	s_cbranch_vccnz .LBB104_66
.LBB104_60:                             ;   Parent Loop BB104_9 Depth=1
                                        ; =>  This Inner Loop Header: Depth=2
	s_load_b64 s[26:27], s[24:25], 0x0
                                        ; implicit-def: $vgpr26_vgpr27
	s_mov_b32 s3, exec_lo
	s_waitcnt lgkmcnt(0)
	v_or_b32_e32 v16, s27, v25
	s_delay_alu instid0(VALU_DEP_1)
	v_cmpx_ne_u64_e32 0, v[15:16]
	s_xor_b32 s39, exec_lo, s3
	s_cbranch_execz .LBB104_62
; %bb.61:                               ;   in Loop: Header=BB104_60 Depth=2
	v_cvt_f32_u32_e32 v16, s26
	v_cvt_f32_u32_e32 v26, s27
	s_sub_u32 s3, 0, s26
	s_subb_u32 s40, 0, s27
	s_delay_alu instid0(VALU_DEP_1) | instskip(NEXT) | instid1(VALU_DEP_1)
	v_fmac_f32_e32 v16, 0x4f800000, v26
	v_rcp_f32_e32 v16, v16
	s_waitcnt_depctr 0xfff
	v_mul_f32_e32 v16, 0x5f7ffffc, v16
	s_delay_alu instid0(VALU_DEP_1) | instskip(NEXT) | instid1(VALU_DEP_1)
	v_mul_f32_e32 v26, 0x2f800000, v16
	v_trunc_f32_e32 v26, v26
	s_delay_alu instid0(VALU_DEP_1) | instskip(SKIP_1) | instid1(VALU_DEP_2)
	v_fmac_f32_e32 v16, 0xcf800000, v26
	v_cvt_u32_f32_e32 v26, v26
	v_cvt_u32_f32_e32 v16, v16
	s_delay_alu instid0(VALU_DEP_2) | instskip(NEXT) | instid1(VALU_DEP_2)
	v_mul_lo_u32 v27, s3, v26
	v_mul_hi_u32 v54, s3, v16
	v_mul_lo_u32 v55, s40, v16
	s_delay_alu instid0(VALU_DEP_2) | instskip(SKIP_1) | instid1(VALU_DEP_2)
	v_add_nc_u32_e32 v27, v54, v27
	v_mul_lo_u32 v54, s3, v16
	v_add_nc_u32_e32 v27, v27, v55
	s_delay_alu instid0(VALU_DEP_2) | instskip(NEXT) | instid1(VALU_DEP_2)
	v_mul_hi_u32 v55, v16, v54
	v_mul_lo_u32 v56, v16, v27
	v_mul_hi_u32 v57, v16, v27
	v_mul_hi_u32 v58, v26, v54
	v_mul_lo_u32 v54, v26, v54
	v_mul_hi_u32 v59, v26, v27
	v_mul_lo_u32 v27, v26, v27
	v_add_co_u32 v55, vcc_lo, v55, v56
	v_add_co_ci_u32_e32 v56, vcc_lo, 0, v57, vcc_lo
	s_delay_alu instid0(VALU_DEP_2) | instskip(NEXT) | instid1(VALU_DEP_2)
	v_add_co_u32 v54, vcc_lo, v55, v54
	v_add_co_ci_u32_e32 v54, vcc_lo, v56, v58, vcc_lo
	v_add_co_ci_u32_e32 v55, vcc_lo, 0, v59, vcc_lo
	s_delay_alu instid0(VALU_DEP_2) | instskip(NEXT) | instid1(VALU_DEP_2)
	v_add_co_u32 v27, vcc_lo, v54, v27
	v_add_co_ci_u32_e32 v54, vcc_lo, 0, v55, vcc_lo
	s_delay_alu instid0(VALU_DEP_2) | instskip(NEXT) | instid1(VALU_DEP_2)
	v_add_co_u32 v16, vcc_lo, v16, v27
	v_add_co_ci_u32_e32 v26, vcc_lo, v26, v54, vcc_lo
	s_delay_alu instid0(VALU_DEP_2) | instskip(SKIP_1) | instid1(VALU_DEP_3)
	v_mul_hi_u32 v27, s3, v16
	v_mul_lo_u32 v55, s40, v16
	v_mul_lo_u32 v54, s3, v26
	s_delay_alu instid0(VALU_DEP_1) | instskip(SKIP_1) | instid1(VALU_DEP_2)
	v_add_nc_u32_e32 v27, v27, v54
	v_mul_lo_u32 v54, s3, v16
	v_add_nc_u32_e32 v27, v27, v55
	s_delay_alu instid0(VALU_DEP_2) | instskip(NEXT) | instid1(VALU_DEP_2)
	v_mul_hi_u32 v55, v16, v54
	v_mul_lo_u32 v56, v16, v27
	v_mul_hi_u32 v57, v16, v27
	v_mul_hi_u32 v58, v26, v54
	v_mul_lo_u32 v54, v26, v54
	v_mul_hi_u32 v59, v26, v27
	v_mul_lo_u32 v27, v26, v27
	v_add_co_u32 v55, vcc_lo, v55, v56
	v_add_co_ci_u32_e32 v56, vcc_lo, 0, v57, vcc_lo
	s_delay_alu instid0(VALU_DEP_2) | instskip(NEXT) | instid1(VALU_DEP_2)
	v_add_co_u32 v54, vcc_lo, v55, v54
	v_add_co_ci_u32_e32 v54, vcc_lo, v56, v58, vcc_lo
	v_add_co_ci_u32_e32 v55, vcc_lo, 0, v59, vcc_lo
	s_delay_alu instid0(VALU_DEP_2) | instskip(NEXT) | instid1(VALU_DEP_2)
	v_add_co_u32 v27, vcc_lo, v54, v27
	v_add_co_ci_u32_e32 v54, vcc_lo, 0, v55, vcc_lo
	s_delay_alu instid0(VALU_DEP_2) | instskip(NEXT) | instid1(VALU_DEP_2)
	v_add_co_u32 v16, vcc_lo, v16, v27
	v_add_co_ci_u32_e32 v58, vcc_lo, v26, v54, vcc_lo
	s_delay_alu instid0(VALU_DEP_2) | instskip(SKIP_1) | instid1(VALU_DEP_3)
	v_mul_hi_u32 v59, v24, v16
	v_mad_u64_u32 v[54:55], null, v25, v16, 0
	v_mad_u64_u32 v[26:27], null, v24, v58, 0
	v_mad_u64_u32 v[56:57], null, v25, v58, 0
	s_delay_alu instid0(VALU_DEP_2) | instskip(NEXT) | instid1(VALU_DEP_3)
	v_add_co_u32 v16, vcc_lo, v59, v26
	v_add_co_ci_u32_e32 v26, vcc_lo, 0, v27, vcc_lo
	s_delay_alu instid0(VALU_DEP_2) | instskip(NEXT) | instid1(VALU_DEP_2)
	v_add_co_u32 v16, vcc_lo, v16, v54
	v_add_co_ci_u32_e32 v16, vcc_lo, v26, v55, vcc_lo
	v_add_co_ci_u32_e32 v26, vcc_lo, 0, v57, vcc_lo
	s_delay_alu instid0(VALU_DEP_2) | instskip(NEXT) | instid1(VALU_DEP_2)
	v_add_co_u32 v16, vcc_lo, v16, v56
	v_add_co_ci_u32_e32 v54, vcc_lo, 0, v26, vcc_lo
	s_delay_alu instid0(VALU_DEP_2) | instskip(SKIP_1) | instid1(VALU_DEP_3)
	v_mul_lo_u32 v55, s27, v16
	v_mad_u64_u32 v[26:27], null, s26, v16, 0
	v_mul_lo_u32 v56, s26, v54
	s_delay_alu instid0(VALU_DEP_2) | instskip(NEXT) | instid1(VALU_DEP_2)
	v_sub_co_u32 v26, vcc_lo, v24, v26
	v_add3_u32 v27, v27, v56, v55
	s_delay_alu instid0(VALU_DEP_1) | instskip(NEXT) | instid1(VALU_DEP_1)
	v_sub_nc_u32_e32 v55, v25, v27
	v_subrev_co_ci_u32_e64 v55, s3, s27, v55, vcc_lo
	v_add_co_u32 v56, s3, v16, 2
	s_delay_alu instid0(VALU_DEP_1) | instskip(SKIP_3) | instid1(VALU_DEP_3)
	v_add_co_ci_u32_e64 v57, s3, 0, v54, s3
	v_sub_co_u32 v58, s3, v26, s26
	v_sub_co_ci_u32_e32 v27, vcc_lo, v25, v27, vcc_lo
	v_subrev_co_ci_u32_e64 v55, s3, 0, v55, s3
	v_cmp_le_u32_e32 vcc_lo, s26, v58
	s_delay_alu instid0(VALU_DEP_3) | instskip(SKIP_1) | instid1(VALU_DEP_4)
	v_cmp_eq_u32_e64 s3, s27, v27
	v_cndmask_b32_e64 v58, 0, -1, vcc_lo
	v_cmp_le_u32_e32 vcc_lo, s27, v55
	v_cndmask_b32_e64 v59, 0, -1, vcc_lo
	v_cmp_le_u32_e32 vcc_lo, s26, v26
	v_cndmask_b32_e64 v26, 0, -1, vcc_lo
	v_cmp_le_u32_e32 vcc_lo, s27, v27
	v_cndmask_b32_e64 v60, 0, -1, vcc_lo
	v_cmp_eq_u32_e32 vcc_lo, s27, v55
	s_delay_alu instid0(VALU_DEP_2) | instskip(SKIP_3) | instid1(VALU_DEP_3)
	v_cndmask_b32_e64 v26, v60, v26, s3
	v_cndmask_b32_e32 v55, v59, v58, vcc_lo
	v_add_co_u32 v58, vcc_lo, v16, 1
	v_add_co_ci_u32_e32 v59, vcc_lo, 0, v54, vcc_lo
	v_cmp_ne_u32_e32 vcc_lo, 0, v55
	s_delay_alu instid0(VALU_DEP_3) | instskip(NEXT) | instid1(VALU_DEP_3)
	v_cndmask_b32_e32 v55, v58, v56, vcc_lo
	v_cndmask_b32_e32 v27, v59, v57, vcc_lo
	v_cmp_ne_u32_e32 vcc_lo, 0, v26
	s_delay_alu instid0(VALU_DEP_3) | instskip(NEXT) | instid1(VALU_DEP_3)
	v_cndmask_b32_e32 v26, v16, v55, vcc_lo
	v_cndmask_b32_e32 v27, v54, v27, vcc_lo
.LBB104_62:                             ;   in Loop: Header=BB104_60 Depth=2
	s_and_not1_saveexec_b32 s3, s39
	s_cbranch_execz .LBB104_64
; %bb.63:                               ;   in Loop: Header=BB104_60 Depth=2
	v_cvt_f32_u32_e32 v16, s26
	s_sub_i32 s39, 0, s26
	s_delay_alu instid0(VALU_DEP_1) | instskip(SKIP_2) | instid1(VALU_DEP_1)
	v_rcp_iflag_f32_e32 v16, v16
	s_waitcnt_depctr 0xfff
	v_mul_f32_e32 v16, 0x4f7ffffe, v16
	v_cvt_u32_f32_e32 v16, v16
	s_delay_alu instid0(VALU_DEP_1) | instskip(NEXT) | instid1(VALU_DEP_1)
	v_mul_lo_u32 v26, s39, v16
	v_mul_hi_u32 v26, v16, v26
	s_delay_alu instid0(VALU_DEP_1) | instskip(NEXT) | instid1(VALU_DEP_1)
	v_add_nc_u32_e32 v16, v16, v26
	v_mul_hi_u32 v16, v24, v16
	s_delay_alu instid0(VALU_DEP_1) | instskip(NEXT) | instid1(VALU_DEP_1)
	v_mul_lo_u32 v26, v16, s26
	v_sub_nc_u32_e32 v26, v24, v26
	s_delay_alu instid0(VALU_DEP_1) | instskip(SKIP_1) | instid1(VALU_DEP_2)
	v_subrev_nc_u32_e32 v54, s26, v26
	v_cmp_le_u32_e32 vcc_lo, s26, v26
	v_dual_cndmask_b32 v26, v26, v54 :: v_dual_add_nc_u32 v27, 1, v16
	s_delay_alu instid0(VALU_DEP_1) | instskip(NEXT) | instid1(VALU_DEP_2)
	v_cndmask_b32_e32 v16, v16, v27, vcc_lo
	v_cmp_le_u32_e32 vcc_lo, s26, v26
	s_delay_alu instid0(VALU_DEP_2) | instskip(NEXT) | instid1(VALU_DEP_1)
	v_add_nc_u32_e32 v27, 1, v16
	v_dual_cndmask_b32 v26, v16, v27 :: v_dual_mov_b32 v27, v15
.LBB104_64:                             ;   in Loop: Header=BB104_60 Depth=2
	s_or_b32 exec_lo, exec_lo, s3
	s_load_b64 s[40:41], s[24:25], 0xc8
	s_delay_alu instid0(VALU_DEP_1) | instskip(NEXT) | instid1(VALU_DEP_2)
	v_mul_lo_u32 v16, v27, s26
	v_mul_lo_u32 v56, v26, s27
	v_mad_u64_u32 v[54:55], null, v26, s26, 0
	s_add_i32 s38, s38, -1
	s_add_u32 s24, s24, -8
	s_addc_u32 s25, s25, -1
	s_cmp_gt_u32 s38, 2
	s_delay_alu instid0(VALU_DEP_1) | instskip(NEXT) | instid1(VALU_DEP_2)
	v_add3_u32 v16, v55, v56, v16
	v_sub_co_u32 v54, vcc_lo, v24, v54
	s_delay_alu instid0(VALU_DEP_2) | instskip(SKIP_1) | instid1(VALU_DEP_2)
	v_sub_co_ci_u32_e32 v16, vcc_lo, v25, v16, vcc_lo
	s_waitcnt lgkmcnt(0)
	v_mul_lo_u32 v55, s41, v54
	s_delay_alu instid0(VALU_DEP_2) | instskip(SKIP_1) | instid1(VALU_DEP_1)
	v_mul_lo_u32 v16, s40, v16
	v_mad_u64_u32 v[24:25], null, s40, v54, v[22:23]
	v_add3_u32 v23, v55, v25, v16
	s_delay_alu instid0(VALU_DEP_2)
	v_mov_b32_e32 v22, v24
	s_cbranch_scc0 .LBB104_66
; %bb.65:                               ;   in Loop: Header=BB104_60 Depth=2
	v_dual_mov_b32 v24, v26 :: v_dual_mov_b32 v25, v27
	s_branch .LBB104_60
.LBB104_66:                             ;   in Loop: Header=BB104_9 Depth=1
	v_cvt_f32_u32_e32 v0, v0
	s_delay_alu instid0(VALU_DEP_2) | instskip(SKIP_2) | instid1(VALU_DEP_4)
	v_mad_u64_u32 v[24:25], null, s18, v26, v[22:23]
	v_mul_lo_u32 v16, s18, v27
	v_mul_lo_u32 v22, s19, v26
	v_fmaak_f32 v0, 0x2f800000, v0, 0x2f800000
	s_delay_alu instid0(VALU_DEP_1) | instskip(NEXT) | instid1(VALU_DEP_3)
	v_cmp_gt_f32_e32 vcc_lo, s30, v0
	v_add3_u32 v25, v22, v25, v16
	s_waitcnt vmcnt(0)
	v_cvt_f32_f16_e32 v16, v53
	v_cndmask_b32_e64 v0, 0, 1.0, vcc_lo
	s_delay_alu instid0(VALU_DEP_3) | instskip(SKIP_1) | instid1(VALU_DEP_3)
	v_lshlrev_b64 v[22:23], 1, v[24:25]
	v_add_co_u32 v24, s3, s10, v24
	v_mul_f32_e32 v0, v0, v16
	v_add_co_ci_u32_e64 v25, s3, s11, v25, s3
	s_delay_alu instid0(VALU_DEP_4) | instskip(NEXT) | instid1(VALU_DEP_1)
	v_add_co_u32 v22, s3, s12, v22
	v_add_co_ci_u32_e64 v23, s3, s13, v23, s3
	s_delay_alu instid0(VALU_DEP_4)
	v_fma_mixlo_f16 v0, v49, v0, 0
	v_cndmask_b32_e64 v16, 0, 1, vcc_lo
	global_store_b16 v[22:23], v0, off
	global_store_b8 v[24:25], v16, off
	s_or_b32 exec_lo, exec_lo, s4
	s_and_saveexec_b32 s3, s2
	s_cbranch_execz .LBB104_49
.LBB104_67:                             ;   in Loop: Header=BB104_9 Depth=1
	v_mov_b32_e32 v22, 0
	v_mov_b32_e32 v23, 0
	s_and_not1_b32 vcc_lo, exec_lo, s33
	s_mov_b64 s[24:25], s[22:23]
	s_mov_b32 s4, s37
	s_cbranch_vccz .LBB104_73
.LBB104_68:                             ;   in Loop: Header=BB104_9 Depth=1
	s_delay_alu instid0(VALU_DEP_1) | instskip(NEXT) | instid1(VALU_DEP_2)
	v_mad_u64_u32 v[24:25], null, s18, v20, v[22:23]
	v_mul_lo_u32 v0, s18, v21
	v_mul_lo_u32 v16, s19, v20
	v_cvt_f32_u32_e32 v1, v1
	s_delay_alu instid0(VALU_DEP_4) | instskip(NEXT) | instid1(VALU_DEP_3)
	v_add_co_u32 v20, s2, s10, v24
	v_add3_u32 v25, v16, v25, v0
	s_waitcnt vmcnt(0)
	v_cvt_f32_f16_e32 v16, v52
	v_fmaak_f32 v1, 0x2f800000, v1, 0x2f800000
	s_delay_alu instid0(VALU_DEP_3) | instskip(NEXT) | instid1(VALU_DEP_2)
	v_add_co_ci_u32_e64 v21, s2, s11, v25, s2
	v_cmp_gt_f32_e32 vcc_lo, s30, v1
	v_lshlrev_b64 v[0:1], 1, v[24:25]
	v_cndmask_b32_e64 v22, 0, 1.0, vcc_lo
	s_delay_alu instid0(VALU_DEP_2) | instskip(NEXT) | instid1(VALU_DEP_1)
	v_add_co_u32 v0, s2, s12, v0
	v_add_co_ci_u32_e64 v1, s2, s13, v1, s2
	s_delay_alu instid0(VALU_DEP_3) | instskip(SKIP_1) | instid1(VALU_DEP_2)
	v_mul_f32_e32 v16, v22, v16
	v_cndmask_b32_e64 v22, 0, 1, vcc_lo
	v_fma_mixlo_f16 v16, v49, v16, 0
	global_store_b16 v[0:1], v16, off
	global_store_b8 v[20:21], v22, off
	s_or_b32 exec_lo, exec_lo, s3
	s_and_saveexec_b32 s4, s1
	s_cbranch_execz .LBB104_50
.LBB104_69:                             ;   in Loop: Header=BB104_9 Depth=1
	v_mov_b32_e32 v0, 0
	v_mov_b32_e32 v1, 0
	s_and_not1_b32 vcc_lo, exec_lo, s33
	s_mov_b64 s[2:3], s[22:23]
	s_mov_b32 s26, s37
	s_cbranch_vccz .LBB104_78
.LBB104_70:                             ;   in Loop: Header=BB104_9 Depth=1
	v_cvt_f32_u32_e32 v2, v2
	s_delay_alu instid0(VALU_DEP_3) | instskip(NEXT) | instid1(VALU_DEP_3)
	v_mad_u64_u32 v[20:21], null, s18, v9, v[0:1]
	v_mul_lo_u32 v0, s18, v10
	v_mul_lo_u32 v1, s19, v9
	s_delay_alu instid0(VALU_DEP_4) | instskip(SKIP_3) | instid1(VALU_DEP_3)
	v_fmaak_f32 v2, 0x2f800000, v2, 0x2f800000
	s_waitcnt vmcnt(0)
	v_cvt_f32_f16_e32 v16, v51
	v_add_co_u32 v9, s1, s10, v20
	v_cmp_gt_f32_e32 vcc_lo, s30, v2
	v_add3_u32 v21, v1, v21, v0
	v_cndmask_b32_e64 v2, 0, 1.0, vcc_lo
	s_delay_alu instid0(VALU_DEP_2) | instskip(SKIP_1) | instid1(VALU_DEP_3)
	v_lshlrev_b64 v[0:1], 1, v[20:21]
	v_add_co_ci_u32_e64 v10, s1, s11, v21, s1
	v_mul_f32_e32 v2, v2, v16
	v_cndmask_b32_e64 v16, 0, 1, vcc_lo
	s_delay_alu instid0(VALU_DEP_4) | instskip(NEXT) | instid1(VALU_DEP_1)
	v_add_co_u32 v0, s1, s12, v0
	v_add_co_ci_u32_e64 v1, s1, s13, v1, s1
	s_delay_alu instid0(VALU_DEP_4)
	v_fma_mixlo_f16 v2, v49, v2, 0
	global_store_b16 v[0:1], v2, off
	global_store_b8 v[9:10], v16, off
	s_or_b32 exec_lo, exec_lo, s4
	s_and_saveexec_b32 s1, s0
	s_cbranch_execz .LBB104_8
.LBB104_71:                             ;   in Loop: Header=BB104_9 Depth=1
	v_mov_b32_e32 v0, 0
	v_mov_b32_e32 v1, 0
	s_and_not1_b32 vcc_lo, exec_lo, s33
	s_mov_b64 s[2:3], s[22:23]
	s_mov_b32 s4, s37
	s_cbranch_vccz .LBB104_83
	s_branch .LBB104_7
.LBB104_72:                             ;   in Loop: Header=BB104_73 Depth=2
	s_or_b32 exec_lo, exec_lo, s2
	s_load_b64 s[38:39], s[24:25], 0xc8
	v_mul_lo_u32 v0, v25, s26
	v_mul_lo_u32 v16, v24, s27
	v_mad_u64_u32 v[26:27], null, v24, s26, 0
	s_add_i32 s4, s4, -1
	s_add_u32 s24, s24, -8
	s_addc_u32 s25, s25, -1
	s_cmp_gt_u32 s4, 2
	s_delay_alu instid0(VALU_DEP_1) | instskip(NEXT) | instid1(VALU_DEP_2)
	v_add3_u32 v0, v27, v16, v0
	v_sub_co_u32 v16, vcc_lo, v20, v26
	s_delay_alu instid0(VALU_DEP_2) | instskip(SKIP_1) | instid1(VALU_DEP_2)
	v_sub_co_ci_u32_e32 v0, vcc_lo, v21, v0, vcc_lo
	s_waitcnt lgkmcnt(0)
	v_mul_lo_u32 v26, s39, v16
	s_delay_alu instid0(VALU_DEP_2) | instskip(SKIP_1) | instid1(VALU_DEP_1)
	v_mul_lo_u32 v0, s38, v0
	v_mad_u64_u32 v[20:21], null, s38, v16, v[22:23]
	v_add3_u32 v23, v26, v21, v0
	s_delay_alu instid0(VALU_DEP_2)
	v_mov_b32_e32 v22, v20
	v_dual_mov_b32 v20, v24 :: v_dual_mov_b32 v21, v25
	s_cbranch_scc0 .LBB104_68
.LBB104_73:                             ;   Parent Loop BB104_9 Depth=1
                                        ; =>  This Inner Loop Header: Depth=2
	s_load_b64 s[26:27], s[24:25], 0x0
                                        ; implicit-def: $vgpr24_vgpr25
	s_mov_b32 s2, exec_lo
	s_waitcnt lgkmcnt(0)
	v_or_b32_e32 v16, s27, v21
	s_delay_alu instid0(VALU_DEP_1)
	v_cmpx_ne_u64_e32 0, v[15:16]
	s_xor_b32 s38, exec_lo, s2
	s_cbranch_execz .LBB104_75
; %bb.74:                               ;   in Loop: Header=BB104_73 Depth=2
	v_cvt_f32_u32_e32 v0, s26
	v_cvt_f32_u32_e32 v16, s27
	s_sub_u32 s2, 0, s26
	s_subb_u32 s39, 0, s27
	s_delay_alu instid0(VALU_DEP_1) | instskip(NEXT) | instid1(VALU_DEP_1)
	v_fmac_f32_e32 v0, 0x4f800000, v16
	v_rcp_f32_e32 v0, v0
	s_waitcnt_depctr 0xfff
	v_mul_f32_e32 v0, 0x5f7ffffc, v0
	s_delay_alu instid0(VALU_DEP_1) | instskip(NEXT) | instid1(VALU_DEP_1)
	v_mul_f32_e32 v16, 0x2f800000, v0
	v_trunc_f32_e32 v16, v16
	s_delay_alu instid0(VALU_DEP_1) | instskip(SKIP_1) | instid1(VALU_DEP_2)
	v_fmac_f32_e32 v0, 0xcf800000, v16
	v_cvt_u32_f32_e32 v16, v16
	v_cvt_u32_f32_e32 v0, v0
	s_delay_alu instid0(VALU_DEP_2) | instskip(NEXT) | instid1(VALU_DEP_2)
	v_mul_lo_u32 v24, s2, v16
	v_mul_hi_u32 v25, s2, v0
	v_mul_lo_u32 v26, s39, v0
	s_delay_alu instid0(VALU_DEP_2) | instskip(SKIP_1) | instid1(VALU_DEP_2)
	v_add_nc_u32_e32 v24, v25, v24
	v_mul_lo_u32 v25, s2, v0
	v_add_nc_u32_e32 v24, v24, v26
	s_delay_alu instid0(VALU_DEP_2) | instskip(NEXT) | instid1(VALU_DEP_2)
	v_mul_hi_u32 v26, v0, v25
	v_mul_lo_u32 v27, v0, v24
	v_mul_hi_u32 v54, v0, v24
	v_mul_hi_u32 v55, v16, v25
	v_mul_lo_u32 v25, v16, v25
	v_mul_hi_u32 v56, v16, v24
	v_mul_lo_u32 v24, v16, v24
	v_add_co_u32 v26, vcc_lo, v26, v27
	v_add_co_ci_u32_e32 v27, vcc_lo, 0, v54, vcc_lo
	s_delay_alu instid0(VALU_DEP_2) | instskip(NEXT) | instid1(VALU_DEP_2)
	v_add_co_u32 v25, vcc_lo, v26, v25
	v_add_co_ci_u32_e32 v25, vcc_lo, v27, v55, vcc_lo
	v_add_co_ci_u32_e32 v26, vcc_lo, 0, v56, vcc_lo
	s_delay_alu instid0(VALU_DEP_2) | instskip(NEXT) | instid1(VALU_DEP_2)
	v_add_co_u32 v24, vcc_lo, v25, v24
	v_add_co_ci_u32_e32 v25, vcc_lo, 0, v26, vcc_lo
	s_delay_alu instid0(VALU_DEP_2) | instskip(NEXT) | instid1(VALU_DEP_2)
	v_add_co_u32 v0, vcc_lo, v0, v24
	v_add_co_ci_u32_e32 v16, vcc_lo, v16, v25, vcc_lo
	s_delay_alu instid0(VALU_DEP_2) | instskip(SKIP_1) | instid1(VALU_DEP_3)
	v_mul_hi_u32 v24, s2, v0
	v_mul_lo_u32 v26, s39, v0
	v_mul_lo_u32 v25, s2, v16
	s_delay_alu instid0(VALU_DEP_1) | instskip(SKIP_1) | instid1(VALU_DEP_2)
	v_add_nc_u32_e32 v24, v24, v25
	v_mul_lo_u32 v25, s2, v0
	v_add_nc_u32_e32 v24, v24, v26
	s_delay_alu instid0(VALU_DEP_2) | instskip(NEXT) | instid1(VALU_DEP_2)
	v_mul_hi_u32 v26, v0, v25
	v_mul_lo_u32 v27, v0, v24
	v_mul_hi_u32 v54, v0, v24
	v_mul_hi_u32 v55, v16, v25
	v_mul_lo_u32 v25, v16, v25
	v_mul_hi_u32 v56, v16, v24
	v_mul_lo_u32 v24, v16, v24
	v_add_co_u32 v26, vcc_lo, v26, v27
	v_add_co_ci_u32_e32 v27, vcc_lo, 0, v54, vcc_lo
	s_delay_alu instid0(VALU_DEP_2) | instskip(NEXT) | instid1(VALU_DEP_2)
	v_add_co_u32 v25, vcc_lo, v26, v25
	v_add_co_ci_u32_e32 v25, vcc_lo, v27, v55, vcc_lo
	v_add_co_ci_u32_e32 v26, vcc_lo, 0, v56, vcc_lo
	s_delay_alu instid0(VALU_DEP_2) | instskip(NEXT) | instid1(VALU_DEP_2)
	v_add_co_u32 v24, vcc_lo, v25, v24
	v_add_co_ci_u32_e32 v25, vcc_lo, 0, v26, vcc_lo
	s_delay_alu instid0(VALU_DEP_2) | instskip(NEXT) | instid1(VALU_DEP_2)
	v_add_co_u32 v0, vcc_lo, v0, v24
	v_add_co_ci_u32_e32 v16, vcc_lo, v16, v25, vcc_lo
	s_delay_alu instid0(VALU_DEP_2) | instskip(SKIP_1) | instid1(VALU_DEP_3)
	v_mul_hi_u32 v56, v20, v0
	v_mad_u64_u32 v[26:27], null, v21, v0, 0
	v_mad_u64_u32 v[24:25], null, v20, v16, 0
	;; [unrolled: 1-line block ×3, first 2 shown]
	s_delay_alu instid0(VALU_DEP_2) | instskip(NEXT) | instid1(VALU_DEP_3)
	v_add_co_u32 v0, vcc_lo, v56, v24
	v_add_co_ci_u32_e32 v16, vcc_lo, 0, v25, vcc_lo
	s_delay_alu instid0(VALU_DEP_2) | instskip(NEXT) | instid1(VALU_DEP_2)
	v_add_co_u32 v0, vcc_lo, v0, v26
	v_add_co_ci_u32_e32 v0, vcc_lo, v16, v27, vcc_lo
	v_add_co_ci_u32_e32 v16, vcc_lo, 0, v55, vcc_lo
	s_delay_alu instid0(VALU_DEP_2) | instskip(NEXT) | instid1(VALU_DEP_2)
	v_add_co_u32 v0, vcc_lo, v0, v54
	v_add_co_ci_u32_e32 v16, vcc_lo, 0, v16, vcc_lo
	s_delay_alu instid0(VALU_DEP_2) | instskip(SKIP_1) | instid1(VALU_DEP_3)
	v_mul_lo_u32 v26, s27, v0
	v_mad_u64_u32 v[24:25], null, s26, v0, 0
	v_mul_lo_u32 v27, s26, v16
	s_delay_alu instid0(VALU_DEP_2) | instskip(NEXT) | instid1(VALU_DEP_2)
	v_sub_co_u32 v24, vcc_lo, v20, v24
	v_add3_u32 v25, v25, v27, v26
	s_delay_alu instid0(VALU_DEP_1) | instskip(NEXT) | instid1(VALU_DEP_1)
	v_sub_nc_u32_e32 v26, v21, v25
	v_subrev_co_ci_u32_e64 v26, s2, s27, v26, vcc_lo
	v_add_co_u32 v27, s2, v0, 2
	s_delay_alu instid0(VALU_DEP_1) | instskip(SKIP_3) | instid1(VALU_DEP_3)
	v_add_co_ci_u32_e64 v54, s2, 0, v16, s2
	v_sub_co_u32 v55, s2, v24, s26
	v_sub_co_ci_u32_e32 v25, vcc_lo, v21, v25, vcc_lo
	v_subrev_co_ci_u32_e64 v26, s2, 0, v26, s2
	v_cmp_le_u32_e32 vcc_lo, s26, v55
	s_delay_alu instid0(VALU_DEP_3) | instskip(SKIP_1) | instid1(VALU_DEP_4)
	v_cmp_eq_u32_e64 s2, s27, v25
	v_cndmask_b32_e64 v55, 0, -1, vcc_lo
	v_cmp_le_u32_e32 vcc_lo, s27, v26
	v_cndmask_b32_e64 v56, 0, -1, vcc_lo
	v_cmp_le_u32_e32 vcc_lo, s26, v24
	;; [unrolled: 2-line block ×3, first 2 shown]
	v_cndmask_b32_e64 v57, 0, -1, vcc_lo
	v_cmp_eq_u32_e32 vcc_lo, s27, v26
	s_delay_alu instid0(VALU_DEP_2) | instskip(SKIP_3) | instid1(VALU_DEP_3)
	v_cndmask_b32_e64 v24, v57, v24, s2
	v_cndmask_b32_e32 v26, v56, v55, vcc_lo
	v_add_co_u32 v55, vcc_lo, v0, 1
	v_add_co_ci_u32_e32 v56, vcc_lo, 0, v16, vcc_lo
	v_cmp_ne_u32_e32 vcc_lo, 0, v26
	s_delay_alu instid0(VALU_DEP_2) | instskip(SKIP_1) | instid1(VALU_DEP_2)
	v_dual_cndmask_b32 v25, v56, v54 :: v_dual_cndmask_b32 v26, v55, v27
	v_cmp_ne_u32_e32 vcc_lo, 0, v24
	v_cndmask_b32_e32 v25, v16, v25, vcc_lo
	s_delay_alu instid0(VALU_DEP_3)
	v_cndmask_b32_e32 v24, v0, v26, vcc_lo
.LBB104_75:                             ;   in Loop: Header=BB104_73 Depth=2
	s_and_not1_saveexec_b32 s2, s38
	s_cbranch_execz .LBB104_72
; %bb.76:                               ;   in Loop: Header=BB104_73 Depth=2
	v_cvt_f32_u32_e32 v0, s26
	s_sub_i32 s38, 0, s26
	s_delay_alu instid0(VALU_DEP_1) | instskip(SKIP_2) | instid1(VALU_DEP_1)
	v_rcp_iflag_f32_e32 v0, v0
	s_waitcnt_depctr 0xfff
	v_mul_f32_e32 v0, 0x4f7ffffe, v0
	v_cvt_u32_f32_e32 v0, v0
	s_delay_alu instid0(VALU_DEP_1) | instskip(NEXT) | instid1(VALU_DEP_1)
	v_mul_lo_u32 v16, s38, v0
	v_mul_hi_u32 v16, v0, v16
	s_delay_alu instid0(VALU_DEP_1) | instskip(NEXT) | instid1(VALU_DEP_1)
	v_add_nc_u32_e32 v0, v0, v16
	v_mul_hi_u32 v0, v20, v0
	s_delay_alu instid0(VALU_DEP_1) | instskip(SKIP_1) | instid1(VALU_DEP_2)
	v_mul_lo_u32 v16, v0, s26
	v_add_nc_u32_e32 v24, 1, v0
	v_sub_nc_u32_e32 v16, v20, v16
	s_delay_alu instid0(VALU_DEP_1) | instskip(SKIP_1) | instid1(VALU_DEP_2)
	v_subrev_nc_u32_e32 v25, s26, v16
	v_cmp_le_u32_e32 vcc_lo, s26, v16
	v_dual_cndmask_b32 v16, v16, v25 :: v_dual_mov_b32 v25, v15
	v_cndmask_b32_e32 v0, v0, v24, vcc_lo
	s_delay_alu instid0(VALU_DEP_2) | instskip(NEXT) | instid1(VALU_DEP_2)
	v_cmp_le_u32_e32 vcc_lo, s26, v16
	v_add_nc_u32_e32 v24, 1, v0
	s_delay_alu instid0(VALU_DEP_1)
	v_cndmask_b32_e32 v24, v0, v24, vcc_lo
	s_branch .LBB104_72
.LBB104_77:                             ;   in Loop: Header=BB104_78 Depth=2
	s_or_b32 exec_lo, exec_lo, s1
	s_load_b64 s[38:39], s[2:3], 0xc8
	s_delay_alu instid0(VALU_DEP_1)
	v_mul_lo_u32 v16, v21, s24
	v_mul_lo_u32 v24, v20, s25
	v_mad_u64_u32 v[22:23], null, v20, s24, 0
	s_add_i32 s26, s26, -1
	s_add_u32 s2, s2, -8
	s_addc_u32 s3, s3, -1
	s_cmp_gt_u32 s26, 2
	s_delay_alu instid0(VALU_DEP_1) | instskip(NEXT) | instid1(VALU_DEP_2)
	v_add3_u32 v16, v23, v24, v16
	v_sub_co_u32 v22, vcc_lo, v9, v22
	s_delay_alu instid0(VALU_DEP_2) | instskip(SKIP_1) | instid1(VALU_DEP_2)
	v_sub_co_ci_u32_e32 v9, vcc_lo, v10, v16, vcc_lo
	s_waitcnt lgkmcnt(0)
	v_mul_lo_u32 v23, s39, v22
	s_delay_alu instid0(VALU_DEP_2) | instskip(SKIP_1) | instid1(VALU_DEP_1)
	v_mul_lo_u32 v16, s38, v9
	v_mad_u64_u32 v[9:10], null, s38, v22, v[0:1]
	v_add3_u32 v1, v23, v10, v16
	s_delay_alu instid0(VALU_DEP_2)
	v_dual_mov_b32 v0, v9 :: v_dual_mov_b32 v9, v20
	v_mov_b32_e32 v10, v21
	s_cbranch_scc0 .LBB104_70
.LBB104_78:                             ;   Parent Loop BB104_9 Depth=1
                                        ; =>  This Inner Loop Header: Depth=2
	s_load_b64 s[24:25], s[2:3], 0x0
                                        ; implicit-def: $vgpr20_vgpr21
	s_mov_b32 s1, exec_lo
	s_waitcnt lgkmcnt(0)
	v_or_b32_e32 v16, s25, v10
	s_delay_alu instid0(VALU_DEP_1)
	v_cmpx_ne_u64_e32 0, v[15:16]
	s_xor_b32 s27, exec_lo, s1
	s_cbranch_execz .LBB104_80
; %bb.79:                               ;   in Loop: Header=BB104_78 Depth=2
	v_cvt_f32_u32_e32 v16, s24
	v_cvt_f32_u32_e32 v20, s25
	s_sub_u32 s1, 0, s24
	s_subb_u32 s38, 0, s25
	s_delay_alu instid0(VALU_DEP_1) | instskip(NEXT) | instid1(VALU_DEP_1)
	v_fmac_f32_e32 v16, 0x4f800000, v20
	v_rcp_f32_e32 v16, v16
	s_waitcnt_depctr 0xfff
	v_mul_f32_e32 v16, 0x5f7ffffc, v16
	s_delay_alu instid0(VALU_DEP_1) | instskip(NEXT) | instid1(VALU_DEP_1)
	v_mul_f32_e32 v20, 0x2f800000, v16
	v_trunc_f32_e32 v20, v20
	s_delay_alu instid0(VALU_DEP_1) | instskip(SKIP_1) | instid1(VALU_DEP_2)
	v_fmac_f32_e32 v16, 0xcf800000, v20
	v_cvt_u32_f32_e32 v20, v20
	v_cvt_u32_f32_e32 v16, v16
	s_delay_alu instid0(VALU_DEP_2) | instskip(NEXT) | instid1(VALU_DEP_2)
	v_mul_lo_u32 v21, s1, v20
	v_mul_hi_u32 v22, s1, v16
	v_mul_lo_u32 v23, s38, v16
	s_delay_alu instid0(VALU_DEP_2) | instskip(SKIP_1) | instid1(VALU_DEP_2)
	v_add_nc_u32_e32 v21, v22, v21
	v_mul_lo_u32 v22, s1, v16
	v_add_nc_u32_e32 v21, v21, v23
	s_delay_alu instid0(VALU_DEP_2) | instskip(NEXT) | instid1(VALU_DEP_2)
	v_mul_hi_u32 v23, v16, v22
	v_mul_lo_u32 v24, v16, v21
	v_mul_hi_u32 v25, v16, v21
	v_mul_hi_u32 v26, v20, v22
	v_mul_lo_u32 v22, v20, v22
	v_mul_hi_u32 v27, v20, v21
	v_mul_lo_u32 v21, v20, v21
	v_add_co_u32 v23, vcc_lo, v23, v24
	v_add_co_ci_u32_e32 v24, vcc_lo, 0, v25, vcc_lo
	s_delay_alu instid0(VALU_DEP_2) | instskip(NEXT) | instid1(VALU_DEP_2)
	v_add_co_u32 v22, vcc_lo, v23, v22
	v_add_co_ci_u32_e32 v22, vcc_lo, v24, v26, vcc_lo
	v_add_co_ci_u32_e32 v23, vcc_lo, 0, v27, vcc_lo
	s_delay_alu instid0(VALU_DEP_2) | instskip(NEXT) | instid1(VALU_DEP_2)
	v_add_co_u32 v21, vcc_lo, v22, v21
	v_add_co_ci_u32_e32 v22, vcc_lo, 0, v23, vcc_lo
	s_delay_alu instid0(VALU_DEP_2) | instskip(NEXT) | instid1(VALU_DEP_2)
	v_add_co_u32 v16, vcc_lo, v16, v21
	v_add_co_ci_u32_e32 v20, vcc_lo, v20, v22, vcc_lo
	s_delay_alu instid0(VALU_DEP_2) | instskip(SKIP_1) | instid1(VALU_DEP_3)
	v_mul_hi_u32 v21, s1, v16
	v_mul_lo_u32 v23, s38, v16
	v_mul_lo_u32 v22, s1, v20
	s_delay_alu instid0(VALU_DEP_1) | instskip(SKIP_1) | instid1(VALU_DEP_2)
	v_add_nc_u32_e32 v21, v21, v22
	v_mul_lo_u32 v22, s1, v16
	v_add_nc_u32_e32 v21, v21, v23
	s_delay_alu instid0(VALU_DEP_2) | instskip(NEXT) | instid1(VALU_DEP_2)
	v_mul_hi_u32 v23, v16, v22
	v_mul_lo_u32 v24, v16, v21
	v_mul_hi_u32 v25, v16, v21
	v_mul_hi_u32 v26, v20, v22
	v_mul_lo_u32 v22, v20, v22
	v_mul_hi_u32 v27, v20, v21
	v_mul_lo_u32 v21, v20, v21
	v_add_co_u32 v23, vcc_lo, v23, v24
	v_add_co_ci_u32_e32 v24, vcc_lo, 0, v25, vcc_lo
	s_delay_alu instid0(VALU_DEP_2) | instskip(NEXT) | instid1(VALU_DEP_2)
	v_add_co_u32 v22, vcc_lo, v23, v22
	v_add_co_ci_u32_e32 v22, vcc_lo, v24, v26, vcc_lo
	v_add_co_ci_u32_e32 v23, vcc_lo, 0, v27, vcc_lo
	s_delay_alu instid0(VALU_DEP_2) | instskip(NEXT) | instid1(VALU_DEP_2)
	v_add_co_u32 v21, vcc_lo, v22, v21
	v_add_co_ci_u32_e32 v22, vcc_lo, 0, v23, vcc_lo
	s_delay_alu instid0(VALU_DEP_2) | instskip(NEXT) | instid1(VALU_DEP_2)
	v_add_co_u32 v16, vcc_lo, v16, v21
	v_add_co_ci_u32_e32 v26, vcc_lo, v20, v22, vcc_lo
	s_delay_alu instid0(VALU_DEP_2) | instskip(SKIP_1) | instid1(VALU_DEP_3)
	v_mul_hi_u32 v27, v9, v16
	v_mad_u64_u32 v[22:23], null, v10, v16, 0
	v_mad_u64_u32 v[20:21], null, v9, v26, 0
	;; [unrolled: 1-line block ×3, first 2 shown]
	s_delay_alu instid0(VALU_DEP_2) | instskip(NEXT) | instid1(VALU_DEP_3)
	v_add_co_u32 v16, vcc_lo, v27, v20
	v_add_co_ci_u32_e32 v20, vcc_lo, 0, v21, vcc_lo
	s_delay_alu instid0(VALU_DEP_2) | instskip(NEXT) | instid1(VALU_DEP_2)
	v_add_co_u32 v16, vcc_lo, v16, v22
	v_add_co_ci_u32_e32 v16, vcc_lo, v20, v23, vcc_lo
	v_add_co_ci_u32_e32 v20, vcc_lo, 0, v25, vcc_lo
	s_delay_alu instid0(VALU_DEP_2) | instskip(NEXT) | instid1(VALU_DEP_2)
	v_add_co_u32 v16, vcc_lo, v16, v24
	v_add_co_ci_u32_e32 v22, vcc_lo, 0, v20, vcc_lo
	s_delay_alu instid0(VALU_DEP_2) | instskip(SKIP_1) | instid1(VALU_DEP_3)
	v_mul_lo_u32 v23, s25, v16
	v_mad_u64_u32 v[20:21], null, s24, v16, 0
	v_mul_lo_u32 v24, s24, v22
	s_delay_alu instid0(VALU_DEP_2) | instskip(NEXT) | instid1(VALU_DEP_2)
	v_sub_co_u32 v20, vcc_lo, v9, v20
	v_add3_u32 v21, v21, v24, v23
	s_delay_alu instid0(VALU_DEP_1) | instskip(NEXT) | instid1(VALU_DEP_1)
	v_sub_nc_u32_e32 v23, v10, v21
	v_subrev_co_ci_u32_e64 v23, s1, s25, v23, vcc_lo
	v_add_co_u32 v24, s1, v16, 2
	s_delay_alu instid0(VALU_DEP_1) | instskip(SKIP_3) | instid1(VALU_DEP_3)
	v_add_co_ci_u32_e64 v25, s1, 0, v22, s1
	v_sub_co_u32 v26, s1, v20, s24
	v_sub_co_ci_u32_e32 v21, vcc_lo, v10, v21, vcc_lo
	v_subrev_co_ci_u32_e64 v23, s1, 0, v23, s1
	v_cmp_le_u32_e32 vcc_lo, s24, v26
	s_delay_alu instid0(VALU_DEP_3) | instskip(SKIP_1) | instid1(VALU_DEP_4)
	v_cmp_eq_u32_e64 s1, s25, v21
	v_cndmask_b32_e64 v26, 0, -1, vcc_lo
	v_cmp_le_u32_e32 vcc_lo, s25, v23
	v_cndmask_b32_e64 v27, 0, -1, vcc_lo
	v_cmp_le_u32_e32 vcc_lo, s24, v20
	;; [unrolled: 2-line block ×3, first 2 shown]
	v_cndmask_b32_e64 v54, 0, -1, vcc_lo
	v_cmp_eq_u32_e32 vcc_lo, s25, v23
	s_delay_alu instid0(VALU_DEP_2) | instskip(SKIP_3) | instid1(VALU_DEP_3)
	v_cndmask_b32_e64 v20, v54, v20, s1
	v_cndmask_b32_e32 v23, v27, v26, vcc_lo
	v_add_co_u32 v26, vcc_lo, v16, 1
	v_add_co_ci_u32_e32 v27, vcc_lo, 0, v22, vcc_lo
	v_cmp_ne_u32_e32 vcc_lo, 0, v23
	s_delay_alu instid0(VALU_DEP_3) | instskip(NEXT) | instid1(VALU_DEP_3)
	v_cndmask_b32_e32 v23, v26, v24, vcc_lo
	v_cndmask_b32_e32 v21, v27, v25, vcc_lo
	v_cmp_ne_u32_e32 vcc_lo, 0, v20
	s_delay_alu instid0(VALU_DEP_2)
	v_dual_cndmask_b32 v20, v16, v23 :: v_dual_cndmask_b32 v21, v22, v21
.LBB104_80:                             ;   in Loop: Header=BB104_78 Depth=2
	s_and_not1_saveexec_b32 s1, s27
	s_cbranch_execz .LBB104_77
; %bb.81:                               ;   in Loop: Header=BB104_78 Depth=2
	v_cvt_f32_u32_e32 v16, s24
	s_sub_i32 s27, 0, s24
	s_delay_alu instid0(VALU_DEP_1) | instskip(SKIP_2) | instid1(VALU_DEP_1)
	v_rcp_iflag_f32_e32 v16, v16
	s_waitcnt_depctr 0xfff
	v_mul_f32_e32 v16, 0x4f7ffffe, v16
	v_cvt_u32_f32_e32 v16, v16
	s_delay_alu instid0(VALU_DEP_1) | instskip(NEXT) | instid1(VALU_DEP_1)
	v_mul_lo_u32 v20, s27, v16
	v_mul_hi_u32 v20, v16, v20
	s_delay_alu instid0(VALU_DEP_1) | instskip(NEXT) | instid1(VALU_DEP_1)
	v_add_nc_u32_e32 v16, v16, v20
	v_mul_hi_u32 v16, v9, v16
	s_delay_alu instid0(VALU_DEP_1) | instskip(NEXT) | instid1(VALU_DEP_1)
	v_mul_lo_u32 v20, v16, s24
	v_sub_nc_u32_e32 v20, v9, v20
	s_delay_alu instid0(VALU_DEP_1) | instskip(SKIP_1) | instid1(VALU_DEP_2)
	v_subrev_nc_u32_e32 v22, s24, v20
	v_cmp_le_u32_e32 vcc_lo, s24, v20
	v_dual_cndmask_b32 v20, v20, v22 :: v_dual_add_nc_u32 v21, 1, v16
	s_delay_alu instid0(VALU_DEP_1) | instskip(NEXT) | instid1(VALU_DEP_2)
	v_cndmask_b32_e32 v16, v16, v21, vcc_lo
	v_cmp_le_u32_e32 vcc_lo, s24, v20
	s_delay_alu instid0(VALU_DEP_2) | instskip(NEXT) | instid1(VALU_DEP_1)
	v_add_nc_u32_e32 v21, 1, v16
	v_dual_cndmask_b32 v20, v16, v21 :: v_dual_mov_b32 v21, v15
	s_branch .LBB104_77
.LBB104_82:                             ;   in Loop: Header=BB104_83 Depth=2
	s_or_b32 exec_lo, exec_lo, s0
	s_load_b64 s[26:27], s[2:3], 0xc8
	s_delay_alu instid0(VALU_DEP_1)
	v_mul_lo_u32 v2, v10, s24
	v_mul_lo_u32 v16, v9, s25
	v_mad_u64_u32 v[20:21], null, v9, s24, 0
	s_add_i32 s4, s4, -1
	s_add_u32 s2, s2, -8
	s_addc_u32 s3, s3, -1
	s_cmp_gt_u32 s4, 2
	s_delay_alu instid0(VALU_DEP_1) | instskip(NEXT) | instid1(VALU_DEP_2)
	v_add3_u32 v2, v21, v16, v2
	v_sub_co_u32 v16, vcc_lo, v7, v20
	s_delay_alu instid0(VALU_DEP_2) | instskip(SKIP_1) | instid1(VALU_DEP_2)
	v_sub_co_ci_u32_e32 v2, vcc_lo, v8, v2, vcc_lo
	s_waitcnt lgkmcnt(0)
	v_mul_lo_u32 v20, s27, v16
	s_delay_alu instid0(VALU_DEP_2) | instskip(SKIP_1) | instid1(VALU_DEP_1)
	v_mul_lo_u32 v2, s26, v2
	v_mad_u64_u32 v[7:8], null, s26, v16, v[0:1]
	v_add3_u32 v1, v20, v8, v2
	s_delay_alu instid0(VALU_DEP_2)
	v_dual_mov_b32 v0, v7 :: v_dual_mov_b32 v7, v9
	v_mov_b32_e32 v8, v10
	s_cbranch_scc0 .LBB104_7
.LBB104_83:                             ;   Parent Loop BB104_9 Depth=1
                                        ; =>  This Inner Loop Header: Depth=2
	s_load_b64 s[24:25], s[2:3], 0x0
                                        ; implicit-def: $vgpr9_vgpr10
	s_mov_b32 s0, exec_lo
	s_waitcnt lgkmcnt(0)
	v_or_b32_e32 v16, s25, v8
	s_delay_alu instid0(VALU_DEP_1)
	v_cmpx_ne_u64_e32 0, v[15:16]
	s_xor_b32 s26, exec_lo, s0
	s_cbranch_execz .LBB104_85
; %bb.84:                               ;   in Loop: Header=BB104_83 Depth=2
	v_cvt_f32_u32_e32 v2, s24
	v_cvt_f32_u32_e32 v9, s25
	s_sub_u32 s0, 0, s24
	s_subb_u32 s27, 0, s25
	s_delay_alu instid0(VALU_DEP_1) | instskip(NEXT) | instid1(VALU_DEP_1)
	v_fmac_f32_e32 v2, 0x4f800000, v9
	v_rcp_f32_e32 v2, v2
	s_waitcnt_depctr 0xfff
	v_mul_f32_e32 v2, 0x5f7ffffc, v2
	s_delay_alu instid0(VALU_DEP_1) | instskip(NEXT) | instid1(VALU_DEP_1)
	v_mul_f32_e32 v9, 0x2f800000, v2
	v_trunc_f32_e32 v9, v9
	s_delay_alu instid0(VALU_DEP_1) | instskip(SKIP_1) | instid1(VALU_DEP_2)
	v_fmac_f32_e32 v2, 0xcf800000, v9
	v_cvt_u32_f32_e32 v9, v9
	v_cvt_u32_f32_e32 v2, v2
	s_delay_alu instid0(VALU_DEP_2) | instskip(NEXT) | instid1(VALU_DEP_2)
	v_mul_lo_u32 v10, s0, v9
	v_mul_hi_u32 v16, s0, v2
	v_mul_lo_u32 v20, s27, v2
	s_delay_alu instid0(VALU_DEP_2) | instskip(SKIP_1) | instid1(VALU_DEP_2)
	v_add_nc_u32_e32 v10, v16, v10
	v_mul_lo_u32 v16, s0, v2
	v_add_nc_u32_e32 v10, v10, v20
	s_delay_alu instid0(VALU_DEP_2) | instskip(NEXT) | instid1(VALU_DEP_2)
	v_mul_hi_u32 v20, v2, v16
	v_mul_lo_u32 v21, v2, v10
	v_mul_hi_u32 v22, v2, v10
	v_mul_hi_u32 v23, v9, v16
	v_mul_lo_u32 v16, v9, v16
	v_mul_hi_u32 v24, v9, v10
	v_mul_lo_u32 v10, v9, v10
	v_add_co_u32 v20, vcc_lo, v20, v21
	v_add_co_ci_u32_e32 v21, vcc_lo, 0, v22, vcc_lo
	s_delay_alu instid0(VALU_DEP_2) | instskip(NEXT) | instid1(VALU_DEP_2)
	v_add_co_u32 v16, vcc_lo, v20, v16
	v_add_co_ci_u32_e32 v16, vcc_lo, v21, v23, vcc_lo
	v_add_co_ci_u32_e32 v20, vcc_lo, 0, v24, vcc_lo
	s_delay_alu instid0(VALU_DEP_2) | instskip(NEXT) | instid1(VALU_DEP_2)
	v_add_co_u32 v10, vcc_lo, v16, v10
	v_add_co_ci_u32_e32 v16, vcc_lo, 0, v20, vcc_lo
	s_delay_alu instid0(VALU_DEP_2) | instskip(NEXT) | instid1(VALU_DEP_2)
	v_add_co_u32 v2, vcc_lo, v2, v10
	v_add_co_ci_u32_e32 v9, vcc_lo, v9, v16, vcc_lo
	s_delay_alu instid0(VALU_DEP_2) | instskip(SKIP_1) | instid1(VALU_DEP_3)
	v_mul_hi_u32 v10, s0, v2
	v_mul_lo_u32 v20, s27, v2
	v_mul_lo_u32 v16, s0, v9
	s_delay_alu instid0(VALU_DEP_1) | instskip(SKIP_1) | instid1(VALU_DEP_2)
	v_add_nc_u32_e32 v10, v10, v16
	v_mul_lo_u32 v16, s0, v2
	v_add_nc_u32_e32 v10, v10, v20
	s_delay_alu instid0(VALU_DEP_2) | instskip(NEXT) | instid1(VALU_DEP_2)
	v_mul_hi_u32 v20, v2, v16
	v_mul_lo_u32 v21, v2, v10
	v_mul_hi_u32 v22, v2, v10
	v_mul_hi_u32 v23, v9, v16
	v_mul_lo_u32 v16, v9, v16
	v_mul_hi_u32 v24, v9, v10
	v_mul_lo_u32 v10, v9, v10
	v_add_co_u32 v20, vcc_lo, v20, v21
	v_add_co_ci_u32_e32 v21, vcc_lo, 0, v22, vcc_lo
	s_delay_alu instid0(VALU_DEP_2) | instskip(NEXT) | instid1(VALU_DEP_2)
	v_add_co_u32 v16, vcc_lo, v20, v16
	v_add_co_ci_u32_e32 v16, vcc_lo, v21, v23, vcc_lo
	v_add_co_ci_u32_e32 v20, vcc_lo, 0, v24, vcc_lo
	s_delay_alu instid0(VALU_DEP_2) | instskip(NEXT) | instid1(VALU_DEP_2)
	v_add_co_u32 v10, vcc_lo, v16, v10
	v_add_co_ci_u32_e32 v16, vcc_lo, 0, v20, vcc_lo
	s_delay_alu instid0(VALU_DEP_2) | instskip(NEXT) | instid1(VALU_DEP_2)
	v_add_co_u32 v2, vcc_lo, v2, v10
	v_add_co_ci_u32_e32 v16, vcc_lo, v9, v16, vcc_lo
	s_delay_alu instid0(VALU_DEP_2) | instskip(SKIP_1) | instid1(VALU_DEP_3)
	v_mul_hi_u32 v24, v7, v2
	v_mad_u64_u32 v[20:21], null, v8, v2, 0
	v_mad_u64_u32 v[9:10], null, v7, v16, 0
	;; [unrolled: 1-line block ×3, first 2 shown]
	s_delay_alu instid0(VALU_DEP_2) | instskip(NEXT) | instid1(VALU_DEP_3)
	v_add_co_u32 v2, vcc_lo, v24, v9
	v_add_co_ci_u32_e32 v9, vcc_lo, 0, v10, vcc_lo
	s_delay_alu instid0(VALU_DEP_2) | instskip(NEXT) | instid1(VALU_DEP_2)
	v_add_co_u32 v2, vcc_lo, v2, v20
	v_add_co_ci_u32_e32 v2, vcc_lo, v9, v21, vcc_lo
	v_add_co_ci_u32_e32 v9, vcc_lo, 0, v23, vcc_lo
	s_delay_alu instid0(VALU_DEP_2) | instskip(NEXT) | instid1(VALU_DEP_2)
	v_add_co_u32 v2, vcc_lo, v2, v22
	v_add_co_ci_u32_e32 v16, vcc_lo, 0, v9, vcc_lo
	s_delay_alu instid0(VALU_DEP_2) | instskip(SKIP_1) | instid1(VALU_DEP_3)
	v_mul_lo_u32 v20, s25, v2
	v_mad_u64_u32 v[9:10], null, s24, v2, 0
	v_mul_lo_u32 v21, s24, v16
	s_delay_alu instid0(VALU_DEP_2) | instskip(NEXT) | instid1(VALU_DEP_2)
	v_sub_co_u32 v9, vcc_lo, v7, v9
	v_add3_u32 v10, v10, v21, v20
	s_delay_alu instid0(VALU_DEP_1) | instskip(NEXT) | instid1(VALU_DEP_1)
	v_sub_nc_u32_e32 v20, v8, v10
	v_subrev_co_ci_u32_e64 v20, s0, s25, v20, vcc_lo
	v_add_co_u32 v21, s0, v2, 2
	s_delay_alu instid0(VALU_DEP_1) | instskip(SKIP_3) | instid1(VALU_DEP_3)
	v_add_co_ci_u32_e64 v22, s0, 0, v16, s0
	v_sub_co_u32 v23, s0, v9, s24
	v_sub_co_ci_u32_e32 v10, vcc_lo, v8, v10, vcc_lo
	v_subrev_co_ci_u32_e64 v20, s0, 0, v20, s0
	v_cmp_le_u32_e32 vcc_lo, s24, v23
	s_delay_alu instid0(VALU_DEP_3) | instskip(SKIP_1) | instid1(VALU_DEP_4)
	v_cmp_eq_u32_e64 s0, s25, v10
	v_cndmask_b32_e64 v23, 0, -1, vcc_lo
	v_cmp_le_u32_e32 vcc_lo, s25, v20
	v_cndmask_b32_e64 v24, 0, -1, vcc_lo
	v_cmp_le_u32_e32 vcc_lo, s24, v9
	;; [unrolled: 2-line block ×3, first 2 shown]
	v_cndmask_b32_e64 v25, 0, -1, vcc_lo
	v_cmp_eq_u32_e32 vcc_lo, s25, v20
	s_delay_alu instid0(VALU_DEP_2) | instskip(SKIP_3) | instid1(VALU_DEP_3)
	v_cndmask_b32_e64 v9, v25, v9, s0
	v_cndmask_b32_e32 v20, v24, v23, vcc_lo
	v_add_co_u32 v23, vcc_lo, v2, 1
	v_add_co_ci_u32_e32 v24, vcc_lo, 0, v16, vcc_lo
	v_cmp_ne_u32_e32 vcc_lo, 0, v20
	s_delay_alu instid0(VALU_DEP_2) | instskip(NEXT) | instid1(VALU_DEP_4)
	v_cndmask_b32_e32 v10, v24, v22, vcc_lo
	v_cndmask_b32_e32 v20, v23, v21, vcc_lo
	v_cmp_ne_u32_e32 vcc_lo, 0, v9
	s_delay_alu instid0(VALU_DEP_2)
	v_dual_cndmask_b32 v9, v2, v20 :: v_dual_cndmask_b32 v10, v16, v10
.LBB104_85:                             ;   in Loop: Header=BB104_83 Depth=2
	s_and_not1_saveexec_b32 s0, s26
	s_cbranch_execz .LBB104_82
; %bb.86:                               ;   in Loop: Header=BB104_83 Depth=2
	v_cvt_f32_u32_e32 v2, s24
	s_sub_i32 s26, 0, s24
	s_delay_alu instid0(VALU_DEP_1) | instskip(SKIP_2) | instid1(VALU_DEP_1)
	v_rcp_iflag_f32_e32 v2, v2
	s_waitcnt_depctr 0xfff
	v_mul_f32_e32 v2, 0x4f7ffffe, v2
	v_cvt_u32_f32_e32 v2, v2
	s_delay_alu instid0(VALU_DEP_1) | instskip(NEXT) | instid1(VALU_DEP_1)
	v_mul_lo_u32 v9, s26, v2
	v_mul_hi_u32 v9, v2, v9
	s_delay_alu instid0(VALU_DEP_1) | instskip(NEXT) | instid1(VALU_DEP_1)
	v_add_nc_u32_e32 v2, v2, v9
	v_mul_hi_u32 v2, v7, v2
	s_delay_alu instid0(VALU_DEP_1) | instskip(SKIP_1) | instid1(VALU_DEP_2)
	v_mul_lo_u32 v9, v2, s24
	v_add_nc_u32_e32 v10, 1, v2
	v_sub_nc_u32_e32 v9, v7, v9
	s_delay_alu instid0(VALU_DEP_1) | instskip(SKIP_1) | instid1(VALU_DEP_2)
	v_subrev_nc_u32_e32 v16, s24, v9
	v_cmp_le_u32_e32 vcc_lo, s24, v9
	v_dual_cndmask_b32 v9, v9, v16 :: v_dual_cndmask_b32 v2, v2, v10
	s_delay_alu instid0(VALU_DEP_1) | instskip(NEXT) | instid1(VALU_DEP_2)
	v_cmp_le_u32_e32 vcc_lo, s24, v9
	v_add_nc_u32_e32 v10, 1, v2
	s_delay_alu instid0(VALU_DEP_1)
	v_dual_cndmask_b32 v9, v2, v10 :: v_dual_mov_b32 v10, v15
	s_branch .LBB104_82
.LBB104_87:
	s_endpgm
.LBB104_88:
                                        ; implicit-def: $sgpr2_sgpr3
	s_branch .LBB104_4
	.section	.rodata,"a",@progbits
	.p2align	6, 0x0
	.amdhsa_kernel _ZN2at6native12_GLOBAL__N_120fused_dropout_kernelIN3c104HalfEfmLin1ELin1EhEEvNS_4cuda6detail10TensorInfoIKT_T1_EENS7_IS8_SA_EENS7_IT4_SA_EESA_T0_NS_15PhiloxCudaStateE
		.amdhsa_group_segment_fixed_size 0
		.amdhsa_private_segment_fixed_size 0
		.amdhsa_kernarg_size 1552
		.amdhsa_user_sgpr_count 15
		.amdhsa_user_sgpr_dispatch_ptr 0
		.amdhsa_user_sgpr_queue_ptr 0
		.amdhsa_user_sgpr_kernarg_segment_ptr 1
		.amdhsa_user_sgpr_dispatch_id 0
		.amdhsa_user_sgpr_private_segment_size 0
		.amdhsa_wavefront_size32 1
		.amdhsa_uses_dynamic_stack 0
		.amdhsa_enable_private_segment 0
		.amdhsa_system_sgpr_workgroup_id_x 1
		.amdhsa_system_sgpr_workgroup_id_y 0
		.amdhsa_system_sgpr_workgroup_id_z 0
		.amdhsa_system_sgpr_workgroup_info 0
		.amdhsa_system_vgpr_workitem_id 0
		.amdhsa_next_free_vgpr 61
		.amdhsa_next_free_sgpr 42
		.amdhsa_reserve_vcc 1
		.amdhsa_float_round_mode_32 0
		.amdhsa_float_round_mode_16_64 0
		.amdhsa_float_denorm_mode_32 3
		.amdhsa_float_denorm_mode_16_64 3
		.amdhsa_dx10_clamp 1
		.amdhsa_ieee_mode 1
		.amdhsa_fp16_overflow 0
		.amdhsa_workgroup_processor_mode 1
		.amdhsa_memory_ordered 1
		.amdhsa_forward_progress 0
		.amdhsa_shared_vgpr_count 0
		.amdhsa_exception_fp_ieee_invalid_op 0
		.amdhsa_exception_fp_denorm_src 0
		.amdhsa_exception_fp_ieee_div_zero 0
		.amdhsa_exception_fp_ieee_overflow 0
		.amdhsa_exception_fp_ieee_underflow 0
		.amdhsa_exception_fp_ieee_inexact 0
		.amdhsa_exception_int_div_zero 0
	.end_amdhsa_kernel
	.section	.text._ZN2at6native12_GLOBAL__N_120fused_dropout_kernelIN3c104HalfEfmLin1ELin1EhEEvNS_4cuda6detail10TensorInfoIKT_T1_EENS7_IS8_SA_EENS7_IT4_SA_EESA_T0_NS_15PhiloxCudaStateE,"axG",@progbits,_ZN2at6native12_GLOBAL__N_120fused_dropout_kernelIN3c104HalfEfmLin1ELin1EhEEvNS_4cuda6detail10TensorInfoIKT_T1_EENS7_IS8_SA_EENS7_IT4_SA_EESA_T0_NS_15PhiloxCudaStateE,comdat
.Lfunc_end104:
	.size	_ZN2at6native12_GLOBAL__N_120fused_dropout_kernelIN3c104HalfEfmLin1ELin1EhEEvNS_4cuda6detail10TensorInfoIKT_T1_EENS7_IS8_SA_EENS7_IT4_SA_EESA_T0_NS_15PhiloxCudaStateE, .Lfunc_end104-_ZN2at6native12_GLOBAL__N_120fused_dropout_kernelIN3c104HalfEfmLin1ELin1EhEEvNS_4cuda6detail10TensorInfoIKT_T1_EENS7_IS8_SA_EENS7_IT4_SA_EESA_T0_NS_15PhiloxCudaStateE
                                        ; -- End function
	.section	.AMDGPU.csdata,"",@progbits
; Kernel info:
; codeLenInByte = 12632
; NumSgprs: 44
; NumVgprs: 61
; ScratchSize: 0
; MemoryBound: 0
; FloatMode: 240
; IeeeMode: 1
; LDSByteSize: 0 bytes/workgroup (compile time only)
; SGPRBlocks: 5
; VGPRBlocks: 7
; NumSGPRsForWavesPerEU: 44
; NumVGPRsForWavesPerEU: 61
; Occupancy: 16
; WaveLimiterHint : 1
; COMPUTE_PGM_RSRC2:SCRATCH_EN: 0
; COMPUTE_PGM_RSRC2:USER_SGPR: 15
; COMPUTE_PGM_RSRC2:TRAP_HANDLER: 0
; COMPUTE_PGM_RSRC2:TGID_X_EN: 1
; COMPUTE_PGM_RSRC2:TGID_Y_EN: 0
; COMPUTE_PGM_RSRC2:TGID_Z_EN: 0
; COMPUTE_PGM_RSRC2:TIDIG_COMP_CNT: 0
	.section	.text._ZN2at6native12_GLOBAL__N_124fused_dropout_kernel_vecIN3c108BFloat16EfmLi1ELi16EhEEvNS_4cuda6detail10TensorInfoIKT_T1_EENS7_IS8_SA_EENS7_IT4_SA_EESA_T0_NS_15PhiloxCudaStateE,"axG",@progbits,_ZN2at6native12_GLOBAL__N_124fused_dropout_kernel_vecIN3c108BFloat16EfmLi1ELi16EhEEvNS_4cuda6detail10TensorInfoIKT_T1_EENS7_IS8_SA_EENS7_IT4_SA_EESA_T0_NS_15PhiloxCudaStateE,comdat
	.globl	_ZN2at6native12_GLOBAL__N_124fused_dropout_kernel_vecIN3c108BFloat16EfmLi1ELi16EhEEvNS_4cuda6detail10TensorInfoIKT_T1_EENS7_IS8_SA_EENS7_IT4_SA_EESA_T0_NS_15PhiloxCudaStateE ; -- Begin function _ZN2at6native12_GLOBAL__N_124fused_dropout_kernel_vecIN3c108BFloat16EfmLi1ELi16EhEEvNS_4cuda6detail10TensorInfoIKT_T1_EENS7_IS8_SA_EENS7_IT4_SA_EESA_T0_NS_15PhiloxCudaStateE
	.p2align	8
	.type	_ZN2at6native12_GLOBAL__N_124fused_dropout_kernel_vecIN3c108BFloat16EfmLi1ELi16EhEEvNS_4cuda6detail10TensorInfoIKT_T1_EENS7_IS8_SA_EENS7_IT4_SA_EESA_T0_NS_15PhiloxCudaStateE,@function
_ZN2at6native12_GLOBAL__N_124fused_dropout_kernel_vecIN3c108BFloat16EfmLi1ELi16EhEEvNS_4cuda6detail10TensorInfoIKT_T1_EENS7_IS8_SA_EENS7_IT4_SA_EESA_T0_NS_15PhiloxCudaStateE: ; @_ZN2at6native12_GLOBAL__N_124fused_dropout_kernel_vecIN3c108BFloat16EfmLi1ELi16EhEEvNS_4cuda6detail10TensorInfoIKT_T1_EENS7_IS8_SA_EENS7_IT4_SA_EESA_T0_NS_15PhiloxCudaStateE
; %bb.0:
	s_clause 0x1
	s_load_b128 s[4:7], s[0:1], 0x4f0
	s_load_b32 s2, s[0:1], 0x508
	s_waitcnt lgkmcnt(0)
	v_dual_mov_b32 v1, s6 :: v_dual_mov_b32 v2, s7
	v_dual_mov_b32 v11, s5 :: v_dual_mov_b32 v10, s4
	s_bitcmp0_b32 s2, 0
	s_cbranch_scc1 .LBB105_2
; %bb.1:
	v_dual_mov_b32 v1, s6 :: v_dual_mov_b32 v2, s7
	v_dual_mov_b32 v3, s4 :: v_dual_mov_b32 v4, s5
	s_load_b64 s[2:3], s[0:1], 0x500
	flat_load_b64 v[1:2], v[1:2]
	flat_load_b64 v[10:11], v[3:4]
	s_waitcnt vmcnt(1) lgkmcnt(0)
	v_add_co_u32 v1, vcc_lo, v1, s2
	v_add_co_ci_u32_e32 v2, vcc_lo, s3, v2, vcc_lo
.LBB105_2:
	s_clause 0x1
	s_load_b32 s4, s[0:1], 0x51c
	s_load_b64 s[16:17], s[0:1], 0x4e0
	s_add_u32 s2, s0, 0x510
	s_addc_u32 s3, s1, 0
	s_mov_b32 s5, exec_lo
	s_waitcnt lgkmcnt(0)
	s_and_b32 s4, s4, 0xffff
	s_delay_alu instid0(SALU_CYCLE_1) | instskip(SKIP_1) | instid1(VALU_DEP_1)
	v_mad_u64_u32 v[8:9], null, s15, s4, v[0:1]
	v_mov_b32_e32 v9, 0
	v_lshlrev_b64 v[12:13], 4, v[8:9]
	s_delay_alu instid0(VALU_DEP_1)
	v_cmpx_gt_u64_e64 s[16:17], v[12:13]
	s_cbranch_execz .LBB105_45
; %bb.3:
	v_alignbit_b32 v23, v2, v1, 2
	v_mad_u64_u32 v[3:4], null, 0xcd9e8d57, v8, 0
	v_lshrrev_b32_e32 v22, 2, v2
	s_waitcnt vmcnt(0)
	v_mov_b32_e32 v16, v11
	v_mad_u64_u32 v[5:6], null, 0xd2511f53, v23, 0
	v_add_co_u32 v25, null, 0x9e3779b9, v10
	v_xor3_b32 v0, v10, v4, v22
	s_delay_alu instid0(VALU_DEP_4) | instskip(SKIP_2) | instid1(VALU_DEP_4)
	v_add_co_u32 v24, null, 0xbb67ae85, v16
	v_add_co_u32 v26, null, 0x3c6ef372, v10
	v_xor_b32_e32 v2, v6, v11
	v_mad_u64_u32 v[6:7], null, 0xd2511f53, v0, 0
	v_add_co_u32 v27, null, 0x76cf5d0a, v16
	s_delay_alu instid0(VALU_DEP_3) | instskip(SKIP_1) | instid1(VALU_DEP_4)
	v_mad_u64_u32 v[14:15], null, 0xcd9e8d57, v2, 0
	v_add_co_u32 v28, null, 0x32370b8f, v16
	v_xor3_b32 v0, v24, v7, v5
	v_add_co_u32 v29, null, 0xdaa66d2b, v10
	s_load_b32 s28, s[0:1], 0x4e8
	s_delay_alu instid0(VALU_DEP_4) | instskip(NEXT) | instid1(VALU_DEP_3)
	v_xor3_b32 v7, v15, v25, v3
	v_mad_u64_u32 v[2:3], null, 0xcd9e8d57, v0, 0
	v_add_co_u32 v30, null, 0x78dde6e4, v10
	s_delay_alu instid0(VALU_DEP_3) | instskip(SKIP_1) | instid1(VALU_DEP_4)
	v_mad_u64_u32 v[4:5], null, 0xd2511f53, v7, 0
	v_add_co_u32 v31, null, 0xed9eba14, v16
	v_xor3_b32 v0, v26, v3, v14
	v_add_co_u32 v32, null, 0xa9066899, v16
	v_add_co_u32 v33, null, 0x1715609d, v10
	v_xor3_b32 v3, v5, v27, v6
	s_delay_alu instid0(VALU_DEP_4) | instskip(SKIP_1) | instid1(VALU_DEP_3)
	v_mad_u64_u32 v[5:6], null, 0xd2511f53, v0, 0
	v_add_co_u32 v34, null, 0xb54cda56, v10
	v_mad_u64_u32 v[14:15], null, 0xcd9e8d57, v3, 0
	v_add_co_u32 v35, null, 0x5384540f, v10
	s_delay_alu instid0(VALU_DEP_4)
	v_xor3_b32 v0, v28, v6, v4
	s_waitcnt lgkmcnt(0)
	v_div_scale_f32 v18, vcc_lo, 1.0, s28, 1.0
	s_clause 0x2
	s_load_b64 s[18:19], s[0:1], 0x0
	s_load_b64 s[20:21], s[0:1], 0x1a0
	;; [unrolled: 1-line block ×3, first 2 shown]
	v_xor3_b32 v4, v15, v29, v2
	v_mad_u64_u32 v[2:3], null, 0xcd9e8d57, v0, 0
	s_load_b32 s0, s[2:3], 0x0
	v_add_co_u32 v38, null, 0xf1bbcdc8, v10
	s_delay_alu instid0(VALU_DEP_3) | instskip(SKIP_1) | instid1(VALU_DEP_4)
	v_mad_u64_u32 v[6:7], null, 0xd2511f53, v4, 0
	v_add_nc_u32_e32 v41, 0x8ff34781, v10
	v_xor3_b32 v0, v30, v3, v14
	s_mov_b32 s25, 0
	s_mov_b32 s29, s28
	v_add_nc_u32_e32 v42, 0x96a522ad, v11
	s_delay_alu instid0(VALU_DEP_4) | instskip(SKIP_2) | instid1(VALU_DEP_3)
	v_xor3_b32 v5, v7, v31, v5
	v_mad_u64_u32 v[3:4], null, 0xd2511f53, v0, 0
	v_div_scale_f32 v0, null, s28, s28, 1.0
	v_mad_u64_u32 v[14:15], null, 0xcd9e8d57, v5, 0
	s_delay_alu instid0(VALU_DEP_2) | instskip(NEXT) | instid1(VALU_DEP_3)
	v_rcp_f32_e32 v17, v0
	v_xor3_b32 v6, v32, v4, v6
	s_waitcnt lgkmcnt(0)
	s_mul_i32 s0, s0, s4
	s_delay_alu instid0(SALU_CYCLE_1) | instskip(NEXT) | instid1(VALU_DEP_2)
	s_lshl_b32 s24, s0, 4
	v_xor3_b32 v2, v15, v33, v2
	v_mad_u64_u32 v[4:5], null, 0xcd9e8d57, v6, 0
	s_lshl_b64 s[26:27], s[24:25], 1
	s_delay_alu instid0(VALU_DEP_2) | instskip(SKIP_3) | instid1(VALU_DEP_2)
	v_mad_u64_u32 v[6:7], null, 0xd2511f53, v2, 0
	s_waitcnt_depctr 0xfff
	v_fma_f32 v2, -v0, v17, 1.0
	v_xor3_b32 v5, v34, v5, v14
	v_fmac_f32_e32 v17, v2, v17
	v_add_co_u32 v36, null, 0x646e171e, v16
	v_add_co_u32 v37, null, 0x1fd5c5a3, v16
	s_delay_alu instid0(VALU_DEP_3) | instskip(NEXT) | instid1(VALU_DEP_3)
	v_mul_f32_e32 v19, v18, v17
	v_xor3_b32 v7, v7, v36, v3
	v_mad_u64_u32 v[2:3], null, 0xd2511f53, v5, 0
	v_add_co_u32 v39, null, 0xdb3d7428, v16
	s_delay_alu instid0(VALU_DEP_3) | instskip(NEXT) | instid1(VALU_DEP_3)
	v_mad_u64_u32 v[14:15], null, 0xcd9e8d57, v7, 0
	v_xor3_b32 v5, v37, v3, v6
	s_delay_alu instid0(VALU_DEP_2) | instskip(NEXT) | instid1(VALU_DEP_2)
	v_xor3_b32 v7, v15, v35, v4
	v_mad_u64_u32 v[3:4], null, 0xcd9e8d57, v5, 0
	v_fma_f32 v15, -v0, v19, v18
	s_delay_alu instid0(VALU_DEP_3) | instskip(NEXT) | instid1(VALU_DEP_2)
	v_mad_u64_u32 v[5:6], null, 0xd2511f53, v7, 0
	v_fmac_f32_e32 v19, v15, v17
	s_delay_alu instid0(VALU_DEP_4) | instskip(NEXT) | instid1(VALU_DEP_3)
	v_xor3_b32 v4, v38, v4, v14
	v_xor3_b32 v14, v6, v39, v2
	s_delay_alu instid0(VALU_DEP_3) | instskip(NEXT) | instid1(VALU_DEP_3)
	v_fma_f32 v0, -v0, v19, v18
	v_mad_u64_u32 v[6:7], null, 0xd2511f53, v4, 0
	v_and_b32_e32 v40, 3, v1
	s_delay_alu instid0(VALU_DEP_4) | instskip(NEXT) | instid1(VALU_DEP_4)
	v_mad_u64_u32 v[1:2], null, 0xcd9e8d57, v14, 0
	v_div_fmas_f32 v0, v0, v17, v19
	v_lshlrev_b64 v[14:15], 5, v[8:9]
	s_delay_alu instid0(VALU_DEP_2) | instskip(NEXT) | instid1(VALU_DEP_4)
	v_div_fixup_f32 v43, v0, s28, 1.0
	v_xor3_b32 v0, v3, v2, v41
	v_mov_b32_e32 v3, v6
	v_xor3_b32 v2, v7, v5, v42
	s_branch .LBB105_6
.LBB105_4:                              ;   in Loop: Header=BB105_6 Depth=1
	s_or_b32 exec_lo, exec_lo, s1
	s_delay_alu instid0(VALU_DEP_1)
	v_mov_b32_e32 v18, v52
.LBB105_5:                              ;   in Loop: Header=BB105_6 Depth=1
	s_or_b32 exec_lo, exec_lo, s0
	v_add_co_u32 v56, vcc_lo, s18, v14
	v_add_co_ci_u32_e32 v57, vcc_lo, s19, v15, vcc_lo
	v_cvt_f32_u32_e32 v48, v48
	v_cvt_f32_u32_e32 v50, v3
	v_mov_b32_e32 v3, v19
	s_clause 0x1
	global_load_b128 v[52:55], v[56:57], off
	global_load_b128 v[56:59], v[56:57], off offset:16
	v_cvt_f32_u32_e32 v19, v46
	v_fmaak_f32 v48, 0x2f800000, v48, 0x2f800000
	v_cvt_f32_u32_e32 v44, v44
	v_cvt_f32_u32_e32 v17, v17
	;; [unrolled: 1-line block ×7, first 2 shown]
	v_dual_fmaak_f32 v19, 0x2f800000, v19, 0x2f800000 :: v_dual_fmaak_f32 v44, 0x2f800000, v44, 0x2f800000
	v_cvt_f32_u32_e32 v4, v4
	v_cvt_f32_u32_e32 v6, v6
	v_cvt_f32_u32_e32 v46, v51
	v_cvt_f32_u32_e32 v18, v18
	v_dual_fmaak_f32 v17, 0x2f800000, v17, 0x2f800000 :: v_dual_fmaak_f32 v50, 0x2f800000, v50, 0x2f800000
	v_dual_fmaak_f32 v47, 0x2f800000, v47, 0x2f800000 :: v_dual_fmaak_f32 v16, 0x2f800000, v16, 0x2f800000
	;; [unrolled: 1-line block ×5, first 2 shown]
	v_cmp_gt_f32_e64 s5, s29, v19
	v_cmp_gt_f32_e64 s7, s29, v44
	v_cvt_f32_u32_e32 v49, v49
	v_fmaak_f32 v46, 0x2f800000, v46, 0x2f800000
	v_cmp_gt_f32_e64 s1, s29, v5
	v_cmp_gt_f32_e64 s3, s29, v7
	v_cmp_gt_f32_e64 s4, s28, v16
	v_fmaak_f32 v49, 0x2f800000, v49, 0x2f800000
	v_cndmask_b32_e64 v19, 0, 1, s5
	v_cmp_gt_f32_e64 s6, s28, v45
	v_cndmask_b32_e64 v44, 0, 1, s7
	v_cmp_gt_f32_e64 s9, s29, v48
	v_cmp_gt_f32_e64 s11, s29, v50
	;; [unrolled: 1-line block ×3, first 2 shown]
	v_cndmask_b32_e64 v5, 0, 1, s1
	v_cmp_gt_f32_e64 s2, s28, v6
	v_cndmask_b32_e64 v7, 0, 1, s3
	v_cndmask_b32_e64 v16, 0, 1, s4
	;; [unrolled: 1-line block ×3, first 2 shown]
	v_cmp_gt_f32_e64 s8, s28, v17
	v_cndmask_b32_e64 v48, 0, 1, s9
	v_cmp_gt_f32_e64 s10, s28, v47
	v_cndmask_b32_e64 v50, 0, 1, s11
	v_cmp_gt_f32_e64 s13, s29, v46
	v_lshlrev_b16 v19, 8, v19
	v_lshlrev_b16 v44, 8, v44
	v_cndmask_b32_e64 v4, 0, 1, s0
	v_cndmask_b32_e64 v6, 0, 1, s2
	;; [unrolled: 1-line block ×4, first 2 shown]
	v_cmp_gt_f32_e64 s12, s28, v18
	v_cndmask_b32_e64 v75, 0, 1, s13
	v_lshlrev_b16 v48, 8, v48
	v_lshlrev_b16 v50, 8, v50
	;; [unrolled: 1-line block ×4, first 2 shown]
	v_or_b32_e32 v16, v16, v19
	v_or_b32_e32 v19, v45, v44
	v_cvt_f32_u32_e32 v51, v20
	v_cndmask_b32_e64 v64, 0, 1.0, s3
	v_cndmask_b32_e64 v65, 0, 1.0, s2
	v_cndmask_b32_e64 v74, 0, 1, s12
	v_lshlrev_b16 v75, 8, v75
	v_or_b32_e32 v17, v17, v48
	v_or_b32_e32 v47, v47, v50
	;; [unrolled: 1-line block ×4, first 2 shown]
	v_and_b32_e32 v16, 0xffff, v16
	v_lshlrev_b32_e32 v19, 16, v19
	v_fmaak_f32 v51, 0x2f800000, v51, 0x2f800000
	v_cndmask_b32_e64 v62, 0, 1.0, s1
	v_cndmask_b32_e64 v63, 0, 1.0, s0
	;; [unrolled: 1-line block ×4, first 2 shown]
	v_or_b32_e32 v6, v74, v75
	v_lshlrev_b32_e32 v44, 16, v47
	v_lshlrev_b32_e32 v45, 16, v5
	v_or_b32_e32 v5, v16, v19
	v_cndmask_b32_e64 v66, 0, 1.0, s4
	v_and_b32_e32 v48, 0xffff, v6
	v_cmp_gt_f32_e64 s14, s28, v49
	v_cndmask_b32_e64 v67, 0, 1.0, s5
	v_cndmask_b32_e64 v71, 0, 1.0, s9
	;; [unrolled: 1-line block ×7, first 2 shown]
	v_cndmask_b32_e64 v76, 0, 1, s14
	v_cndmask_b32_e64 v68, 0, 1.0, s6
	v_add_co_u32 v60, vcc_lo, s20, v14
	v_add_co_ci_u32_e32 v61, vcc_lo, s21, v15, vcc_lo
	v_add_co_u32 v20, vcc_lo, s22, v12
	v_add_co_ci_u32_e32 v21, vcc_lo, s23, v13, vcc_lo
	;; [unrolled: 2-line block ×3, first 2 shown]
	s_add_u32 s18, s18, s26
	s_addc_u32 s19, s19, s27
	s_add_u32 s20, s20, s26
	s_delay_alu instid0(VALU_DEP_1)
	v_cmp_le_u64_e32 vcc_lo, s[16:17], v[12:13]
	s_addc_u32 s21, s21, s27
	s_or_b32 s25, vcc_lo, s25
	s_waitcnt vmcnt(1)
	v_and_b32_e32 v16, 0xffff0000, v52
	v_and_b32_e32 v17, 0xffff, v17
	;; [unrolled: 1-line block ×3, first 2 shown]
	s_waitcnt vmcnt(0)
	v_lshlrev_b32_e32 v74, 16, v59
	v_lshlrev_b32_e32 v50, 16, v55
	v_mul_f32_e32 v16, v62, v16
	v_or_b32_e32 v6, v17, v44
	v_lshlrev_b32_e32 v44, 16, v53
	v_cmp_gt_f32_e64 s15, s29, v51
	v_lshlrev_b32_e32 v17, 16, v52
	v_dual_mul_f32 v16, v43, v16 :: v_dual_and_b32 v47, 0xffff0000, v54
	v_and_b32_e32 v4, 0xffff, v4
	s_delay_alu instid0(VALU_DEP_4)
	v_cndmask_b32_e64 v77, 0, 1, s15
	v_and_b32_e32 v52, 0xffff0000, v55
	v_mul_f32_e32 v44, v65, v44
	v_cndmask_b32_e64 v51, 0, 1.0, s15
	v_lshlrev_b32_e32 v53, 16, v56
	v_lshlrev_b16 v77, 8, v77
	s_delay_alu instid0(VALU_DEP_4)
	v_dual_mul_f32 v44, v43, v44 :: v_dual_lshlrev_b32 v55, 16, v57
	v_and_b32_e32 v59, 0xffff0000, v59
	v_dual_mul_f32 v47, v67, v47 :: v_dual_mul_f32 v52, v69, v52
	v_or_b32_e32 v4, v4, v45
	v_lshlrev_b32_e32 v45, 16, v54
	v_dual_mul_f32 v55, v72, v55 :: v_dual_and_b32 v54, 0xffff0000, v56
	v_and_b32_e32 v56, 0xffff0000, v57
	v_dual_mul_f32 v52, v43, v52 :: v_dual_lshlrev_b32 v57, 16, v58
	v_or_b32_e32 v7, v76, v77
	s_delay_alu instid0(VALU_DEP_4) | instskip(SKIP_1) | instid1(VALU_DEP_4)
	v_mul_f32_e32 v54, v71, v54
	v_mul_f32_e32 v17, v63, v17
	;; [unrolled: 1-line block ×5, first 2 shown]
	v_bfe_u32 v65, v52, 16, 1
	v_mul_f32_e32 v17, v43, v17
	v_mul_f32_e32 v54, v43, v54
	;; [unrolled: 1-line block ×4, first 2 shown]
	v_dual_mul_f32 v50, v68, v50 :: v_dual_lshlrev_b32 v7, 16, v7
	v_bfe_u32 v57, v17, 16, 1
	v_cmp_o_f32_e64 s0, v17, v17
	v_bfe_u32 v63, v47, 16, 1
	v_add3_u32 v65, v52, v65, 0x7fff
	v_mul_f32_e32 v50, v43, v50
	v_dual_mul_f32 v51, v51, v59 :: v_dual_mul_f32 v56, v73, v56
	v_dual_mul_f32 v19, v64, v19 :: v_dual_and_b32 v58, 0xffff0000, v58
	v_add3_u32 v57, v17, v57, 0x7fff
	v_bfe_u32 v59, v44, 16, 1
	v_bfe_u32 v64, v45, 16, 1
	s_delay_alu instid0(VALU_DEP_4) | instskip(SKIP_3) | instid1(VALU_DEP_4)
	v_dual_mul_f32 v19, v43, v19 :: v_dual_mul_f32 v46, v46, v58
	v_bfe_u32 v58, v16, 16, 1
	v_lshrrev_b32_e32 v57, 16, v57
	v_add3_u32 v59, v44, v59, 0x7fff
	v_bfe_u32 v62, v19, 16, 1
	v_add3_u32 v63, v47, v63, 0x7fff
	v_add3_u32 v58, v16, v58, 0x7fff
	v_cndmask_b32_e64 v57, 0x7fc0, v57, s0
	v_cmp_o_f32_e64 s0, v16, v16
	v_add3_u32 v62, v19, v62, 0x7fff
	v_lshrrev_b32_e32 v59, 16, v59
	v_lshrrev_b32_e32 v58, 16, v58
	v_add3_u32 v64, v45, v64, 0x7fff
	v_lshrrev_b32_e32 v63, 16, v63
	v_lshrrev_b32_e32 v62, 16, v62
	v_mul_f32_e32 v53, v70, v53
	v_cndmask_b32_e64 v16, 0x7fc0, v58, s0
	v_cmp_o_f32_e64 s0, v44, v44
	v_bfe_u32 v66, v50, 16, 1
	v_lshrrev_b32_e32 v64, 16, v64
	v_mul_f32_e32 v53, v43, v53
	v_bfe_u32 v67, v54, 16, 1
	v_cndmask_b32_e64 v17, 0x7fc0, v59, s0
	v_cmp_o_f32_e64 s0, v19, v19
	v_add3_u32 v66, v50, v66, 0x7fff
	v_lshrrev_b32_e32 v65, 16, v65
	v_mul_f32_e32 v56, v43, v56
	v_bfe_u32 v68, v53, 16, 1
	v_cndmask_b32_e64 v44, 0x7fc0, v62, s0
	v_cmp_o_f32_e64 s0, v47, v47
	v_add3_u32 v67, v54, v67, 0x7fff
	;; [unrolled: 6-line block ×7, first 2 shown]
	v_lshrrev_b32_e32 v71, 16, v71
	v_bfe_u32 v74, v49, 16, 1
	v_add3_u32 v73, v51, v73, 0x7fff
	v_cndmask_b32_e64 v53, 0x7fc0, v68, s0
	v_cmp_o_f32_e64 s0, v56, v56
	v_lshrrev_b32_e32 v72, 16, v72
	v_add3_u32 v74, v49, v74, 0x7fff
	v_lshrrev_b32_e32 v73, 16, v73
	v_perm_b32 v19, v19, v50, 0x5040100
	v_cndmask_b32_e64 v54, 0x7fc0, v69, s0
	v_cmp_o_f32_e64 s0, v55, v55
	v_lshrrev_b32_e32 v74, 16, v74
	v_perm_b32 v17, v44, v17, 0x5040100
	v_perm_b32 v16, v16, v57, 0x5040100
	;; [unrolled: 1-line block ×3, first 2 shown]
	v_cndmask_b32_e64 v55, 0x7fc0, v70, s0
	v_cmp_o_f32_e64 s0, v46, v46
	v_or_b32_e32 v7, v48, v7
	s_delay_alu instid0(VALU_DEP_2) | instskip(SKIP_3) | instid1(VALU_DEP_3)
	v_cndmask_b32_e64 v46, 0x7fc0, v71, s0
	v_cmp_o_f32_e64 s0, v18, v18
	v_perm_b32 v18, v47, v45, 0x5040100
	v_perm_b32 v45, v54, v55, 0x5040100
	v_cndmask_b32_e64 v56, 0x7fc0, v72, s0
	v_cmp_o_f32_e64 s0, v51, v51
	s_delay_alu instid0(VALU_DEP_2) | instskip(NEXT) | instid1(VALU_DEP_2)
	v_perm_b32 v46, v46, v56, 0x5040100
	v_cndmask_b32_e64 v51, 0x7fc0, v73, s0
	v_cmp_o_f32_e64 s0, v49, v49
	s_delay_alu instid0(VALU_DEP_1) | instskip(NEXT) | instid1(VALU_DEP_1)
	v_cndmask_b32_e64 v49, 0x7fc0, v74, s0
	v_perm_b32 v47, v51, v49, 0x5040100
	s_clause 0x1
	global_store_b128 v[60:61], v[16:19], off
	global_store_b128 v[60:61], v[44:47], off offset:16
	global_store_b128 v[20:21], v[4:7], off
	s_waitcnt_vscnt null, 0x0
	s_barrier
	buffer_gl0_inv
	s_and_not1_b32 exec_lo, exec_lo, s25
	s_cbranch_execz .LBB105_45
.LBB105_6:                              ; =>This Inner Loop Header: Depth=1
	v_add_co_u32 v6, vcc_lo, v23, 1
	s_delay_alu instid0(VALU_DEP_1) | instskip(SKIP_2) | instid1(VALU_DEP_1)
	v_cndmask_b32_e64 v4, 0, 1, vcc_lo
	v_add_co_ci_u32_e32 v18, vcc_lo, 0, v22, vcc_lo
	s_mov_b32 s0, exec_lo
	v_cmp_eq_u32_e32 vcc_lo, 0, v18
	s_delay_alu instid0(VALU_DEP_3) | instskip(SKIP_1) | instid1(VALU_DEP_2)
	v_cndmask_b32_e32 v7, 0, v4, vcc_lo
	v_mad_u64_u32 v[4:5], null, 0xd2511f53, v6, 0
	v_add_nc_u32_e32 v20, v7, v8
	s_delay_alu instid0(VALU_DEP_2) | instskip(NEXT) | instid1(VALU_DEP_2)
	v_xor_b32_e32 v8, v5, v11
	v_cmp_eq_u32_e32 vcc_lo, 0, v20
	v_cndmask_b32_e32 v7, 0, v7, vcc_lo
	v_mad_u64_u32 v[5:6], null, 0xcd9e8d57, v20, 0
	s_delay_alu instid0(VALU_DEP_2) | instskip(NEXT) | instid1(VALU_DEP_2)
	v_add_nc_u32_e32 v21, v7, v9
	v_xor3_b32 v16, v6, v10, v18
	s_delay_alu instid0(VALU_DEP_2) | instskip(NEXT) | instid1(VALU_DEP_1)
	v_xor_b32_e32 v8, v21, v8
	v_mad_u64_u32 v[6:7], null, 0xcd9e8d57, v8, 0
	s_delay_alu instid0(VALU_DEP_3) | instskip(NEXT) | instid1(VALU_DEP_2)
	v_mad_u64_u32 v[8:9], null, 0xd2511f53, v16, 0
	v_xor3_b32 v7, v25, v7, v5
	s_delay_alu instid0(VALU_DEP_2) | instskip(NEXT) | instid1(VALU_DEP_2)
	v_xor3_b32 v9, v24, v9, v4
	v_mad_u64_u32 v[4:5], null, 0xd2511f53, v7, 0
	s_delay_alu instid0(VALU_DEP_2) | instskip(NEXT) | instid1(VALU_DEP_2)
	v_mad_u64_u32 v[16:17], null, 0xcd9e8d57, v9, 0
	v_xor3_b32 v7, v27, v5, v8
	s_delay_alu instid0(VALU_DEP_2) | instskip(NEXT) | instid1(VALU_DEP_2)
	v_xor3_b32 v9, v26, v17, v6
	v_mad_u64_u32 v[5:6], null, 0xcd9e8d57, v7, 0
	s_delay_alu instid0(VALU_DEP_2) | instskip(NEXT) | instid1(VALU_DEP_2)
	v_mad_u64_u32 v[7:8], null, 0xd2511f53, v9, 0
	v_xor3_b32 v6, v29, v6, v16
	s_delay_alu instid0(VALU_DEP_2) | instskip(NEXT) | instid1(VALU_DEP_2)
	v_xor3_b32 v4, v28, v8, v4
	v_mad_u64_u32 v[8:9], null, 0xd2511f53, v6, 0
	s_delay_alu instid0(VALU_DEP_2) | instskip(NEXT) | instid1(VALU_DEP_2)
	v_mad_u64_u32 v[16:17], null, 0xcd9e8d57, v4, 0
	v_xor3_b32 v6, v31, v9, v7
	s_delay_alu instid0(VALU_DEP_2) | instskip(NEXT) | instid1(VALU_DEP_2)
	v_xor3_b32 v9, v30, v17, v5
	v_mad_u64_u32 v[4:5], null, 0xcd9e8d57, v6, 0
	s_delay_alu instid0(VALU_DEP_2) | instskip(NEXT) | instid1(VALU_DEP_2)
	v_mad_u64_u32 v[6:7], null, 0xd2511f53, v9, 0
	v_xor3_b32 v5, v33, v5, v16
	s_delay_alu instid0(VALU_DEP_2) | instskip(NEXT) | instid1(VALU_DEP_2)
	v_xor3_b32 v9, v32, v7, v8
	v_mad_u64_u32 v[7:8], null, 0xd2511f53, v5, 0
	s_delay_alu instid0(VALU_DEP_2) | instskip(NEXT) | instid1(VALU_DEP_2)
	v_mad_u64_u32 v[16:17], null, 0xcd9e8d57, v9, 0
	v_xor3_b32 v6, v36, v8, v6
	s_delay_alu instid0(VALU_DEP_2) | instskip(NEXT) | instid1(VALU_DEP_2)
	v_xor3_b32 v17, v34, v17, v4
	v_mad_u64_u32 v[4:5], null, 0xcd9e8d57, v6, 0
	s_delay_alu instid0(VALU_DEP_2) | instskip(NEXT) | instid1(VALU_DEP_2)
	v_mad_u64_u32 v[8:9], null, 0xd2511f53, v17, 0
	v_xor3_b32 v16, v35, v5, v16
	s_delay_alu instid0(VALU_DEP_2) | instskip(NEXT) | instid1(VALU_DEP_2)
	v_xor3_b32 v7, v37, v9, v7
	v_mad_u64_u32 v[5:6], null, 0xd2511f53, v16, 0
	s_delay_alu instid0(VALU_DEP_2) | instskip(NEXT) | instid1(VALU_DEP_2)
	v_mad_u64_u32 v[44:45], null, 0xcd9e8d57, v7, 0
	v_xor3_b32 v6, v39, v6, v8
	s_delay_alu instid0(VALU_DEP_2) | instskip(NEXT) | instid1(VALU_DEP_2)
	v_xor3_b32 v4, v38, v45, v4
	v_mad_u64_u32 v[8:9], null, 0xcd9e8d57, v6, 0
	s_delay_alu instid0(VALU_DEP_2) | instskip(NEXT) | instid1(VALU_DEP_2)
	v_mad_u64_u32 v[16:17], null, 0xd2511f53, v4, 0
	v_xor3_b32 v19, v9, v44, v41
	s_delay_alu instid0(VALU_DEP_2)
	v_xor3_b32 v9, v17, v5, v42
                                        ; implicit-def: $vgpr4_vgpr5_vgpr6_vgpr7
	v_cmpx_lt_i32_e32 1, v40
	s_xor_b32 s0, exec_lo, s0
	s_cbranch_execz .LBB105_12
; %bb.7:                                ;   in Loop: Header=BB105_6 Depth=1
	s_mov_b32 s1, exec_lo
                                        ; implicit-def: $vgpr4_vgpr5_vgpr6_vgpr7
	v_cmpx_lt_i32_e32 2, v40
	s_xor_b32 s1, exec_lo, s1
; %bb.8:                                ;   in Loop: Header=BB105_6 Depth=1
	v_mov_b32_e32 v6, v3
	v_mov_b32_e32 v7, v19
                                        ; implicit-def: $vgpr0_vgpr1_vgpr2_vgpr3
	s_delay_alu instid0(VALU_DEP_2) | instskip(NEXT) | instid1(VALU_DEP_2)
	v_mov_b32_e32 v4, v6
	v_dual_mov_b32 v5, v7 :: v_dual_mov_b32 v6, v8
	v_mov_b32_e32 v7, v9
; %bb.9:                                ;   in Loop: Header=BB105_6 Depth=1
	s_and_not1_saveexec_b32 s1, s1
; %bb.10:                               ;   in Loop: Header=BB105_6 Depth=1
	v_dual_mov_b32 v4, v2 :: v_dual_mov_b32 v5, v3
	v_dual_mov_b32 v6, v19 :: v_dual_mov_b32 v7, v8
; %bb.11:                               ;   in Loop: Header=BB105_6 Depth=1
	s_or_b32 exec_lo, exec_lo, s1
                                        ; implicit-def: $vgpr0_vgpr1_vgpr2_vgpr3
.LBB105_12:                             ;   in Loop: Header=BB105_6 Depth=1
	s_and_not1_saveexec_b32 s0, s0
	s_cbranch_execz .LBB105_16
; %bb.13:                               ;   in Loop: Header=BB105_6 Depth=1
	s_mov_b32 s1, exec_lo
	v_cmpx_eq_u32_e32 1, v40
; %bb.14:                               ;   in Loop: Header=BB105_6 Depth=1
	v_dual_mov_b32 v0, v1 :: v_dual_mov_b32 v1, v2
	v_mov_b32_e32 v2, v3
	v_mov_b32_e32 v3, v19
; %bb.15:                               ;   in Loop: Header=BB105_6 Depth=1
	s_or_b32 exec_lo, exec_lo, s1
	s_delay_alu instid0(VALU_DEP_1)
	v_dual_mov_b32 v7, v3 :: v_dual_mov_b32 v6, v2
	v_dual_mov_b32 v5, v1 :: v_dual_mov_b32 v4, v0
.LBB105_16:                             ;   in Loop: Header=BB105_6 Depth=1
	s_or_b32 exec_lo, exec_lo, s0
	v_add_nc_u32_e32 v2, 2, v23
	s_mov_b32 s0, exec_lo
	s_delay_alu instid0(VALU_DEP_1) | instskip(SKIP_2) | instid1(VALU_DEP_1)
	v_cmp_eq_u32_e32 vcc_lo, 0, v2
	v_cndmask_b32_e64 v0, 0, 1, vcc_lo
	v_add_co_ci_u32_e32 v3, vcc_lo, 0, v18, vcc_lo
	v_cmp_eq_u32_e32 vcc_lo, 0, v3
	s_delay_alu instid0(VALU_DEP_3) | instskip(SKIP_1) | instid1(VALU_DEP_2)
	v_cndmask_b32_e32 v17, 0, v0, vcc_lo
	v_mad_u64_u32 v[0:1], null, 0xd2511f53, v2, 0
	v_add_nc_u32_e32 v20, v17, v20
	s_delay_alu instid0(VALU_DEP_2) | instskip(NEXT) | instid1(VALU_DEP_2)
	v_xor_b32_e32 v1, v1, v11
	v_cmp_eq_u32_e32 vcc_lo, 0, v20
	v_cndmask_b32_e32 v2, 0, v17, vcc_lo
	v_mad_u64_u32 v[17:18], null, 0xcd9e8d57, v20, 0
	s_delay_alu instid0(VALU_DEP_2) | instskip(NEXT) | instid1(VALU_DEP_2)
	v_add_nc_u32_e32 v21, v2, v21
	v_xor3_b32 v18, v18, v10, v3
	s_delay_alu instid0(VALU_DEP_2) | instskip(NEXT) | instid1(VALU_DEP_2)
	v_xor_b32_e32 v22, v21, v1
	v_mad_u64_u32 v[1:2], null, 0xd2511f53, v18, 0
	s_delay_alu instid0(VALU_DEP_2) | instskip(NEXT) | instid1(VALU_DEP_2)
	v_mad_u64_u32 v[44:45], null, 0xcd9e8d57, v22, 0
	v_xor3_b32 v0, v24, v2, v0
	s_delay_alu instid0(VALU_DEP_2) | instskip(NEXT) | instid1(VALU_DEP_2)
	v_xor3_b32 v2, v25, v45, v17
	v_mad_u64_u32 v[17:18], null, 0xcd9e8d57, v0, 0
	s_delay_alu instid0(VALU_DEP_2) | instskip(NEXT) | instid1(VALU_DEP_2)
	v_mad_u64_u32 v[45:46], null, 0xd2511f53, v2, 0
	v_xor3_b32 v2, v26, v18, v44
	s_delay_alu instid0(VALU_DEP_2) | instskip(NEXT) | instid1(VALU_DEP_2)
	v_xor3_b32 v18, v27, v46, v1
	;; [unrolled: 6-line block ×7, first 2 shown]
	v_mad_u64_u32 v[45:46], null, 0xcd9e8d57, v2, 0
	s_delay_alu instid0(VALU_DEP_2) | instskip(NEXT) | instid1(VALU_DEP_2)
	v_mad_u64_u32 v[47:48], null, 0xd2511f53, v0, 0
	v_xor3_b32 v0, v38, v46, v44
                                        ; implicit-def: $vgpr44
                                        ; implicit-def: $vgpr46
	s_delay_alu instid0(VALU_DEP_2) | instskip(NEXT) | instid1(VALU_DEP_2)
	v_xor3_b32 v2, v39, v48, v1
	v_mad_u64_u32 v[17:18], null, 0xd2511f53, v0, 0
	s_delay_alu instid0(VALU_DEP_2) | instskip(NEXT) | instid1(VALU_DEP_2)
	v_mad_u64_u32 v[0:1], null, 0xcd9e8d57, v2, 0
	v_xor3_b32 v2, v18, v47, v42
	s_delay_alu instid0(VALU_DEP_2)
	v_xor3_b32 v1, v1, v45, v41
                                        ; implicit-def: $vgpr45
	v_cmpx_lt_i32_e32 1, v40
	s_xor_b32 s0, exec_lo, s0
	s_cbranch_execz .LBB105_22
; %bb.17:                               ;   in Loop: Header=BB105_6 Depth=1
	s_mov_b32 s1, exec_lo
	v_cmpx_lt_i32_e32 2, v40
	s_xor_b32 s1, exec_lo, s1
; %bb.18:                               ;   in Loop: Header=BB105_6 Depth=1
                                        ; implicit-def: $vgpr9
; %bb.19:                               ;   in Loop: Header=BB105_6 Depth=1
	s_delay_alu instid0(SALU_CYCLE_1)
	s_or_saveexec_b32 s1, s1
	v_dual_mov_b32 v44, v2 :: v_dual_mov_b32 v45, v0
	v_mov_b32_e32 v46, v1
	s_xor_b32 exec_lo, exec_lo, s1
; %bb.20:                               ;   in Loop: Header=BB105_6 Depth=1
	v_dual_mov_b32 v44, v0 :: v_dual_mov_b32 v45, v1
	v_mov_b32_e32 v46, v16
	v_mov_b32_e32 v16, v9
; %bb.21:                               ;   in Loop: Header=BB105_6 Depth=1
	s_or_b32 exec_lo, exec_lo, s1
                                        ; implicit-def: $vgpr9
                                        ; implicit-def: $vgpr19
.LBB105_22:                             ;   in Loop: Header=BB105_6 Depth=1
	s_and_not1_saveexec_b32 s0, s0
	s_cbranch_execz .LBB105_26
; %bb.23:                               ;   in Loop: Header=BB105_6 Depth=1
	s_delay_alu instid0(VALU_DEP_1)
	v_dual_mov_b32 v44, v16 :: v_dual_mov_b32 v45, v9
	v_mov_b32_e32 v46, v8
	s_mov_b32 s1, exec_lo
	v_cmpx_eq_u32_e32 1, v40
; %bb.24:                               ;   in Loop: Header=BB105_6 Depth=1
	v_dual_mov_b32 v44, v1 :: v_dual_mov_b32 v45, v16
	v_dual_mov_b32 v46, v9 :: v_dual_mov_b32 v19, v8
; %bb.25:                               ;   in Loop: Header=BB105_6 Depth=1
	s_or_b32 exec_lo, exec_lo, s1
	s_delay_alu instid0(VALU_DEP_1)
	v_mov_b32_e32 v16, v19
.LBB105_26:                             ;   in Loop: Header=BB105_6 Depth=1
	s_or_b32 exec_lo, exec_lo, s0
	v_add_nc_u32_e32 v22, 3, v23
	s_mov_b32 s0, exec_lo
	s_delay_alu instid0(VALU_DEP_1) | instskip(SKIP_2) | instid1(VALU_DEP_1)
	v_cmp_eq_u32_e32 vcc_lo, 0, v22
	v_cndmask_b32_e64 v9, 0, 1, vcc_lo
	v_add_co_ci_u32_e32 v8, vcc_lo, 0, v3, vcc_lo
	v_cmp_eq_u32_e32 vcc_lo, 0, v8
	s_delay_alu instid0(VALU_DEP_3) | instskip(SKIP_1) | instid1(VALU_DEP_2)
	v_cndmask_b32_e32 v3, 0, v9, vcc_lo
	v_mad_u64_u32 v[18:19], null, 0xd2511f53, v22, 0
	v_add_nc_u32_e32 v9, v3, v20
	s_delay_alu instid0(VALU_DEP_2) | instskip(NEXT) | instid1(VALU_DEP_2)
	v_xor_b32_e32 v19, v19, v11
	v_cmp_eq_u32_e32 vcc_lo, 0, v9
	v_mad_u64_u32 v[47:48], null, 0xcd9e8d57, v9, 0
	v_cndmask_b32_e32 v3, 0, v3, vcc_lo
	s_delay_alu instid0(VALU_DEP_1) | instskip(NEXT) | instid1(VALU_DEP_3)
	v_add_nc_u32_e32 v20, v3, v21
	v_xor3_b32 v3, v48, v10, v8
	s_delay_alu instid0(VALU_DEP_2) | instskip(NEXT) | instid1(VALU_DEP_2)
	v_xor_b32_e32 v19, v20, v19
	v_mad_u64_u32 v[21:22], null, 0xd2511f53, v3, 0
	s_delay_alu instid0(VALU_DEP_2) | instskip(NEXT) | instid1(VALU_DEP_2)
	v_mad_u64_u32 v[48:49], null, 0xcd9e8d57, v19, 0
	v_xor3_b32 v3, v24, v22, v18
	s_delay_alu instid0(VALU_DEP_2) | instskip(NEXT) | instid1(VALU_DEP_2)
	v_xor3_b32 v22, v25, v49, v47
	v_mad_u64_u32 v[18:19], null, 0xcd9e8d57, v3, 0
	s_delay_alu instid0(VALU_DEP_2) | instskip(NEXT) | instid1(VALU_DEP_2)
	v_mad_u64_u32 v[49:50], null, 0xd2511f53, v22, 0
	v_xor3_b32 v3, v26, v19, v48
	s_delay_alu instid0(VALU_DEP_2) | instskip(NEXT) | instid1(VALU_DEP_2)
	v_xor3_b32 v19, v27, v50, v21
	;; [unrolled: 6-line block ×7, first 2 shown]
	v_mad_u64_u32 v[49:50], null, 0xcd9e8d57, v3, 0
	s_delay_alu instid0(VALU_DEP_2) | instskip(NEXT) | instid1(VALU_DEP_2)
	v_mad_u64_u32 v[51:52], null, 0xd2511f53, v18, 0
	v_xor3_b32 v3, v38, v50, v48
                                        ; implicit-def: $vgpr48
	s_delay_alu instid0(VALU_DEP_2) | instskip(NEXT) | instid1(VALU_DEP_2)
	v_xor3_b32 v47, v39, v52, v21
	v_mad_u64_u32 v[18:19], null, 0xd2511f53, v3, 0
                                        ; implicit-def: $vgpr3
	s_delay_alu instid0(VALU_DEP_2) | instskip(NEXT) | instid1(VALU_DEP_2)
	v_mad_u64_u32 v[21:22], null, 0xcd9e8d57, v47, 0
                                        ; implicit-def: $vgpr47
	v_xor3_b32 v50, v19, v51, v42
	s_delay_alu instid0(VALU_DEP_2)
	v_xor3_b32 v52, v22, v49, v41
	v_cmpx_lt_i32_e32 1, v40
	s_xor_b32 s0, exec_lo, s0
	s_cbranch_execz .LBB105_32
; %bb.27:                               ;   in Loop: Header=BB105_6 Depth=1
	s_mov_b32 s1, exec_lo
	v_cmpx_lt_i32_e32 2, v40
	s_xor_b32 s1, exec_lo, s1
; %bb.28:                               ;   in Loop: Header=BB105_6 Depth=1
                                        ; implicit-def: $vgpr2
; %bb.29:                               ;   in Loop: Header=BB105_6 Depth=1
	s_delay_alu instid0(SALU_CYCLE_1)
	s_or_saveexec_b32 s1, s1
	v_dual_mov_b32 v3, v50 :: v_dual_mov_b32 v48, v52
	v_mov_b32_e32 v47, v21
	s_xor_b32 exec_lo, exec_lo, s1
; %bb.30:                               ;   in Loop: Header=BB105_6 Depth=1
	v_mov_b32_e32 v3, v21
	v_dual_mov_b32 v47, v52 :: v_dual_mov_b32 v48, v17
	v_mov_b32_e32 v17, v2
; %bb.31:                               ;   in Loop: Header=BB105_6 Depth=1
	s_or_b32 exec_lo, exec_lo, s1
                                        ; implicit-def: $vgpr2
                                        ; implicit-def: $vgpr0
                                        ; implicit-def: $vgpr1
.LBB105_32:                             ;   in Loop: Header=BB105_6 Depth=1
	s_and_not1_saveexec_b32 s0, s0
	s_cbranch_execz .LBB105_36
; %bb.33:                               ;   in Loop: Header=BB105_6 Depth=1
	s_delay_alu instid0(VALU_DEP_1)
	v_dual_mov_b32 v3, v17 :: v_dual_mov_b32 v48, v0
	v_mov_b32_e32 v47, v2
	s_mov_b32 s1, exec_lo
	v_cmpx_eq_u32_e32 1, v40
; %bb.34:                               ;   in Loop: Header=BB105_6 Depth=1
	v_dual_mov_b32 v3, v52 :: v_dual_mov_b32 v48, v2
	v_mov_b32_e32 v47, v17
	v_mov_b32_e32 v1, v0
; %bb.35:                               ;   in Loop: Header=BB105_6 Depth=1
	s_or_b32 exec_lo, exec_lo, s1
	s_delay_alu instid0(VALU_DEP_1)
	v_mov_b32_e32 v17, v1
.LBB105_36:                             ;   in Loop: Header=BB105_6 Depth=1
	s_or_b32 exec_lo, exec_lo, s0
	v_add_nc_u32_e32 v23, 4, v23
	s_mov_b32 s0, exec_lo
                                        ; implicit-def: $vgpr51
	s_delay_alu instid0(VALU_DEP_1) | instskip(SKIP_2) | instid1(VALU_DEP_1)
	v_cmp_eq_u32_e32 vcc_lo, 0, v23
	v_cndmask_b32_e64 v0, 0, 1, vcc_lo
	v_add_co_ci_u32_e32 v22, vcc_lo, 0, v8, vcc_lo
	v_cmp_eq_u32_e32 vcc_lo, 0, v22
	s_delay_alu instid0(VALU_DEP_3) | instskip(NEXT) | instid1(VALU_DEP_1)
	v_cndmask_b32_e32 v0, 0, v0, vcc_lo
	v_add_nc_u32_e32 v8, v0, v9
	s_delay_alu instid0(VALU_DEP_1) | instskip(SKIP_1) | instid1(VALU_DEP_1)
	v_cmp_eq_u32_e32 vcc_lo, 0, v8
	v_cndmask_b32_e32 v0, 0, v0, vcc_lo
	v_add_nc_u32_e32 v9, v0, v20
	v_mad_u64_u32 v[0:1], null, 0xd2511f53, v23, 0
	v_mad_u64_u32 v[19:20], null, 0xcd9e8d57, v8, 0
	s_delay_alu instid0(VALU_DEP_2) | instskip(NEXT) | instid1(VALU_DEP_2)
	v_xor_b32_e32 v1, v1, v11
	v_xor3_b32 v20, v20, v10, v22
	s_delay_alu instid0(VALU_DEP_2) | instskip(NEXT) | instid1(VALU_DEP_2)
	v_xor_b32_e32 v49, v9, v1
	v_mad_u64_u32 v[53:54], null, 0xd2511f53, v20, 0
	s_delay_alu instid0(VALU_DEP_2) | instskip(NEXT) | instid1(VALU_DEP_2)
	v_mad_u64_u32 v[1:2], null, 0xcd9e8d57, v49, 0
	v_xor3_b32 v0, v24, v54, v0
	s_delay_alu instid0(VALU_DEP_2) | instskip(NEXT) | instid1(VALU_DEP_2)
	v_xor3_b32 v2, v25, v2, v19
	v_mad_u64_u32 v[54:55], null, 0xcd9e8d57, v0, 0
	s_delay_alu instid0(VALU_DEP_2) | instskip(NEXT) | instid1(VALU_DEP_1)
	v_mad_u64_u32 v[19:20], null, 0xd2511f53, v2, 0
	v_xor3_b32 v2, v27, v20, v53
	s_delay_alu instid0(VALU_DEP_3) | instskip(NEXT) | instid1(VALU_DEP_2)
	v_xor3_b32 v20, v26, v55, v1
	v_mad_u64_u32 v[0:1], null, 0xcd9e8d57, v2, 0
	s_delay_alu instid0(VALU_DEP_2) | instskip(NEXT) | instid1(VALU_DEP_2)
	v_mad_u64_u32 v[55:56], null, 0xd2511f53, v20, 0
	v_xor3_b32 v20, v29, v1, v54
	s_delay_alu instid0(VALU_DEP_2) | instskip(NEXT) | instid1(VALU_DEP_2)
	v_xor3_b32 v49, v28, v56, v19
	v_mad_u64_u32 v[1:2], null, 0xd2511f53, v20, 0
	s_delay_alu instid0(VALU_DEP_2) | instskip(NEXT) | instid1(VALU_DEP_2)
	v_mad_u64_u32 v[19:20], null, 0xcd9e8d57, v49, 0
	v_xor3_b32 v2, v31, v2, v55
	s_delay_alu instid0(VALU_DEP_2) | instskip(NEXT) | instid1(VALU_DEP_2)
	;; [unrolled: 6-line block ×6, first 2 shown]
	v_xor3_b32 v49, v38, v57, v1
	v_mad_u64_u32 v[1:2], null, 0xcd9e8d57, v0, 0
	s_delay_alu instid0(VALU_DEP_2) | instskip(NEXT) | instid1(VALU_DEP_2)
	v_mad_u64_u32 v[19:20], null, 0xd2511f53, v49, 0
                                        ; implicit-def: $vgpr49
	v_xor3_b32 v0, v2, v56, v41
	s_delay_alu instid0(VALU_DEP_2)
	v_xor3_b32 v2, v20, v54, v42
                                        ; implicit-def: $vgpr20
	v_cmpx_lt_i32_e32 1, v40
	s_xor_b32 s0, exec_lo, s0
	s_cbranch_execz .LBB105_42
; %bb.37:                               ;   in Loop: Header=BB105_6 Depth=1
	s_mov_b32 s1, exec_lo
	v_cmpx_lt_i32_e32 2, v40
	s_xor_b32 s1, exec_lo, s1
; %bb.38:                               ;   in Loop: Header=BB105_6 Depth=1
                                        ; implicit-def: $vgpr50
; %bb.39:                               ;   in Loop: Header=BB105_6 Depth=1
	s_delay_alu instid0(SALU_CYCLE_1)
	s_or_saveexec_b32 s1, s1
	v_dual_mov_b32 v20, v2 :: v_dual_mov_b32 v49, v1
	v_mov_b32_e32 v51, v0
	s_xor_b32 exec_lo, exec_lo, s1
; %bb.40:                               ;   in Loop: Header=BB105_6 Depth=1
	v_dual_mov_b32 v20, v1 :: v_dual_mov_b32 v49, v0
	v_mov_b32_e32 v51, v18
	v_mov_b32_e32 v18, v50
; %bb.41:                               ;   in Loop: Header=BB105_6 Depth=1
	s_or_b32 exec_lo, exec_lo, s1
                                        ; implicit-def: $vgpr50
                                        ; implicit-def: $vgpr21
                                        ; implicit-def: $vgpr52
.LBB105_42:                             ;   in Loop: Header=BB105_6 Depth=1
	s_and_not1_saveexec_b32 s0, s0
	s_cbranch_execz .LBB105_5
; %bb.43:                               ;   in Loop: Header=BB105_6 Depth=1
	s_delay_alu instid0(VALU_DEP_1)
	v_dual_mov_b32 v20, v18 :: v_dual_mov_b32 v51, v21
	v_mov_b32_e32 v49, v50
	s_mov_b32 s1, exec_lo
	v_cmpx_eq_u32_e32 1, v40
	s_cbranch_execz .LBB105_4
; %bb.44:                               ;   in Loop: Header=BB105_6 Depth=1
	v_dual_mov_b32 v20, v0 :: v_dual_mov_b32 v49, v18
	v_dual_mov_b32 v51, v50 :: v_dual_mov_b32 v52, v21
	s_branch .LBB105_4
.LBB105_45:
	s_endpgm
	.section	.rodata,"a",@progbits
	.p2align	6, 0x0
	.amdhsa_kernel _ZN2at6native12_GLOBAL__N_124fused_dropout_kernel_vecIN3c108BFloat16EfmLi1ELi16EhEEvNS_4cuda6detail10TensorInfoIKT_T1_EENS7_IS8_SA_EENS7_IT4_SA_EESA_T0_NS_15PhiloxCudaStateE
		.amdhsa_group_segment_fixed_size 0
		.amdhsa_private_segment_fixed_size 0
		.amdhsa_kernarg_size 1552
		.amdhsa_user_sgpr_count 15
		.amdhsa_user_sgpr_dispatch_ptr 0
		.amdhsa_user_sgpr_queue_ptr 0
		.amdhsa_user_sgpr_kernarg_segment_ptr 1
		.amdhsa_user_sgpr_dispatch_id 0
		.amdhsa_user_sgpr_private_segment_size 0
		.amdhsa_wavefront_size32 1
		.amdhsa_uses_dynamic_stack 0
		.amdhsa_enable_private_segment 0
		.amdhsa_system_sgpr_workgroup_id_x 1
		.amdhsa_system_sgpr_workgroup_id_y 0
		.amdhsa_system_sgpr_workgroup_id_z 0
		.amdhsa_system_sgpr_workgroup_info 0
		.amdhsa_system_vgpr_workitem_id 0
		.amdhsa_next_free_vgpr 78
		.amdhsa_next_free_sgpr 30
		.amdhsa_reserve_vcc 1
		.amdhsa_float_round_mode_32 0
		.amdhsa_float_round_mode_16_64 0
		.amdhsa_float_denorm_mode_32 3
		.amdhsa_float_denorm_mode_16_64 3
		.amdhsa_dx10_clamp 1
		.amdhsa_ieee_mode 1
		.amdhsa_fp16_overflow 0
		.amdhsa_workgroup_processor_mode 1
		.amdhsa_memory_ordered 1
		.amdhsa_forward_progress 0
		.amdhsa_shared_vgpr_count 0
		.amdhsa_exception_fp_ieee_invalid_op 0
		.amdhsa_exception_fp_denorm_src 0
		.amdhsa_exception_fp_ieee_div_zero 0
		.amdhsa_exception_fp_ieee_overflow 0
		.amdhsa_exception_fp_ieee_underflow 0
		.amdhsa_exception_fp_ieee_inexact 0
		.amdhsa_exception_int_div_zero 0
	.end_amdhsa_kernel
	.section	.text._ZN2at6native12_GLOBAL__N_124fused_dropout_kernel_vecIN3c108BFloat16EfmLi1ELi16EhEEvNS_4cuda6detail10TensorInfoIKT_T1_EENS7_IS8_SA_EENS7_IT4_SA_EESA_T0_NS_15PhiloxCudaStateE,"axG",@progbits,_ZN2at6native12_GLOBAL__N_124fused_dropout_kernel_vecIN3c108BFloat16EfmLi1ELi16EhEEvNS_4cuda6detail10TensorInfoIKT_T1_EENS7_IS8_SA_EENS7_IT4_SA_EESA_T0_NS_15PhiloxCudaStateE,comdat
.Lfunc_end105:
	.size	_ZN2at6native12_GLOBAL__N_124fused_dropout_kernel_vecIN3c108BFloat16EfmLi1ELi16EhEEvNS_4cuda6detail10TensorInfoIKT_T1_EENS7_IS8_SA_EENS7_IT4_SA_EESA_T0_NS_15PhiloxCudaStateE, .Lfunc_end105-_ZN2at6native12_GLOBAL__N_124fused_dropout_kernel_vecIN3c108BFloat16EfmLi1ELi16EhEEvNS_4cuda6detail10TensorInfoIKT_T1_EENS7_IS8_SA_EENS7_IT4_SA_EESA_T0_NS_15PhiloxCudaStateE
                                        ; -- End function
	.section	.AMDGPU.csdata,"",@progbits
; Kernel info:
; codeLenInByte = 5688
; NumSgprs: 32
; NumVgprs: 78
; ScratchSize: 0
; MemoryBound: 0
; FloatMode: 240
; IeeeMode: 1
; LDSByteSize: 0 bytes/workgroup (compile time only)
; SGPRBlocks: 3
; VGPRBlocks: 9
; NumSGPRsForWavesPerEU: 32
; NumVGPRsForWavesPerEU: 78
; Occupancy: 16
; WaveLimiterHint : 1
; COMPUTE_PGM_RSRC2:SCRATCH_EN: 0
; COMPUTE_PGM_RSRC2:USER_SGPR: 15
; COMPUTE_PGM_RSRC2:TRAP_HANDLER: 0
; COMPUTE_PGM_RSRC2:TGID_X_EN: 1
; COMPUTE_PGM_RSRC2:TGID_Y_EN: 0
; COMPUTE_PGM_RSRC2:TGID_Z_EN: 0
; COMPUTE_PGM_RSRC2:TIDIG_COMP_CNT: 0
	.section	.text._ZN2at6native12_GLOBAL__N_124fused_dropout_kernel_vecIN3c108BFloat16EfmLi1ELi8EhEEvNS_4cuda6detail10TensorInfoIKT_T1_EENS7_IS8_SA_EENS7_IT4_SA_EESA_T0_NS_15PhiloxCudaStateE,"axG",@progbits,_ZN2at6native12_GLOBAL__N_124fused_dropout_kernel_vecIN3c108BFloat16EfmLi1ELi8EhEEvNS_4cuda6detail10TensorInfoIKT_T1_EENS7_IS8_SA_EENS7_IT4_SA_EESA_T0_NS_15PhiloxCudaStateE,comdat
	.globl	_ZN2at6native12_GLOBAL__N_124fused_dropout_kernel_vecIN3c108BFloat16EfmLi1ELi8EhEEvNS_4cuda6detail10TensorInfoIKT_T1_EENS7_IS8_SA_EENS7_IT4_SA_EESA_T0_NS_15PhiloxCudaStateE ; -- Begin function _ZN2at6native12_GLOBAL__N_124fused_dropout_kernel_vecIN3c108BFloat16EfmLi1ELi8EhEEvNS_4cuda6detail10TensorInfoIKT_T1_EENS7_IS8_SA_EENS7_IT4_SA_EESA_T0_NS_15PhiloxCudaStateE
	.p2align	8
	.type	_ZN2at6native12_GLOBAL__N_124fused_dropout_kernel_vecIN3c108BFloat16EfmLi1ELi8EhEEvNS_4cuda6detail10TensorInfoIKT_T1_EENS7_IS8_SA_EENS7_IT4_SA_EESA_T0_NS_15PhiloxCudaStateE,@function
_ZN2at6native12_GLOBAL__N_124fused_dropout_kernel_vecIN3c108BFloat16EfmLi1ELi8EhEEvNS_4cuda6detail10TensorInfoIKT_T1_EENS7_IS8_SA_EENS7_IT4_SA_EESA_T0_NS_15PhiloxCudaStateE: ; @_ZN2at6native12_GLOBAL__N_124fused_dropout_kernel_vecIN3c108BFloat16EfmLi1ELi8EhEEvNS_4cuda6detail10TensorInfoIKT_T1_EENS7_IS8_SA_EENS7_IT4_SA_EESA_T0_NS_15PhiloxCudaStateE
; %bb.0:
	s_clause 0x1
	s_load_b128 s[4:7], s[0:1], 0x4f0
	s_load_b32 s2, s[0:1], 0x508
	s_waitcnt lgkmcnt(0)
	v_dual_mov_b32 v1, s6 :: v_dual_mov_b32 v2, s7
	v_dual_mov_b32 v11, s5 :: v_dual_mov_b32 v10, s4
	s_bitcmp0_b32 s2, 0
	s_cbranch_scc1 .LBB106_2
; %bb.1:
	v_dual_mov_b32 v1, s6 :: v_dual_mov_b32 v2, s7
	v_dual_mov_b32 v3, s4 :: v_dual_mov_b32 v4, s5
	s_load_b64 s[2:3], s[0:1], 0x500
	flat_load_b64 v[1:2], v[1:2]
	flat_load_b64 v[10:11], v[3:4]
	s_waitcnt vmcnt(1) lgkmcnt(0)
	v_add_co_u32 v1, vcc_lo, v1, s2
	v_add_co_ci_u32_e32 v2, vcc_lo, s3, v2, vcc_lo
.LBB106_2:
	s_clause 0x1
	s_load_b32 s4, s[0:1], 0x51c
	s_load_b64 s[8:9], s[0:1], 0x4e0
	s_add_u32 s2, s0, 0x510
	s_addc_u32 s3, s1, 0
	s_mov_b32 s5, exec_lo
	s_waitcnt lgkmcnt(0)
	s_and_b32 s4, s4, 0xffff
	s_delay_alu instid0(SALU_CYCLE_1) | instskip(SKIP_1) | instid1(VALU_DEP_1)
	v_mad_u64_u32 v[14:15], null, s15, s4, v[0:1]
	v_mov_b32_e32 v15, 0
	v_lshlrev_b64 v[12:13], 3, v[14:15]
	s_delay_alu instid0(VALU_DEP_1)
	v_cmpx_gt_u64_e64 s[8:9], v[12:13]
	s_cbranch_execz .LBB106_25
; %bb.3:
	v_alignbit_b32 v21, v2, v1, 2
	v_mad_u64_u32 v[3:4], null, 0xcd9e8d57, v14, 0
	v_lshrrev_b32_e32 v42, 2, v2
	s_waitcnt vmcnt(0)
	v_mov_b32_e32 v16, v11
	v_mad_u64_u32 v[5:6], null, 0xd2511f53, v21, 0
	v_add_co_u32 v23, null, 0x9e3779b9, v10
	v_xor3_b32 v0, v10, v4, v42
	s_delay_alu instid0(VALU_DEP_4) | instskip(SKIP_2) | instid1(VALU_DEP_4)
	v_add_co_u32 v22, null, 0xbb67ae85, v16
	v_add_co_u32 v24, null, 0x3c6ef372, v10
	v_xor_b32_e32 v2, v6, v11
	v_mad_u64_u32 v[6:7], null, 0xd2511f53, v0, 0
	v_add_co_u32 v25, null, 0x76cf5d0a, v16
	s_delay_alu instid0(VALU_DEP_3) | instskip(SKIP_1) | instid1(VALU_DEP_4)
	v_mad_u64_u32 v[8:9], null, 0xcd9e8d57, v2, 0
	v_add_co_u32 v26, null, 0x32370b8f, v16
	v_xor3_b32 v0, v22, v7, v5
	v_add_co_u32 v27, null, 0xdaa66d2b, v10
	s_load_b32 s20, s[0:1], 0x4e8
	s_delay_alu instid0(VALU_DEP_4) | instskip(NEXT) | instid1(VALU_DEP_3)
	v_xor3_b32 v7, v9, v23, v3
	v_mad_u64_u32 v[2:3], null, 0xcd9e8d57, v0, 0
	v_add_co_u32 v28, null, 0x78dde6e4, v10
	s_delay_alu instid0(VALU_DEP_3) | instskip(SKIP_1) | instid1(VALU_DEP_4)
	v_mad_u64_u32 v[4:5], null, 0xd2511f53, v7, 0
	v_add_co_u32 v29, null, 0xed9eba14, v16
	v_xor3_b32 v0, v24, v3, v8
	v_add_co_u32 v31, null, 0x1715609d, v10
	v_add_co_u32 v30, null, 0xa9066899, v16
	v_xor3_b32 v3, v5, v25, v6
	s_delay_alu instid0(VALU_DEP_4) | instskip(SKIP_1) | instid1(VALU_DEP_3)
	v_mad_u64_u32 v[5:6], null, 0xd2511f53, v0, 0
	v_add_co_u32 v32, null, 0xb54cda56, v10
	v_mad_u64_u32 v[7:8], null, 0xcd9e8d57, v3, 0
	v_add_co_u32 v33, null, 0x5384540f, v10
	s_delay_alu instid0(VALU_DEP_4)
	v_xor3_b32 v0, v26, v6, v4
	s_waitcnt lgkmcnt(0)
	v_div_scale_f32 v18, vcc_lo, 1.0, s20, 1.0
	s_clause 0x2
	s_load_b64 s[10:11], s[0:1], 0x0
	s_load_b64 s[12:13], s[0:1], 0x1a0
	;; [unrolled: 1-line block ×3, first 2 shown]
	v_xor3_b32 v4, v8, v27, v2
	v_mad_u64_u32 v[2:3], null, 0xcd9e8d57, v0, 0
	s_load_b32 s0, s[2:3], 0x0
	v_add_co_u32 v36, null, 0xf1bbcdc8, v10
	s_delay_alu instid0(VALU_DEP_3) | instskip(SKIP_1) | instid1(VALU_DEP_4)
	v_mad_u64_u32 v[8:9], null, 0xd2511f53, v4, 0
	v_and_b32_e32 v38, 3, v1
	v_xor3_b32 v0, v28, v3, v7
	v_add_nc_u32_e32 v39, 0x8ff34781, v10
	s_mov_b32 s17, 0
	s_mov_b32 s21, s20
	v_add_nc_u32_e32 v40, 0x96a522ad, v11
	v_xor3_b32 v7, v9, v29, v5
	v_mad_u64_u32 v[3:4], null, 0xd2511f53, v0, 0
	v_div_scale_f32 v0, null, s20, s20, 1.0
	s_delay_alu instid0(VALU_DEP_3) | instskip(NEXT) | instid1(VALU_DEP_2)
	v_mad_u64_u32 v[5:6], null, 0xcd9e8d57, v7, 0
	v_rcp_f32_e32 v17, v0
	s_delay_alu instid0(VALU_DEP_3) | instskip(SKIP_2) | instid1(SALU_CYCLE_1)
	v_xor3_b32 v4, v30, v4, v8
	s_waitcnt lgkmcnt(0)
	s_mul_i32 s0, s0, s4
	s_lshl_b32 s16, s0, 3
	s_delay_alu instid0(VALU_DEP_2) | instskip(SKIP_2) | instid1(VALU_DEP_2)
	v_xor3_b32 v2, v6, v31, v2
	v_mad_u64_u32 v[6:7], null, 0xcd9e8d57, v4, 0
	s_lshl_b64 s[18:19], s[16:17], 1
	v_mad_u64_u32 v[8:9], null, 0xd2511f53, v2, 0
	s_waitcnt_depctr 0xfff
	v_fma_f32 v2, -v0, v17, 1.0
	v_xor3_b32 v4, v32, v7, v5
	s_delay_alu instid0(VALU_DEP_2) | instskip(SKIP_3) | instid1(VALU_DEP_3)
	v_fmac_f32_e32 v17, v2, v17
	v_add_co_u32 v34, null, 0x646e171e, v16
	v_add_co_u32 v35, null, 0x1fd5c5a3, v16
	;; [unrolled: 1-line block ×3, first 2 shown]
	v_xor3_b32 v7, v9, v34, v3
	v_mad_u64_u32 v[2:3], null, 0xd2511f53, v4, 0
	v_mul_f32_e32 v9, v18, v17
	s_delay_alu instid0(VALU_DEP_3) | instskip(NEXT) | instid1(VALU_DEP_2)
	v_mad_u64_u32 v[4:5], null, 0xcd9e8d57, v7, 0
	v_fma_f32 v20, -v0, v9, v18
	s_delay_alu instid0(VALU_DEP_4) | instskip(NEXT) | instid1(VALU_DEP_3)
	v_xor3_b32 v3, v35, v3, v8
	v_xor3_b32 v19, v5, v33, v6
	s_delay_alu instid0(VALU_DEP_2) | instskip(NEXT) | instid1(VALU_DEP_4)
	v_mad_u64_u32 v[5:6], null, 0xcd9e8d57, v3, 0
	v_fmac_f32_e32 v9, v20, v17
	s_delay_alu instid0(VALU_DEP_3) | instskip(NEXT) | instid1(VALU_DEP_2)
	v_mad_u64_u32 v[7:8], null, 0xd2511f53, v19, 0
	v_fma_f32 v0, -v0, v9, v18
	s_delay_alu instid0(VALU_DEP_4) | instskip(NEXT) | instid1(VALU_DEP_3)
	v_xor3_b32 v6, v36, v6, v4
	v_xor3_b32 v8, v8, v37, v2
	s_delay_alu instid0(VALU_DEP_2) | instskip(NEXT) | instid1(VALU_DEP_4)
	v_mad_u64_u32 v[3:4], null, 0xd2511f53, v6, 0
	v_div_fmas_f32 v0, v0, v17, v9
	v_lshlrev_b64 v[16:17], 4, v[14:15]
	s_delay_alu instid0(VALU_DEP_4) | instskip(NEXT) | instid1(VALU_DEP_3)
	v_mad_u64_u32 v[1:2], null, 0xcd9e8d57, v8, 0
	v_div_fixup_f32 v41, v0, s20, 1.0
	s_delay_alu instid0(VALU_DEP_2)
	v_xor3_b32 v0, v5, v2, v39
	v_xor3_b32 v2, v4, v7, v40
	s_branch .LBB106_6
.LBB106_4:                              ;   in Loop: Header=BB106_6 Depth=1
	s_or_b32 exec_lo, exec_lo, s1
	s_delay_alu instid0(VALU_DEP_1)
	v_mov_b32_e32 v18, v43
.LBB106_5:                              ;   in Loop: Header=BB106_6 Depth=1
	s_or_b32 exec_lo, exec_lo, s0
	v_add_co_u32 v8, vcc_lo, s10, v16
	v_add_co_ci_u32_e32 v9, vcc_lo, s11, v17, vcc_lo
	v_cvt_f32_u32_e32 v5, v5
	v_cvt_f32_u32_e32 v7, v7
	;; [unrolled: 1-line block ×3, first 2 shown]
	global_load_b128 v[46:49], v[8:9], off
	v_cvt_f32_u32_e32 v43, v45
	v_cvt_f32_u32_e32 v45, v18
	;; [unrolled: 1-line block ×3, first 2 shown]
	v_dual_fmaak_f32 v5, 0x2f800000, v5, 0x2f800000 :: v_dual_fmaak_f32 v6, 0x2f800000, v6, 0x2f800000
	v_cvt_f32_u32_e32 v4, v4
	v_cvt_f32_u32_e32 v44, v44
	v_fmaak_f32 v7, 0x2f800000, v7, 0x2f800000
	v_dual_fmaak_f32 v45, 0x2f800000, v45, 0x2f800000 :: v_dual_fmaak_f32 v20, 0x2f800000, v20, 0x2f800000
	v_cmp_gt_f32_e64 s1, s21, v5
	v_dual_mov_b32 v3, v19 :: v_dual_fmaak_f32 v4, 0x2f800000, v4, 0x2f800000
	v_fmaak_f32 v44, 0x2f800000, v44, 0x2f800000
	v_cmp_gt_f32_e64 s3, s21, v7
	v_cmp_gt_f32_e64 s7, s21, v20
	v_cndmask_b32_e64 v50, 0, 1.0, s1
	v_fmaak_f32 v43, 0x2f800000, v43, 0x2f800000
	v_cmp_gt_f32_e64 s0, s20, v4
	v_cndmask_b32_e64 v5, 0, 1, s1
	v_cmp_gt_f32_e64 s2, s20, v6
	v_cndmask_b32_e64 v7, 0, 1, s3
	v_cmp_gt_f32_e64 s5, s21, v43
	v_cmp_gt_f32_e64 s6, s20, v44
	v_cndmask_b32_e64 v54, 0, 1, s7
	v_cndmask_b32_e64 v4, 0, 1, s0
	;; [unrolled: 1-line block ×3, first 2 shown]
	v_cmp_gt_f32_e64 s4, s20, v45
	v_cndmask_b32_e64 v53, 0, 1, s5
	v_cndmask_b32_e64 v55, 0, 1, s6
	v_lshlrev_b16 v5, 8, v5
	v_lshlrev_b16 v7, 8, v7
	;; [unrolled: 1-line block ×3, first 2 shown]
	v_cndmask_b32_e64 v45, 0, 1.0, s4
	v_cndmask_b32_e64 v52, 0, 1, s4
	v_lshlrev_b16 v53, 8, v53
	v_or_b32_e32 v4, v4, v5
	v_or_b32_e32 v5, v6, v7
	;; [unrolled: 1-line block ×3, first 2 shown]
	v_cndmask_b32_e64 v43, 0, 1.0, s5
	v_cndmask_b32_e64 v44, 0, 1.0, s6
	;; [unrolled: 1-line block ×3, first 2 shown]
	v_or_b32_e32 v6, v52, v53
	v_cndmask_b32_e64 v20, 0, 1.0, s7
	v_cndmask_b32_e64 v52, 0, 1.0, s2
	v_cndmask_b32_e64 v56, 0, 1.0, s3
	v_add_co_u32 v8, vcc_lo, s12, v16
	v_add_co_ci_u32_e32 v9, vcc_lo, s13, v17, vcc_lo
	v_add_co_u32 v18, vcc_lo, s14, v12
	v_add_co_ci_u32_e32 v19, vcc_lo, s15, v13, vcc_lo
	;; [unrolled: 2-line block ×3, first 2 shown]
	s_add_u32 s10, s10, s18
	s_addc_u32 s11, s11, s19
	s_add_u32 s12, s12, s18
	s_delay_alu instid0(VALU_DEP_1)
	v_cmp_le_u64_e32 vcc_lo, s[8:9], v[12:13]
	s_addc_u32 s13, s13, s19
	s_or_b32 s17, vcc_lo, s17
	s_waitcnt vmcnt(0)
	v_lshlrev_b32_e32 v55, 16, v48
	v_and_b32_e32 v48, 0xffff0000, v48
	v_lshlrev_b32_e32 v57, 16, v49
	v_and_b32_e32 v49, 0xffff0000, v49
	v_and_b32_e32 v53, 0xffff, v6
	v_mul_f32_e32 v45, v45, v55
	v_dual_mul_f32 v43, v43, v48 :: v_dual_lshlrev_b32 v54, 16, v7
	v_dual_mul_f32 v44, v44, v57 :: v_dual_lshlrev_b32 v7, 16, v46
	v_and_b32_e32 v4, 0xffff, v4
	v_and_b32_e32 v6, 0xffff0000, v46
	v_dual_mul_f32 v45, v41, v45 :: v_dual_and_b32 v46, 0xffff0000, v47
	v_lshlrev_b32_e32 v47, 16, v47
	v_mul_f32_e32 v7, v51, v7
	s_delay_alu instid0(VALU_DEP_3) | instskip(SKIP_1) | instid1(VALU_DEP_4)
	v_dual_mul_f32 v46, v56, v46 :: v_dual_lshlrev_b32 v5, 16, v5
	v_mul_f32_e32 v20, v20, v49
	v_mul_f32_e32 v47, v52, v47
	s_delay_alu instid0(VALU_DEP_4) | instskip(NEXT) | instid1(VALU_DEP_4)
	v_dual_mul_f32 v7, v41, v7 :: v_dual_mul_f32 v6, v50, v6
	v_mul_f32_e32 v46, v41, v46
	v_mul_f32_e32 v43, v41, v43
	s_delay_alu instid0(VALU_DEP_4) | instskip(NEXT) | instid1(VALU_DEP_4)
	v_mul_f32_e32 v47, v41, v47
	v_bfe_u32 v48, v7, 16, 1
	v_cmp_o_f32_e64 s0, v7, v7
	v_bfe_u32 v51, v46, 16, 1
	v_mul_f32_e32 v20, v41, v20
	v_bfe_u32 v50, v47, 16, 1
	v_add3_u32 v48, v7, v48, 0x7fff
	v_bfe_u32 v52, v43, 16, 1
	v_add3_u32 v51, v46, v51, 0x7fff
	v_mul_f32_e32 v44, v41, v44
	v_add3_u32 v50, v47, v50, 0x7fff
	v_lshrrev_b32_e32 v48, 16, v48
	v_bfe_u32 v56, v20, 16, 1
	v_add3_u32 v52, v43, v52, 0x7fff
	v_lshrrev_b32_e32 v51, 16, v51
	v_lshrrev_b32_e32 v50, 16, v50
	v_cndmask_b32_e64 v48, 0x7fc0, v48, s0
	v_cmp_o_f32_e64 s0, v47, v47
	v_bfe_u32 v57, v44, 16, 1
	v_add3_u32 v56, v20, v56, 0x7fff
	v_lshrrev_b32_e32 v52, 16, v52
	v_mul_f32_e32 v6, v41, v6
	v_cndmask_b32_e64 v47, 0x7fc0, v50, s0
	v_cmp_o_f32_e64 s0, v46, v46
	v_bfe_u32 v55, v45, 16, 1
	v_add3_u32 v57, v44, v57, 0x7fff
	v_lshrrev_b32_e32 v56, 16, v56
	v_bfe_u32 v49, v6, 16, 1
	v_cndmask_b32_e64 v46, 0x7fc0, v51, s0
	v_cmp_o_f32_e64 s0, v43, v43
	v_add3_u32 v55, v45, v55, 0x7fff
	v_lshrrev_b32_e32 v57, 16, v57
	v_add3_u32 v49, v6, v49, 0x7fff
	v_or_b32_e32 v43, v4, v5
	v_cndmask_b32_e64 v50, 0x7fc0, v52, s0
	v_cmp_o_f32_e64 s0, v20, v20
	v_lshrrev_b32_e32 v55, 16, v55
	v_lshrrev_b32_e32 v49, 16, v49
	v_perm_b32 v5, v46, v47, 0x5040100
	s_delay_alu instid0(VALU_DEP_4) | instskip(SKIP_1) | instid1(VALU_DEP_1)
	v_cndmask_b32_e64 v7, 0x7fc0, v56, s0
	v_cmp_o_f32_e64 s0, v44, v44
	v_cndmask_b32_e64 v20, 0x7fc0, v57, s0
	v_cmp_o_f32_e64 s0, v45, v45
	s_delay_alu instid0(VALU_DEP_2) | instskip(NEXT) | instid1(VALU_DEP_2)
	v_perm_b32 v7, v7, v20, 0x5040100
	v_cndmask_b32_e64 v44, 0x7fc0, v55, s0
	v_cmp_o_f32_e64 s0, v6, v6
	s_delay_alu instid0(VALU_DEP_2) | instskip(NEXT) | instid1(VALU_DEP_2)
	v_perm_b32 v6, v50, v44, 0x5040100
	v_cndmask_b32_e64 v45, 0x7fc0, v49, s0
	v_or_b32_e32 v44, v53, v54
	s_delay_alu instid0(VALU_DEP_2)
	v_perm_b32 v4, v45, v48, 0x5040100
	global_store_b128 v[8:9], v[4:7], off
	global_store_b64 v[18:19], v[43:44], off
	s_waitcnt_vscnt null, 0x0
	s_barrier
	buffer_gl0_inv
	s_and_not1_b32 exec_lo, exec_lo, s17
	s_cbranch_execz .LBB106_25
.LBB106_6:                              ; =>This Inner Loop Header: Depth=1
	v_add_co_u32 v6, vcc_lo, v21, 1
	s_delay_alu instid0(VALU_DEP_1) | instskip(SKIP_2) | instid1(VALU_DEP_1)
	v_cndmask_b32_e64 v4, 0, 1, vcc_lo
	v_add_co_ci_u32_e32 v20, vcc_lo, 0, v42, vcc_lo
	s_mov_b32 s0, exec_lo
	v_cmp_eq_u32_e32 vcc_lo, 0, v20
	s_delay_alu instid0(VALU_DEP_3) | instskip(SKIP_1) | instid1(VALU_DEP_2)
	v_cndmask_b32_e32 v7, 0, v4, vcc_lo
	v_mad_u64_u32 v[4:5], null, 0xd2511f53, v6, 0
	v_add_nc_u32_e32 v14, v7, v14
	s_delay_alu instid0(VALU_DEP_2) | instskip(NEXT) | instid1(VALU_DEP_2)
	v_xor_b32_e32 v8, v5, v11
	v_cmp_eq_u32_e32 vcc_lo, 0, v14
	v_cndmask_b32_e32 v7, 0, v7, vcc_lo
	v_mad_u64_u32 v[5:6], null, 0xcd9e8d57, v14, 0
	s_delay_alu instid0(VALU_DEP_2) | instskip(NEXT) | instid1(VALU_DEP_2)
	v_add_nc_u32_e32 v15, v7, v15
	v_xor3_b32 v18, v6, v10, v20
	s_delay_alu instid0(VALU_DEP_2) | instskip(NEXT) | instid1(VALU_DEP_1)
	v_xor_b32_e32 v8, v15, v8
	v_mad_u64_u32 v[6:7], null, 0xcd9e8d57, v8, 0
	s_delay_alu instid0(VALU_DEP_3) | instskip(NEXT) | instid1(VALU_DEP_2)
	v_mad_u64_u32 v[8:9], null, 0xd2511f53, v18, 0
	v_xor3_b32 v7, v23, v7, v5
	s_delay_alu instid0(VALU_DEP_2) | instskip(NEXT) | instid1(VALU_DEP_2)
	v_xor3_b32 v9, v22, v9, v4
	v_mad_u64_u32 v[4:5], null, 0xd2511f53, v7, 0
	s_delay_alu instid0(VALU_DEP_2) | instskip(NEXT) | instid1(VALU_DEP_2)
	v_mad_u64_u32 v[18:19], null, 0xcd9e8d57, v9, 0
	v_xor3_b32 v7, v25, v5, v8
	s_delay_alu instid0(VALU_DEP_2) | instskip(NEXT) | instid1(VALU_DEP_2)
	v_xor3_b32 v9, v24, v19, v6
	v_mad_u64_u32 v[5:6], null, 0xcd9e8d57, v7, 0
	s_delay_alu instid0(VALU_DEP_2) | instskip(NEXT) | instid1(VALU_DEP_2)
	;; [unrolled: 6-line block ×8, first 2 shown]
	v_mad_u64_u32 v[18:19], null, 0xd2511f53, v4, 0
	v_xor3_b32 v43, v9, v42, v39
	s_delay_alu instid0(VALU_DEP_2)
	v_xor3_b32 v9, v19, v5, v40
                                        ; implicit-def: $vgpr4_vgpr5_vgpr6_vgpr7
	v_cmpx_lt_i32_e32 1, v38
	s_xor_b32 s0, exec_lo, s0
	s_cbranch_execz .LBB106_12
; %bb.7:                                ;   in Loop: Header=BB106_6 Depth=1
	s_mov_b32 s1, exec_lo
                                        ; implicit-def: $vgpr4_vgpr5_vgpr6_vgpr7
	v_cmpx_lt_i32_e32 2, v38
	s_xor_b32 s1, exec_lo, s1
; %bb.8:                                ;   in Loop: Header=BB106_6 Depth=1
	v_mov_b32_e32 v6, v3
	v_mov_b32_e32 v7, v43
                                        ; implicit-def: $vgpr0_vgpr1_vgpr2_vgpr3
	s_delay_alu instid0(VALU_DEP_2) | instskip(NEXT) | instid1(VALU_DEP_2)
	v_mov_b32_e32 v4, v6
	v_dual_mov_b32 v5, v7 :: v_dual_mov_b32 v6, v8
	v_mov_b32_e32 v7, v9
; %bb.9:                                ;   in Loop: Header=BB106_6 Depth=1
	s_and_not1_saveexec_b32 s1, s1
; %bb.10:                               ;   in Loop: Header=BB106_6 Depth=1
	v_dual_mov_b32 v4, v2 :: v_dual_mov_b32 v5, v3
	v_dual_mov_b32 v6, v43 :: v_dual_mov_b32 v7, v8
; %bb.11:                               ;   in Loop: Header=BB106_6 Depth=1
	s_or_b32 exec_lo, exec_lo, s1
                                        ; implicit-def: $vgpr0_vgpr1_vgpr2_vgpr3
.LBB106_12:                             ;   in Loop: Header=BB106_6 Depth=1
	s_and_not1_saveexec_b32 s0, s0
	s_cbranch_execz .LBB106_16
; %bb.13:                               ;   in Loop: Header=BB106_6 Depth=1
	s_mov_b32 s1, exec_lo
	v_cmpx_eq_u32_e32 1, v38
; %bb.14:                               ;   in Loop: Header=BB106_6 Depth=1
	v_dual_mov_b32 v0, v1 :: v_dual_mov_b32 v1, v2
	v_mov_b32_e32 v2, v3
	v_mov_b32_e32 v3, v43
; %bb.15:                               ;   in Loop: Header=BB106_6 Depth=1
	s_or_b32 exec_lo, exec_lo, s1
	s_delay_alu instid0(VALU_DEP_1)
	v_dual_mov_b32 v7, v3 :: v_dual_mov_b32 v6, v2
	v_dual_mov_b32 v5, v1 :: v_dual_mov_b32 v4, v0
.LBB106_16:                             ;   in Loop: Header=BB106_6 Depth=1
	s_or_b32 exec_lo, exec_lo, s0
	v_add_nc_u32_e32 v21, 2, v21
	s_mov_b32 s0, exec_lo
	s_delay_alu instid0(VALU_DEP_1) | instskip(SKIP_2) | instid1(VALU_DEP_1)
	v_cmp_eq_u32_e32 vcc_lo, 0, v21
	v_cndmask_b32_e64 v0, 0, 1, vcc_lo
	v_add_co_ci_u32_e32 v42, vcc_lo, 0, v20, vcc_lo
	v_cmp_eq_u32_e32 vcc_lo, 0, v42
	s_delay_alu instid0(VALU_DEP_3) | instskip(NEXT) | instid1(VALU_DEP_1)
	v_cndmask_b32_e32 v0, 0, v0, vcc_lo
	v_add_nc_u32_e32 v14, v0, v14
	s_delay_alu instid0(VALU_DEP_1) | instskip(SKIP_2) | instid1(VALU_DEP_2)
	v_cmp_eq_u32_e32 vcc_lo, 0, v14
	v_mad_u64_u32 v[2:3], null, 0xcd9e8d57, v14, 0
	v_cndmask_b32_e32 v0, 0, v0, vcc_lo
	v_xor3_b32 v3, v3, v10, v42
	s_delay_alu instid0(VALU_DEP_2) | instskip(SKIP_1) | instid1(VALU_DEP_3)
	v_add_nc_u32_e32 v15, v0, v15
	v_mad_u64_u32 v[0:1], null, 0xd2511f53, v21, 0
	v_mad_u64_u32 v[44:45], null, 0xd2511f53, v3, 0
	s_delay_alu instid0(VALU_DEP_2) | instskip(NEXT) | instid1(VALU_DEP_1)
	v_xor_b32_e32 v1, v1, v11
	v_xor_b32_e32 v1, v15, v1
	s_delay_alu instid0(VALU_DEP_1) | instskip(NEXT) | instid1(VALU_DEP_1)
	v_mad_u64_u32 v[19:20], null, 0xcd9e8d57, v1, 0
	v_xor3_b32 v2, v23, v20, v2
	v_xor3_b32 v20, v22, v45, v0
	s_delay_alu instid0(VALU_DEP_2) | instskip(NEXT) | instid1(VALU_DEP_2)
	v_mad_u64_u32 v[0:1], null, 0xd2511f53, v2, 0
	v_mad_u64_u32 v[2:3], null, 0xcd9e8d57, v20, 0
	s_delay_alu instid0(VALU_DEP_2) | instskip(NEXT) | instid1(VALU_DEP_2)
	v_xor3_b32 v1, v25, v1, v44
	v_xor3_b32 v3, v24, v3, v19
	s_delay_alu instid0(VALU_DEP_2) | instskip(NEXT) | instid1(VALU_DEP_2)
	v_mad_u64_u32 v[19:20], null, 0xcd9e8d57, v1, 0
	v_mad_u64_u32 v[44:45], null, 0xd2511f53, v3, 0
	s_delay_alu instid0(VALU_DEP_2) | instskip(NEXT) | instid1(VALU_DEP_2)
	;; [unrolled: 6-line block ×7, first 2 shown]
	v_xor3_b32 v3, v37, v46, v44
	v_xor3_b32 v44, v36, v1, v19
	s_delay_alu instid0(VALU_DEP_2) | instskip(NEXT) | instid1(VALU_DEP_2)
	v_mad_u64_u32 v[1:2], null, 0xcd9e8d57, v3, 0
	v_mad_u64_u32 v[19:20], null, 0xd2511f53, v44, 0
                                        ; implicit-def: $vgpr44
	s_delay_alu instid0(VALU_DEP_2) | instskip(NEXT) | instid1(VALU_DEP_2)
	v_xor3_b32 v0, v2, v0, v39
	v_xor3_b32 v2, v20, v45, v40
                                        ; implicit-def: $vgpr20
                                        ; implicit-def: $vgpr45
	v_cmpx_lt_i32_e32 1, v38
	s_xor_b32 s0, exec_lo, s0
	s_cbranch_execz .LBB106_22
; %bb.17:                               ;   in Loop: Header=BB106_6 Depth=1
	s_mov_b32 s1, exec_lo
	v_cmpx_lt_i32_e32 2, v38
	s_xor_b32 s1, exec_lo, s1
; %bb.18:                               ;   in Loop: Header=BB106_6 Depth=1
                                        ; implicit-def: $vgpr9
; %bb.19:                               ;   in Loop: Header=BB106_6 Depth=1
	s_delay_alu instid0(SALU_CYCLE_1)
	s_or_saveexec_b32 s1, s1
	v_dual_mov_b32 v20, v2 :: v_dual_mov_b32 v45, v0
	v_mov_b32_e32 v44, v1
	s_xor_b32 exec_lo, exec_lo, s1
; %bb.20:                               ;   in Loop: Header=BB106_6 Depth=1
	v_dual_mov_b32 v20, v1 :: v_dual_mov_b32 v45, v18
	v_mov_b32_e32 v44, v0
	v_mov_b32_e32 v18, v9
; %bb.21:                               ;   in Loop: Header=BB106_6 Depth=1
	s_or_b32 exec_lo, exec_lo, s1
                                        ; implicit-def: $vgpr9
                                        ; implicit-def: $vgpr43
.LBB106_22:                             ;   in Loop: Header=BB106_6 Depth=1
	s_and_not1_saveexec_b32 s0, s0
	s_cbranch_execz .LBB106_5
; %bb.23:                               ;   in Loop: Header=BB106_6 Depth=1
	s_delay_alu instid0(VALU_DEP_1)
	v_dual_mov_b32 v20, v18 :: v_dual_mov_b32 v45, v8
	v_mov_b32_e32 v44, v9
	s_mov_b32 s1, exec_lo
	v_cmpx_eq_u32_e32 1, v38
	s_cbranch_execz .LBB106_4
; %bb.24:                               ;   in Loop: Header=BB106_6 Depth=1
	v_dual_mov_b32 v20, v0 :: v_dual_mov_b32 v45, v9
	v_dual_mov_b32 v44, v18 :: v_dual_mov_b32 v43, v8
	s_branch .LBB106_4
.LBB106_25:
	s_endpgm
	.section	.rodata,"a",@progbits
	.p2align	6, 0x0
	.amdhsa_kernel _ZN2at6native12_GLOBAL__N_124fused_dropout_kernel_vecIN3c108BFloat16EfmLi1ELi8EhEEvNS_4cuda6detail10TensorInfoIKT_T1_EENS7_IS8_SA_EENS7_IT4_SA_EESA_T0_NS_15PhiloxCudaStateE
		.amdhsa_group_segment_fixed_size 0
		.amdhsa_private_segment_fixed_size 0
		.amdhsa_kernarg_size 1552
		.amdhsa_user_sgpr_count 15
		.amdhsa_user_sgpr_dispatch_ptr 0
		.amdhsa_user_sgpr_queue_ptr 0
		.amdhsa_user_sgpr_kernarg_segment_ptr 1
		.amdhsa_user_sgpr_dispatch_id 0
		.amdhsa_user_sgpr_private_segment_size 0
		.amdhsa_wavefront_size32 1
		.amdhsa_uses_dynamic_stack 0
		.amdhsa_enable_private_segment 0
		.amdhsa_system_sgpr_workgroup_id_x 1
		.amdhsa_system_sgpr_workgroup_id_y 0
		.amdhsa_system_sgpr_workgroup_id_z 0
		.amdhsa_system_sgpr_workgroup_info 0
		.amdhsa_system_vgpr_workitem_id 0
		.amdhsa_next_free_vgpr 58
		.amdhsa_next_free_sgpr 22
		.amdhsa_reserve_vcc 1
		.amdhsa_float_round_mode_32 0
		.amdhsa_float_round_mode_16_64 0
		.amdhsa_float_denorm_mode_32 3
		.amdhsa_float_denorm_mode_16_64 3
		.amdhsa_dx10_clamp 1
		.amdhsa_ieee_mode 1
		.amdhsa_fp16_overflow 0
		.amdhsa_workgroup_processor_mode 1
		.amdhsa_memory_ordered 1
		.amdhsa_forward_progress 0
		.amdhsa_shared_vgpr_count 0
		.amdhsa_exception_fp_ieee_invalid_op 0
		.amdhsa_exception_fp_denorm_src 0
		.amdhsa_exception_fp_ieee_div_zero 0
		.amdhsa_exception_fp_ieee_overflow 0
		.amdhsa_exception_fp_ieee_underflow 0
		.amdhsa_exception_fp_ieee_inexact 0
		.amdhsa_exception_int_div_zero 0
	.end_amdhsa_kernel
	.section	.text._ZN2at6native12_GLOBAL__N_124fused_dropout_kernel_vecIN3c108BFloat16EfmLi1ELi8EhEEvNS_4cuda6detail10TensorInfoIKT_T1_EENS7_IS8_SA_EENS7_IT4_SA_EESA_T0_NS_15PhiloxCudaStateE,"axG",@progbits,_ZN2at6native12_GLOBAL__N_124fused_dropout_kernel_vecIN3c108BFloat16EfmLi1ELi8EhEEvNS_4cuda6detail10TensorInfoIKT_T1_EENS7_IS8_SA_EENS7_IT4_SA_EESA_T0_NS_15PhiloxCudaStateE,comdat
.Lfunc_end106:
	.size	_ZN2at6native12_GLOBAL__N_124fused_dropout_kernel_vecIN3c108BFloat16EfmLi1ELi8EhEEvNS_4cuda6detail10TensorInfoIKT_T1_EENS7_IS8_SA_EENS7_IT4_SA_EESA_T0_NS_15PhiloxCudaStateE, .Lfunc_end106-_ZN2at6native12_GLOBAL__N_124fused_dropout_kernel_vecIN3c108BFloat16EfmLi1ELi8EhEEvNS_4cuda6detail10TensorInfoIKT_T1_EENS7_IS8_SA_EENS7_IT4_SA_EESA_T0_NS_15PhiloxCudaStateE
                                        ; -- End function
	.section	.AMDGPU.csdata,"",@progbits
; Kernel info:
; codeLenInByte = 3444
; NumSgprs: 24
; NumVgprs: 58
; ScratchSize: 0
; MemoryBound: 0
; FloatMode: 240
; IeeeMode: 1
; LDSByteSize: 0 bytes/workgroup (compile time only)
; SGPRBlocks: 2
; VGPRBlocks: 7
; NumSGPRsForWavesPerEU: 24
; NumVGPRsForWavesPerEU: 58
; Occupancy: 16
; WaveLimiterHint : 1
; COMPUTE_PGM_RSRC2:SCRATCH_EN: 0
; COMPUTE_PGM_RSRC2:USER_SGPR: 15
; COMPUTE_PGM_RSRC2:TRAP_HANDLER: 0
; COMPUTE_PGM_RSRC2:TGID_X_EN: 1
; COMPUTE_PGM_RSRC2:TGID_Y_EN: 0
; COMPUTE_PGM_RSRC2:TGID_Z_EN: 0
; COMPUTE_PGM_RSRC2:TIDIG_COMP_CNT: 0
	.section	.text._ZN2at6native12_GLOBAL__N_124fused_dropout_kernel_vecIN3c108BFloat16EfmLi1ELi4EhEEvNS_4cuda6detail10TensorInfoIKT_T1_EENS7_IS8_SA_EENS7_IT4_SA_EESA_T0_NS_15PhiloxCudaStateE,"axG",@progbits,_ZN2at6native12_GLOBAL__N_124fused_dropout_kernel_vecIN3c108BFloat16EfmLi1ELi4EhEEvNS_4cuda6detail10TensorInfoIKT_T1_EENS7_IS8_SA_EENS7_IT4_SA_EESA_T0_NS_15PhiloxCudaStateE,comdat
	.globl	_ZN2at6native12_GLOBAL__N_124fused_dropout_kernel_vecIN3c108BFloat16EfmLi1ELi4EhEEvNS_4cuda6detail10TensorInfoIKT_T1_EENS7_IS8_SA_EENS7_IT4_SA_EESA_T0_NS_15PhiloxCudaStateE ; -- Begin function _ZN2at6native12_GLOBAL__N_124fused_dropout_kernel_vecIN3c108BFloat16EfmLi1ELi4EhEEvNS_4cuda6detail10TensorInfoIKT_T1_EENS7_IS8_SA_EENS7_IT4_SA_EESA_T0_NS_15PhiloxCudaStateE
	.p2align	8
	.type	_ZN2at6native12_GLOBAL__N_124fused_dropout_kernel_vecIN3c108BFloat16EfmLi1ELi4EhEEvNS_4cuda6detail10TensorInfoIKT_T1_EENS7_IS8_SA_EENS7_IT4_SA_EESA_T0_NS_15PhiloxCudaStateE,@function
_ZN2at6native12_GLOBAL__N_124fused_dropout_kernel_vecIN3c108BFloat16EfmLi1ELi4EhEEvNS_4cuda6detail10TensorInfoIKT_T1_EENS7_IS8_SA_EENS7_IT4_SA_EESA_T0_NS_15PhiloxCudaStateE: ; @_ZN2at6native12_GLOBAL__N_124fused_dropout_kernel_vecIN3c108BFloat16EfmLi1ELi4EhEEvNS_4cuda6detail10TensorInfoIKT_T1_EENS7_IS8_SA_EENS7_IT4_SA_EESA_T0_NS_15PhiloxCudaStateE
; %bb.0:
	s_clause 0x1
	s_load_b128 s[4:7], s[0:1], 0x4f0
	s_load_b32 s2, s[0:1], 0x508
	s_waitcnt lgkmcnt(0)
	v_dual_mov_b32 v1, s6 :: v_dual_mov_b32 v2, s7
	v_dual_mov_b32 v10, s5 :: v_dual_mov_b32 v9, s4
	s_bitcmp0_b32 s2, 0
	s_cbranch_scc1 .LBB107_2
; %bb.1:
	v_dual_mov_b32 v1, s6 :: v_dual_mov_b32 v2, s7
	v_dual_mov_b32 v3, s4 :: v_dual_mov_b32 v4, s5
	s_load_b64 s[2:3], s[0:1], 0x500
	flat_load_b64 v[1:2], v[1:2]
	flat_load_b64 v[9:10], v[3:4]
	s_waitcnt vmcnt(1) lgkmcnt(0)
	v_add_co_u32 v1, vcc_lo, v1, s2
	v_add_co_ci_u32_e32 v2, vcc_lo, s3, v2, vcc_lo
.LBB107_2:
	s_clause 0x1
	s_load_b32 s6, s[0:1], 0x51c
	s_load_b64 s[4:5], s[0:1], 0x4e0
	s_add_u32 s2, s0, 0x510
	s_addc_u32 s3, s1, 0
	s_waitcnt lgkmcnt(0)
	s_and_b32 s12, s6, 0xffff
	s_mov_b32 s6, exec_lo
	v_mad_u64_u32 v[11:12], null, s15, s12, v[0:1]
	v_mov_b32_e32 v12, 0
	s_delay_alu instid0(VALU_DEP_1) | instskip(NEXT) | instid1(VALU_DEP_1)
	v_lshlrev_b64 v[13:14], 2, v[11:12]
	v_cmpx_gt_u64_e64 s[4:5], v[13:14]
	s_cbranch_execz .LBB107_15
; %bb.3:
	v_alignbit_b32 v19, v2, v1, 2
	v_mad_u64_u32 v[3:4], null, 0xcd9e8d57, v11, 0
	v_lshrrev_b32_e32 v20, 2, v2
	s_waitcnt vmcnt(0)
	v_dual_mov_b32 v36, v10 :: v_dual_and_b32 v37, 3, v1
	v_mad_u64_u32 v[5:6], null, 0xd2511f53, v19, 0
	v_add_co_u32 v22, null, 0x9e3779b9, v9
	v_xor3_b32 v0, v9, v4, v20
	s_delay_alu instid0(VALU_DEP_4) | instskip(SKIP_2) | instid1(VALU_DEP_4)
	v_add_co_u32 v21, null, 0xbb67ae85, v36
	v_add_co_u32 v23, null, 0x3c6ef372, v9
	v_xor_b32_e32 v2, v6, v10
	v_mad_u64_u32 v[6:7], null, 0xd2511f53, v0, 0
	v_add_co_u32 v24, null, 0x76cf5d0a, v36
	s_delay_alu instid0(VALU_DEP_3) | instskip(SKIP_1) | instid1(VALU_DEP_4)
	v_mad_u64_u32 v[15:16], null, 0xcd9e8d57, v2, 0
	v_add_co_u32 v25, null, 0x32370b8f, v36
	v_xor3_b32 v0, v21, v7, v5
	v_add_co_u32 v26, null, 0xdaa66d2b, v9
	s_load_b32 s16, s[0:1], 0x4e8
	s_delay_alu instid0(VALU_DEP_4) | instskip(NEXT) | instid1(VALU_DEP_3)
	v_xor3_b32 v7, v16, v22, v3
	v_mad_u64_u32 v[2:3], null, 0xcd9e8d57, v0, 0
	v_add_co_u32 v27, null, 0x78dde6e4, v9
	s_delay_alu instid0(VALU_DEP_3) | instskip(SKIP_1) | instid1(VALU_DEP_4)
	v_mad_u64_u32 v[4:5], null, 0xd2511f53, v7, 0
	v_add_co_u32 v28, null, 0xed9eba14, v36
	v_xor3_b32 v0, v23, v3, v15
	v_add_co_u32 v29, null, 0xa9066899, v36
	v_add_co_u32 v30, null, 0x1715609d, v9
	v_xor3_b32 v3, v5, v24, v6
	s_delay_alu instid0(VALU_DEP_4) | instskip(SKIP_1) | instid1(VALU_DEP_3)
	v_mad_u64_u32 v[5:6], null, 0xd2511f53, v0, 0
	v_add_co_u32 v31, null, 0xb54cda56, v9
	v_mad_u64_u32 v[7:8], null, 0xcd9e8d57, v3, 0
	v_add_co_u32 v33, null, 0x646e171e, v36
	s_delay_alu instid0(VALU_DEP_4) | instskip(SKIP_3) | instid1(VALU_DEP_4)
	v_xor3_b32 v0, v25, v6, v4
	v_add_co_u32 v32, null, 0x5384540f, v9
	v_add_co_u32 v34, null, 0x1fd5c5a3, v36
	v_xor3_b32 v4, v8, v26, v2
	v_mad_u64_u32 v[2:3], null, 0xcd9e8d57, v0, 0
	s_waitcnt lgkmcnt(0)
	v_div_scale_f32 v39, vcc_lo, 1.0, s16, 1.0
	s_delay_alu instid0(VALU_DEP_3)
	v_mad_u64_u32 v[15:16], null, 0xd2511f53, v4, 0
	s_clause 0x2
	s_load_b64 s[6:7], s[0:1], 0x0
	s_load_b64 s[8:9], s[0:1], 0x1a0
	;; [unrolled: 1-line block ×3, first 2 shown]
	s_load_b32 s0, s[2:3], 0x0
	v_xor3_b32 v0, v27, v3, v7
	v_add_co_u32 v35, null, 0xf1bbcdc8, v9
	v_add_co_u32 v36, null, 0xdb3d7428, v36
	v_xor3_b32 v7, v16, v28, v5
	s_delay_alu instid0(VALU_DEP_4) | instskip(SKIP_1) | instid1(VALU_DEP_3)
	v_mad_u64_u32 v[3:4], null, 0xd2511f53, v0, 0
	v_div_scale_f32 v0, null, s16, s16, 1.0
	v_mad_u64_u32 v[5:6], null, 0xcd9e8d57, v7, 0
	s_mov_b32 s13, 0
	s_delay_alu instid0(VALU_DEP_2) | instskip(NEXT) | instid1(VALU_DEP_3)
	v_rcp_f32_e32 v38, v0
	v_xor3_b32 v4, v29, v4, v15
	s_delay_alu instid0(VALU_DEP_2) | instskip(NEXT) | instid1(VALU_DEP_2)
	v_xor3_b32 v2, v6, v30, v2
	v_mad_u64_u32 v[6:7], null, 0xcd9e8d57, v4, 0
	s_waitcnt lgkmcnt(0)
	s_mul_i32 s0, s0, s12
	s_delay_alu instid0(VALU_DEP_2)
	v_mad_u64_u32 v[15:16], null, 0xd2511f53, v2, 0
	s_waitcnt_depctr 0xfff
	v_fma_f32 v2, -v0, v38, 1.0
	s_lshl_b32 s12, s0, 2
	v_xor3_b32 v4, v31, v7, v5
	s_lshl_b64 s[14:15], s[12:13], 1
	s_delay_alu instid0(VALU_DEP_2) | instskip(SKIP_1) | instid1(VALU_DEP_3)
	v_fmac_f32_e32 v38, v2, v38
	v_xor3_b32 v7, v16, v33, v3
	v_mad_u64_u32 v[2:3], null, 0xd2511f53, v4, 0
	s_delay_alu instid0(VALU_DEP_3) | instskip(NEXT) | instid1(VALU_DEP_3)
	v_mul_f32_e32 v16, v39, v38
	v_mad_u64_u32 v[4:5], null, 0xcd9e8d57, v7, 0
	s_delay_alu instid0(VALU_DEP_3) | instskip(NEXT) | instid1(VALU_DEP_2)
	v_xor3_b32 v3, v34, v3, v15
	v_xor3_b32 v5, v5, v32, v6
	s_delay_alu instid0(VALU_DEP_2) | instskip(SKIP_1) | instid1(VALU_DEP_3)
	v_mad_u64_u32 v[7:8], null, 0xcd9e8d57, v3, 0
	v_fma_f32 v6, -v0, v16, v39
	v_mad_u64_u32 v[17:18], null, 0xd2511f53, v5, 0
	s_delay_alu instid0(VALU_DEP_2) | instskip(NEXT) | instid1(VALU_DEP_4)
	v_fmac_f32_e32 v16, v6, v38
	v_xor3_b32 v3, v35, v8, v4
	s_delay_alu instid0(VALU_DEP_3) | instskip(NEXT) | instid1(VALU_DEP_3)
	v_xor3_b32 v2, v18, v36, v2
	v_fma_f32 v4, -v0, v16, v39
	s_delay_alu instid0(VALU_DEP_3) | instskip(SKIP_1) | instid1(VALU_DEP_4)
	v_mad_u64_u32 v[0:1], null, 0xd2511f53, v3, 0
	v_add_nc_u32_e32 v39, 0x96a522ad, v10
	v_mad_u64_u32 v[5:6], null, 0xcd9e8d57, v2, 0
	s_delay_alu instid0(VALU_DEP_4) | instskip(SKIP_2) | instid1(VALU_DEP_3)
	v_div_fmas_f32 v2, v4, v38, v16
	v_add_nc_u32_e32 v38, 0x8ff34781, v9
	v_lshlrev_b64 v[15:16], 3, v[11:12]
	v_div_fixup_f32 v40, v2, s16, 1.0
	s_delay_alu instid0(VALU_DEP_3)
	v_xor3_b32 v4, v7, v6, v38
	v_mov_b32_e32 v7, v0
	v_xor3_b32 v6, v1, v17, v39
	s_branch .LBB107_6
.LBB107_4:                              ;   in Loop: Header=BB107_6 Depth=1
	s_or_b32 exec_lo, exec_lo, s1
.LBB107_5:                              ;   in Loop: Header=BB107_6 Depth=1
	s_delay_alu instid0(SALU_CYCLE_1)
	s_or_b32 exec_lo, exec_lo, s0
	v_add_co_u32 v41, vcc_lo, s6, v15
	v_add_co_ci_u32_e32 v42, vcc_lo, s7, v16, vcc_lo
	v_cvt_f32_u32_e32 v4, v4
	v_mov_b32_e32 v3, v17
	v_add_co_u32 v17, vcc_lo, s10, v13
	global_load_b64 v[41:42], v[41:42], off
	v_fmaak_f32 v4, 0x2f800000, v4, 0x2f800000
	v_cvt_f32_u32_e32 v5, v5
	v_cvt_f32_u32_e32 v6, v6
	v_add_co_ci_u32_e32 v18, vcc_lo, s11, v14, vcc_lo
	v_add_co_u32 v13, vcc_lo, v13, s12
	v_add_co_ci_u32_e32 v14, vcc_lo, 0, v14, vcc_lo
	s_delay_alu instid0(VALU_DEP_4) | instskip(SKIP_2) | instid1(VALU_DEP_3)
	v_dual_fmaak_f32 v5, 0x2f800000, v5, 0x2f800000 :: v_dual_fmaak_f32 v6, 0x2f800000, v6, 0x2f800000
	v_cmp_gt_f32_e32 vcc_lo, s16, v4
	v_cvt_f32_u32_e32 v7, v7
	v_cmp_gt_f32_e64 s0, s16, v5
	s_delay_alu instid0(VALU_DEP_4) | instskip(SKIP_2) | instid1(VALU_DEP_4)
	v_cmp_gt_f32_e64 s1, s16, v6
	v_cndmask_b32_e64 v4, 0, 1.0, vcc_lo
	v_cndmask_b32_e64 v43, 0, 1, vcc_lo
	v_cndmask_b32_e64 v8, 0, 1, s0
	s_delay_alu instid0(VALU_DEP_4) | instskip(SKIP_2) | instid1(VALU_DEP_4)
	v_cndmask_b32_e64 v6, 0, 1.0, s1
	v_cndmask_b32_e64 v5, 0, 1.0, s0
	v_cndmask_b32_e64 v44, 0, 1, s1
	v_lshlrev_b16 v8, 8, v8
	s_delay_alu instid0(VALU_DEP_1) | instskip(NEXT) | instid1(VALU_DEP_1)
	v_or_b32_e32 v8, v43, v8
	v_and_b32_e32 v8, 0xffff, v8
	s_waitcnt vmcnt(0)
	v_alignbit_b32 v45, v42, v41, 16
	v_lshlrev_b32_e32 v47, 16, v41
	s_delay_alu instid0(VALU_DEP_1) | instskip(NEXT) | instid1(VALU_DEP_1)
	v_dual_mul_f32 v4, v4, v47 :: v_dual_and_b32 v45, 0xffff0000, v45
	v_dual_fmaak_f32 v7, 0x2f800000, v7, 0x2f800000 :: v_dual_mul_f32 v6, v6, v45
	v_and_b32_e32 v41, 0xffff0000, v41
	s_delay_alu instid0(VALU_DEP_2) | instskip(NEXT) | instid1(VALU_DEP_4)
	v_cmp_gt_f32_e64 s2, s16, v7
	v_mul_f32_e32 v4, v40, v4
	s_delay_alu instid0(VALU_DEP_4) | instskip(NEXT) | instid1(VALU_DEP_4)
	v_mul_f32_e32 v6, v40, v6
	v_dual_mul_f32 v5, v5, v41 :: v_dual_and_b32 v42, 0xffff0000, v42
	s_delay_alu instid0(VALU_DEP_4) | instskip(SKIP_2) | instid1(VALU_DEP_3)
	v_cndmask_b32_e64 v7, 0, 1.0, s2
	v_cndmask_b32_e64 v46, 0, 1, s2
	v_bfe_u32 v43, v4, 16, 1
	v_mul_f32_e32 v7, v7, v42
	s_delay_alu instid0(VALU_DEP_3) | instskip(NEXT) | instid1(VALU_DEP_3)
	v_lshlrev_b16 v46, 8, v46
	v_add3_u32 v43, v4, v43, 0x7fff
	s_delay_alu instid0(VALU_DEP_2) | instskip(NEXT) | instid1(VALU_DEP_4)
	v_or_b32_e32 v41, v44, v46
	v_mul_f32_e32 v7, v40, v7
	v_bfe_u32 v44, v6, 16, 1
	s_delay_alu instid0(VALU_DEP_3) | instskip(NEXT) | instid1(VALU_DEP_3)
	v_lshlrev_b32_e32 v46, 16, v41
	v_bfe_u32 v42, v7, 16, 1
	s_delay_alu instid0(VALU_DEP_3) | instskip(SKIP_1) | instid1(VALU_DEP_4)
	v_add3_u32 v44, v6, v44, 0x7fff
	v_cmp_o_f32_e32 vcc_lo, v7, v7
	v_or_b32_e32 v8, v8, v46
	s_delay_alu instid0(VALU_DEP_4) | instskip(NEXT) | instid1(VALU_DEP_1)
	v_add3_u32 v42, v7, v42, 0x7fff
	v_and_b32_e32 v41, 0xffff0000, v42
	v_lshrrev_b32_e32 v42, 16, v43
	v_lshrrev_b32_e32 v43, 16, v44
	s_delay_alu instid0(VALU_DEP_3) | instskip(SKIP_1) | instid1(VALU_DEP_3)
	v_cndmask_b32_e32 v7, 0x7fc00000, v41, vcc_lo
	v_cmp_o_f32_e32 vcc_lo, v6, v6
	v_dual_mul_f32 v5, v40, v5 :: v_dual_cndmask_b32 v6, 0x7fc0, v43
	s_delay_alu instid0(VALU_DEP_1) | instskip(SKIP_1) | instid1(VALU_DEP_3)
	v_bfe_u32 v45, v5, 16, 1
	v_cmp_o_f32_e32 vcc_lo, v5, v5
	v_or_b32_e32 v6, v7, v6
	s_delay_alu instid0(VALU_DEP_3) | instskip(NEXT) | instid1(VALU_DEP_1)
	v_add3_u32 v45, v5, v45, 0x7fff
	v_and_b32_e32 v44, 0xffff0000, v45
	s_delay_alu instid0(VALU_DEP_1)
	v_cndmask_b32_e32 v5, 0x7fc00000, v44, vcc_lo
	v_cmp_o_f32_e32 vcc_lo, v4, v4
	v_or3_b32 v44, v6, 0, 0
	v_cndmask_b32_e32 v4, 0x7fc0, v42, vcc_lo
	v_add_co_u32 v41, vcc_lo, s8, v15
	v_add_co_ci_u32_e32 v42, vcc_lo, s9, v16, vcc_lo
	v_cmp_le_u64_e32 vcc_lo, s[4:5], v[13:14]
	v_add_co_u32 v15, s0, v15, s14
	v_or3_b32 v43, 0, v5, v4
	v_mov_b32_e32 v7, v3
	v_mov_b32_e32 v5, v1
	v_add_co_ci_u32_e64 v16, s0, s15, v16, s0
	v_mov_b32_e32 v6, v2
	v_mov_b32_e32 v4, v0
	s_or_b32 s13, vcc_lo, s13
	global_store_b64 v[41:42], v[43:44], off
	global_store_b32 v[17:18], v8, off
	s_waitcnt_vscnt null, 0x0
	s_barrier
	buffer_gl0_inv
	s_and_not1_b32 exec_lo, exec_lo, s13
	s_cbranch_execz .LBB107_15
.LBB107_6:                              ; =>This Inner Loop Header: Depth=1
	v_add_co_u32 v19, vcc_lo, v19, 1
	s_delay_alu instid0(VALU_DEP_1) | instskip(SKIP_2) | instid1(VALU_DEP_1)
	v_cndmask_b32_e64 v0, 0, 1, vcc_lo
	v_add_co_ci_u32_e32 v20, vcc_lo, 0, v20, vcc_lo
	s_mov_b32 s0, exec_lo
	v_cmp_eq_u32_e32 vcc_lo, 0, v20
	s_delay_alu instid0(VALU_DEP_3) | instskip(NEXT) | instid1(VALU_DEP_1)
	v_cndmask_b32_e32 v0, 0, v0, vcc_lo
	v_add_nc_u32_e32 v11, v0, v11
	s_delay_alu instid0(VALU_DEP_1) | instskip(SKIP_2) | instid1(VALU_DEP_2)
	v_cmp_eq_u32_e32 vcc_lo, 0, v11
	v_cndmask_b32_e32 v0, 0, v0, vcc_lo
	v_mad_u64_u32 v[2:3], null, 0xcd9e8d57, v11, 0
	v_add_nc_u32_e32 v12, v0, v12
	v_mad_u64_u32 v[0:1], null, 0xd2511f53, v19, 0
	s_delay_alu instid0(VALU_DEP_3) | instskip(NEXT) | instid1(VALU_DEP_2)
	v_xor3_b32 v3, v3, v9, v20
	v_xor_b32_e32 v1, v1, v10
	s_delay_alu instid0(VALU_DEP_2) | instskip(NEXT) | instid1(VALU_DEP_2)
	v_mad_u64_u32 v[17:18], null, 0xd2511f53, v3, 0
	v_xor_b32_e32 v1, v12, v1
	s_delay_alu instid0(VALU_DEP_2) | instskip(NEXT) | instid1(VALU_DEP_2)
	v_xor3_b32 v3, v21, v18, v0
	v_mad_u64_u32 v[41:42], null, 0xcd9e8d57, v1, 0
	s_delay_alu instid0(VALU_DEP_2) | instskip(NEXT) | instid1(VALU_DEP_2)
	v_mad_u64_u32 v[0:1], null, 0xcd9e8d57, v3, 0
	v_xor3_b32 v8, v22, v42, v2
	s_delay_alu instid0(VALU_DEP_2) | instskip(NEXT) | instid1(VALU_DEP_2)
	v_xor3_b32 v1, v23, v1, v41
	v_mad_u64_u32 v[2:3], null, 0xd2511f53, v8, 0
	s_delay_alu instid0(VALU_DEP_1) | instskip(NEXT) | instid1(VALU_DEP_3)
	v_xor3_b32 v3, v24, v3, v17
	v_mad_u64_u32 v[17:18], null, 0xd2511f53, v1, 0
	s_delay_alu instid0(VALU_DEP_2) | instskip(NEXT) | instid1(VALU_DEP_2)
	v_mad_u64_u32 v[41:42], null, 0xcd9e8d57, v3, 0
	v_xor3_b32 v2, v25, v18, v2
	s_delay_alu instid0(VALU_DEP_2) | instskip(NEXT) | instid1(VALU_DEP_2)
	v_xor3_b32 v8, v26, v42, v0
	v_mad_u64_u32 v[0:1], null, 0xcd9e8d57, v2, 0
	s_delay_alu instid0(VALU_DEP_2) | instskip(NEXT) | instid1(VALU_DEP_2)
	v_mad_u64_u32 v[2:3], null, 0xd2511f53, v8, 0
	v_xor3_b32 v1, v27, v1, v41
	s_delay_alu instid0(VALU_DEP_2) | instskip(NEXT) | instid1(VALU_DEP_2)
	;; [unrolled: 6-line block ×7, first 2 shown]
	v_xor3_b32 v0, v2, v0, v38
	v_mov_b32_e32 v2, v8
	v_cmpx_lt_i32_e32 1, v37
	s_xor_b32 s0, exec_lo, s0
	s_cbranch_execz .LBB107_12
; %bb.7:                                ;   in Loop: Header=BB107_6 Depth=1
	s_mov_b32 s1, exec_lo
	v_cmpx_lt_i32_e32 2, v37
	s_xor_b32 s1, exec_lo, s1
; %bb.8:                                ;   in Loop: Header=BB107_6 Depth=1
	v_dual_mov_b32 v5, v7 :: v_dual_mov_b32 v6, v0
	v_mov_b32_e32 v7, v1
	s_delay_alu instid0(VALU_DEP_2) | instskip(NEXT) | instid1(VALU_DEP_3)
	v_mov_b32_e32 v4, v5
	v_mov_b32_e32 v5, v6
	s_delay_alu instid0(VALU_DEP_3)
	v_mov_b32_e32 v6, v7
	v_mov_b32_e32 v7, v8
; %bb.9:                                ;   in Loop: Header=BB107_6 Depth=1
	s_and_not1_saveexec_b32 s1, s1
; %bb.10:                               ;   in Loop: Header=BB107_6 Depth=1
	s_delay_alu instid0(VALU_DEP_1)
	v_dual_mov_b32 v4, v6 :: v_dual_mov_b32 v5, v7
	v_dual_mov_b32 v6, v0 :: v_dual_mov_b32 v7, v1
; %bb.11:                               ;   in Loop: Header=BB107_6 Depth=1
	s_or_b32 exec_lo, exec_lo, s1
.LBB107_12:                             ;   in Loop: Header=BB107_6 Depth=1
	s_and_not1_saveexec_b32 s0, s0
	s_cbranch_execz .LBB107_5
; %bb.13:                               ;   in Loop: Header=BB107_6 Depth=1
	s_mov_b32 s1, exec_lo
	v_cmpx_eq_u32_e32 1, v37
	s_cbranch_execz .LBB107_4
; %bb.14:                               ;   in Loop: Header=BB107_6 Depth=1
	v_dual_mov_b32 v4, v5 :: v_dual_mov_b32 v5, v6
	v_dual_mov_b32 v6, v7 :: v_dual_mov_b32 v7, v0
	s_branch .LBB107_4
.LBB107_15:
	s_endpgm
	.section	.rodata,"a",@progbits
	.p2align	6, 0x0
	.amdhsa_kernel _ZN2at6native12_GLOBAL__N_124fused_dropout_kernel_vecIN3c108BFloat16EfmLi1ELi4EhEEvNS_4cuda6detail10TensorInfoIKT_T1_EENS7_IS8_SA_EENS7_IT4_SA_EESA_T0_NS_15PhiloxCudaStateE
		.amdhsa_group_segment_fixed_size 0
		.amdhsa_private_segment_fixed_size 0
		.amdhsa_kernarg_size 1552
		.amdhsa_user_sgpr_count 15
		.amdhsa_user_sgpr_dispatch_ptr 0
		.amdhsa_user_sgpr_queue_ptr 0
		.amdhsa_user_sgpr_kernarg_segment_ptr 1
		.amdhsa_user_sgpr_dispatch_id 0
		.amdhsa_user_sgpr_private_segment_size 0
		.amdhsa_wavefront_size32 1
		.amdhsa_uses_dynamic_stack 0
		.amdhsa_enable_private_segment 0
		.amdhsa_system_sgpr_workgroup_id_x 1
		.amdhsa_system_sgpr_workgroup_id_y 0
		.amdhsa_system_sgpr_workgroup_id_z 0
		.amdhsa_system_sgpr_workgroup_info 0
		.amdhsa_system_vgpr_workitem_id 0
		.amdhsa_next_free_vgpr 48
		.amdhsa_next_free_sgpr 17
		.amdhsa_reserve_vcc 1
		.amdhsa_float_round_mode_32 0
		.amdhsa_float_round_mode_16_64 0
		.amdhsa_float_denorm_mode_32 3
		.amdhsa_float_denorm_mode_16_64 3
		.amdhsa_dx10_clamp 1
		.amdhsa_ieee_mode 1
		.amdhsa_fp16_overflow 0
		.amdhsa_workgroup_processor_mode 1
		.amdhsa_memory_ordered 1
		.amdhsa_forward_progress 0
		.amdhsa_shared_vgpr_count 0
		.amdhsa_exception_fp_ieee_invalid_op 0
		.amdhsa_exception_fp_denorm_src 0
		.amdhsa_exception_fp_ieee_div_zero 0
		.amdhsa_exception_fp_ieee_overflow 0
		.amdhsa_exception_fp_ieee_underflow 0
		.amdhsa_exception_fp_ieee_inexact 0
		.amdhsa_exception_int_div_zero 0
	.end_amdhsa_kernel
	.section	.text._ZN2at6native12_GLOBAL__N_124fused_dropout_kernel_vecIN3c108BFloat16EfmLi1ELi4EhEEvNS_4cuda6detail10TensorInfoIKT_T1_EENS7_IS8_SA_EENS7_IT4_SA_EESA_T0_NS_15PhiloxCudaStateE,"axG",@progbits,_ZN2at6native12_GLOBAL__N_124fused_dropout_kernel_vecIN3c108BFloat16EfmLi1ELi4EhEEvNS_4cuda6detail10TensorInfoIKT_T1_EENS7_IS8_SA_EENS7_IT4_SA_EESA_T0_NS_15PhiloxCudaStateE,comdat
.Lfunc_end107:
	.size	_ZN2at6native12_GLOBAL__N_124fused_dropout_kernel_vecIN3c108BFloat16EfmLi1ELi4EhEEvNS_4cuda6detail10TensorInfoIKT_T1_EENS7_IS8_SA_EENS7_IT4_SA_EESA_T0_NS_15PhiloxCudaStateE, .Lfunc_end107-_ZN2at6native12_GLOBAL__N_124fused_dropout_kernel_vecIN3c108BFloat16EfmLi1ELi4EhEEvNS_4cuda6detail10TensorInfoIKT_T1_EENS7_IS8_SA_EENS7_IT4_SA_EESA_T0_NS_15PhiloxCudaStateE
                                        ; -- End function
	.section	.AMDGPU.csdata,"",@progbits
; Kernel info:
; codeLenInByte = 2372
; NumSgprs: 19
; NumVgprs: 48
; ScratchSize: 0
; MemoryBound: 0
; FloatMode: 240
; IeeeMode: 1
; LDSByteSize: 0 bytes/workgroup (compile time only)
; SGPRBlocks: 2
; VGPRBlocks: 5
; NumSGPRsForWavesPerEU: 19
; NumVGPRsForWavesPerEU: 48
; Occupancy: 16
; WaveLimiterHint : 1
; COMPUTE_PGM_RSRC2:SCRATCH_EN: 0
; COMPUTE_PGM_RSRC2:USER_SGPR: 15
; COMPUTE_PGM_RSRC2:TRAP_HANDLER: 0
; COMPUTE_PGM_RSRC2:TGID_X_EN: 1
; COMPUTE_PGM_RSRC2:TGID_Y_EN: 0
; COMPUTE_PGM_RSRC2:TGID_Z_EN: 0
; COMPUTE_PGM_RSRC2:TIDIG_COMP_CNT: 0
	.section	.text._ZN2at6native12_GLOBAL__N_124fused_dropout_kernel_vecIN3c108BFloat16EfmLi1ELi2EhEEvNS_4cuda6detail10TensorInfoIKT_T1_EENS7_IS8_SA_EENS7_IT4_SA_EESA_T0_NS_15PhiloxCudaStateE,"axG",@progbits,_ZN2at6native12_GLOBAL__N_124fused_dropout_kernel_vecIN3c108BFloat16EfmLi1ELi2EhEEvNS_4cuda6detail10TensorInfoIKT_T1_EENS7_IS8_SA_EENS7_IT4_SA_EESA_T0_NS_15PhiloxCudaStateE,comdat
	.globl	_ZN2at6native12_GLOBAL__N_124fused_dropout_kernel_vecIN3c108BFloat16EfmLi1ELi2EhEEvNS_4cuda6detail10TensorInfoIKT_T1_EENS7_IS8_SA_EENS7_IT4_SA_EESA_T0_NS_15PhiloxCudaStateE ; -- Begin function _ZN2at6native12_GLOBAL__N_124fused_dropout_kernel_vecIN3c108BFloat16EfmLi1ELi2EhEEvNS_4cuda6detail10TensorInfoIKT_T1_EENS7_IS8_SA_EENS7_IT4_SA_EESA_T0_NS_15PhiloxCudaStateE
	.p2align	8
	.type	_ZN2at6native12_GLOBAL__N_124fused_dropout_kernel_vecIN3c108BFloat16EfmLi1ELi2EhEEvNS_4cuda6detail10TensorInfoIKT_T1_EENS7_IS8_SA_EENS7_IT4_SA_EESA_T0_NS_15PhiloxCudaStateE,@function
_ZN2at6native12_GLOBAL__N_124fused_dropout_kernel_vecIN3c108BFloat16EfmLi1ELi2EhEEvNS_4cuda6detail10TensorInfoIKT_T1_EENS7_IS8_SA_EENS7_IT4_SA_EESA_T0_NS_15PhiloxCudaStateE: ; @_ZN2at6native12_GLOBAL__N_124fused_dropout_kernel_vecIN3c108BFloat16EfmLi1ELi2EhEEvNS_4cuda6detail10TensorInfoIKT_T1_EENS7_IS8_SA_EENS7_IT4_SA_EESA_T0_NS_15PhiloxCudaStateE
; %bb.0:
	s_clause 0x1
	s_load_b128 s[4:7], s[0:1], 0x4f0
	s_load_b32 s2, s[0:1], 0x508
	s_waitcnt lgkmcnt(0)
	v_dual_mov_b32 v1, s6 :: v_dual_mov_b32 v2, s7
	v_dual_mov_b32 v9, s5 :: v_dual_mov_b32 v8, s4
	s_bitcmp0_b32 s2, 0
	s_cbranch_scc1 .LBB108_2
; %bb.1:
	v_dual_mov_b32 v1, s6 :: v_dual_mov_b32 v2, s7
	v_dual_mov_b32 v3, s4 :: v_dual_mov_b32 v4, s5
	s_load_b64 s[2:3], s[0:1], 0x500
	flat_load_b64 v[1:2], v[1:2]
	flat_load_b64 v[8:9], v[3:4]
	s_waitcnt vmcnt(1) lgkmcnt(0)
	v_add_co_u32 v1, vcc_lo, v1, s2
	v_add_co_ci_u32_e32 v2, vcc_lo, s3, v2, vcc_lo
.LBB108_2:
	s_clause 0x1
	s_load_b32 s4, s[0:1], 0x51c
	s_load_b64 s[2:3], s[0:1], 0x4e0
	s_add_u32 s10, s0, 0x510
	s_addc_u32 s11, s1, 0
	s_waitcnt lgkmcnt(0)
	s_and_b32 s12, s4, 0xffff
	s_mov_b32 s4, exec_lo
	v_mad_u64_u32 v[10:11], null, s15, s12, v[0:1]
	v_mov_b32_e32 v11, 0
	s_delay_alu instid0(VALU_DEP_1) | instskip(NEXT) | instid1(VALU_DEP_1)
	v_lshlrev_b64 v[12:13], 1, v[10:11]
	v_cmpx_gt_u64_e64 s[2:3], v[12:13]
	s_cbranch_execz .LBB108_15
; %bb.3:
	v_alignbit_b32 v18, v2, v1, 2
	v_mad_u64_u32 v[3:4], null, 0xcd9e8d57, v10, 0
	v_lshrrev_b32_e32 v19, 2, v2
	s_waitcnt vmcnt(0)
	v_mov_b32_e32 v16, v9
	v_mad_u64_u32 v[5:6], null, 0xd2511f53, v18, 0
	v_add_co_u32 v21, null, 0x9e3779b9, v8
	v_xor3_b32 v0, v8, v4, v19
	s_delay_alu instid0(VALU_DEP_4) | instskip(SKIP_2) | instid1(VALU_DEP_4)
	v_add_co_u32 v20, null, 0xbb67ae85, v16
	v_add_co_u32 v22, null, 0x3c6ef372, v8
	v_xor_b32_e32 v2, v6, v9
	v_mad_u64_u32 v[6:7], null, 0xd2511f53, v0, 0
	v_add_co_u32 v23, null, 0x76cf5d0a, v16
	s_delay_alu instid0(VALU_DEP_3) | instskip(SKIP_1) | instid1(VALU_DEP_4)
	v_mad_u64_u32 v[14:15], null, 0xcd9e8d57, v2, 0
	v_add_co_u32 v24, null, 0x32370b8f, v16
	v_xor3_b32 v0, v20, v7, v5
	v_add_co_u32 v25, null, 0xdaa66d2b, v8
	s_load_b32 s14, s[0:1], 0x4e8
	s_delay_alu instid0(VALU_DEP_4) | instskip(NEXT) | instid1(VALU_DEP_3)
	v_xor3_b32 v7, v15, v21, v3
	v_mad_u64_u32 v[2:3], null, 0xcd9e8d57, v0, 0
	v_add_co_u32 v26, null, 0x78dde6e4, v8
	s_delay_alu instid0(VALU_DEP_3) | instskip(SKIP_1) | instid1(VALU_DEP_4)
	v_mad_u64_u32 v[4:5], null, 0xd2511f53, v7, 0
	v_add_co_u32 v27, null, 0xed9eba14, v16
	v_xor3_b32 v0, v22, v3, v14
	v_add_co_u32 v28, null, 0xa9066899, v16
	v_add_co_u32 v29, null, 0x1715609d, v8
	v_xor3_b32 v3, v5, v23, v6
	s_delay_alu instid0(VALU_DEP_4) | instskip(SKIP_1) | instid1(VALU_DEP_3)
	v_mad_u64_u32 v[5:6], null, 0xd2511f53, v0, 0
	v_add_co_u32 v30, null, 0xb54cda56, v8
	v_mad_u64_u32 v[14:15], null, 0xcd9e8d57, v3, 0
	v_add_co_u32 v31, null, 0x5384540f, v8
	s_delay_alu instid0(VALU_DEP_4)
	v_xor3_b32 v0, v24, v6, v4
	s_waitcnt lgkmcnt(0)
	v_div_scale_f32 v37, vcc_lo, 1.0, s14, 1.0
	v_add_co_u32 v34, null, 0xf1bbcdc8, v8
	v_xor3_b32 v4, v15, v25, v2
	v_mad_u64_u32 v[2:3], null, 0xcd9e8d57, v0, 0
	s_clause 0x2
	s_load_b64 s[4:5], s[0:1], 0x0
	s_load_b64 s[6:7], s[0:1], 0x1a0
	;; [unrolled: 1-line block ×3, first 2 shown]
	s_load_b32 s0, s[10:11], 0x0
	v_mad_u64_u32 v[6:7], null, 0xd2511f53, v4, 0
	v_and_b32_e32 v36, 3, v1
	s_mov_b32 s11, 0
	v_xor3_b32 v0, v26, v3, v14
	s_delay_alu instid0(VALU_DEP_3) | instskip(NEXT) | instid1(VALU_DEP_2)
	v_xor3_b32 v5, v7, v27, v5
	v_mad_u64_u32 v[3:4], null, 0xd2511f53, v0, 0
	v_div_scale_f32 v0, null, s14, s14, 1.0
	s_delay_alu instid0(VALU_DEP_3) | instskip(NEXT) | instid1(VALU_DEP_2)
	v_mad_u64_u32 v[14:15], null, 0xcd9e8d57, v5, 0
	v_rcp_f32_e32 v17, v0
	s_delay_alu instid0(VALU_DEP_3) | instskip(SKIP_2) | instid1(VALU_DEP_2)
	v_xor3_b32 v6, v28, v4, v6
	s_waitcnt lgkmcnt(0)
	s_mul_i32 s0, s0, s12
	v_xor3_b32 v2, v15, v29, v2
	s_delay_alu instid0(VALU_DEP_2) | instskip(SKIP_1) | instid1(VALU_DEP_2)
	v_mad_u64_u32 v[4:5], null, 0xcd9e8d57, v6, 0
	s_lshl_b32 s10, s0, 1
	v_mad_u64_u32 v[6:7], null, 0xd2511f53, v2, 0
	s_waitcnt_depctr 0xfff
	v_fma_f32 v2, -v0, v17, 1.0
	s_lshl_b64 s[12:13], s[10:11], 1
	v_xor3_b32 v5, v30, v5, v14
	s_delay_alu instid0(VALU_DEP_2) | instskip(SKIP_2) | instid1(VALU_DEP_3)
	v_fmac_f32_e32 v17, v2, v17
	v_add_co_u32 v32, null, 0x646e171e, v16
	v_add_co_u32 v33, null, 0x1fd5c5a3, v16
	v_mul_f32_e32 v38, v37, v17
	s_delay_alu instid0(VALU_DEP_3) | instskip(SKIP_2) | instid1(VALU_DEP_3)
	v_xor3_b32 v7, v7, v32, v3
	v_mad_u64_u32 v[2:3], null, 0xd2511f53, v5, 0
	v_add_co_u32 v35, null, 0xdb3d7428, v16
	v_mad_u64_u32 v[14:15], null, 0xcd9e8d57, v7, 0
	s_delay_alu instid0(VALU_DEP_3) | instskip(NEXT) | instid1(VALU_DEP_2)
	v_xor3_b32 v5, v33, v3, v6
	v_xor3_b32 v7, v15, v31, v4
	s_delay_alu instid0(VALU_DEP_2) | instskip(SKIP_1) | instid1(VALU_DEP_3)
	v_mad_u64_u32 v[3:4], null, 0xcd9e8d57, v5, 0
	v_fma_f32 v15, -v0, v38, v37
	v_mad_u64_u32 v[5:6], null, 0xd2511f53, v7, 0
	s_delay_alu instid0(VALU_DEP_3) | instskip(NEXT) | instid1(VALU_DEP_2)
	v_xor3_b32 v4, v34, v4, v14
	v_xor3_b32 v14, v6, v35, v2
	s_delay_alu instid0(VALU_DEP_2) | instskip(SKIP_1) | instid1(VALU_DEP_3)
	v_mad_u64_u32 v[6:7], null, 0xd2511f53, v4, 0
	v_fmac_f32_e32 v38, v15, v17
	v_mad_u64_u32 v[1:2], null, 0xcd9e8d57, v14, 0
	v_lshlrev_b64 v[14:15], 2, v[10:11]
	s_delay_alu instid0(VALU_DEP_3) | instskip(SKIP_1) | instid1(VALU_DEP_2)
	v_fma_f32 v0, -v0, v38, v37
	v_add_nc_u32_e32 v37, 0x8ff34781, v8
	v_div_fmas_f32 v0, v0, v17, v38
	v_add_nc_u32_e32 v38, 0x96a522ad, v9
	s_delay_alu instid0(VALU_DEP_2) | instskip(NEXT) | instid1(VALU_DEP_4)
	v_div_fixup_f32 v39, v0, s14, 1.0
	v_xor3_b32 v0, v3, v2, v37
	v_mov_b32_e32 v3, v6
	s_delay_alu instid0(VALU_DEP_4)
	v_xor3_b32 v2, v7, v5, v38
	s_branch .LBB108_6
.LBB108_4:                              ;   in Loop: Header=BB108_6 Depth=1
	s_or_b32 exec_lo, exec_lo, s1
.LBB108_5:                              ;   in Loop: Header=BB108_6 Depth=1
	s_delay_alu instid0(SALU_CYCLE_1)
	s_or_b32 exec_lo, exec_lo, s0
	v_add_co_u32 v2, vcc_lo, s4, v14
	v_add_co_ci_u32_e32 v3, vcc_lo, s5, v15, vcc_lo
	v_cvt_f32_u32_e32 v0, v0
	v_cvt_f32_u32_e32 v1, v1
	global_load_b32 v2, v[2:3], off
	v_dual_fmaak_f32 v0, 0x2f800000, v0, 0x2f800000 :: v_dual_fmaak_f32 v1, 0x2f800000, v1, 0x2f800000
	s_delay_alu instid0(VALU_DEP_1) | instskip(NEXT) | instid1(VALU_DEP_2)
	v_cmp_gt_f32_e32 vcc_lo, s14, v0
	v_cmp_gt_f32_e64 s0, s14, v1
	v_cndmask_b32_e64 v0, 0, 1.0, vcc_lo
	s_delay_alu instid0(VALU_DEP_2) | instskip(SKIP_2) | instid1(VALU_DEP_1)
	v_cndmask_b32_e64 v1, 0, 1.0, s0
	v_cndmask_b32_e64 v42, 0, 1, vcc_lo
	v_cndmask_b32_e64 v40, 0, 1, s0
	v_lshlrev_b16 v43, 8, v40
	s_delay_alu instid0(VALU_DEP_1) | instskip(SKIP_3) | instid1(VALU_DEP_1)
	v_or_b32_e32 v42, v42, v43
	s_waitcnt vmcnt(0)
	v_lshlrev_b32_e32 v3, 16, v2
	v_and_b32_e32 v2, 0xffff0000, v2
	v_dual_mul_f32 v0, v0, v3 :: v_dual_mul_f32 v1, v1, v2
	s_delay_alu instid0(VALU_DEP_1) | instskip(NEXT) | instid1(VALU_DEP_2)
	v_mul_f32_e32 v0, v39, v0
	v_mul_f32_e32 v1, v39, v1
	s_delay_alu instid0(VALU_DEP_2) | instskip(NEXT) | instid1(VALU_DEP_2)
	v_bfe_u32 v2, v0, 16, 1
	v_bfe_u32 v3, v1, 16, 1
	v_cmp_o_f32_e32 vcc_lo, v1, v1
	s_delay_alu instid0(VALU_DEP_3) | instskip(NEXT) | instid1(VALU_DEP_3)
	v_add3_u32 v2, v0, v2, 0x7fff
	v_add3_u32 v3, v1, v3, 0x7fff
	s_delay_alu instid0(VALU_DEP_2) | instskip(NEXT) | instid1(VALU_DEP_2)
	v_lshrrev_b32_e32 v2, 16, v2
	v_and_b32_e32 v3, 0xffff0000, v3
	s_delay_alu instid0(VALU_DEP_1)
	v_cndmask_b32_e32 v1, 0x7fc00000, v3, vcc_lo
	v_cmp_o_f32_e32 vcc_lo, v0, v0
	v_mov_b32_e32 v7, v16
	v_add_co_u32 v16, s1, s8, v12
	v_add_co_u32 v12, s0, v12, s10
	v_cndmask_b32_e32 v0, 0x7fc0, v2, vcc_lo
	v_add_co_ci_u32_e64 v17, s1, s9, v13, s1
	v_add_co_ci_u32_e64 v13, s0, 0, v13, s0
	v_add_co_u32 v40, vcc_lo, s6, v14
	v_add_co_ci_u32_e32 v41, vcc_lo, s7, v15, vcc_lo
	s_delay_alu instid0(VALU_DEP_3)
	v_cmp_le_u64_e32 vcc_lo, s[2:3], v[12:13]
	v_add_co_u32 v14, s0, v14, s12
	v_or_b32_e32 v43, v1, v0
	v_dual_mov_b32 v0, v4 :: v_dual_mov_b32 v1, v5
	v_add_co_ci_u32_e64 v15, s0, s13, v15, s0
	v_dual_mov_b32 v2, v6 :: v_dual_mov_b32 v3, v7
	s_or_b32 s11, vcc_lo, s11
	global_store_b32 v[40:41], v43, off
	global_store_b16 v[16:17], v42, off
	s_waitcnt_vscnt null, 0x0
	s_barrier
	buffer_gl0_inv
	s_and_not1_b32 exec_lo, exec_lo, s11
	s_cbranch_execz .LBB108_15
.LBB108_6:                              ; =>This Inner Loop Header: Depth=1
	v_add_co_u32 v18, vcc_lo, v18, 1
	s_delay_alu instid0(VALU_DEP_1) | instskip(SKIP_2) | instid1(VALU_DEP_1)
	v_cndmask_b32_e64 v4, 0, 1, vcc_lo
	v_add_co_ci_u32_e32 v19, vcc_lo, 0, v19, vcc_lo
	s_mov_b32 s0, exec_lo
	v_cmp_eq_u32_e32 vcc_lo, 0, v19
	s_delay_alu instid0(VALU_DEP_3) | instskip(NEXT) | instid1(VALU_DEP_1)
	v_cndmask_b32_e32 v4, 0, v4, vcc_lo
	v_add_nc_u32_e32 v10, v4, v10
	s_delay_alu instid0(VALU_DEP_1) | instskip(SKIP_2) | instid1(VALU_DEP_2)
	v_cmp_eq_u32_e32 vcc_lo, 0, v10
	v_mad_u64_u32 v[6:7], null, 0xcd9e8d57, v10, 0
	v_cndmask_b32_e32 v4, 0, v4, vcc_lo
	v_xor3_b32 v7, v7, v8, v19
	s_delay_alu instid0(VALU_DEP_2) | instskip(SKIP_1) | instid1(VALU_DEP_3)
	v_add_nc_u32_e32 v11, v4, v11
	v_mad_u64_u32 v[4:5], null, 0xd2511f53, v18, 0
	v_mad_u64_u32 v[40:41], null, 0xd2511f53, v7, 0
	s_delay_alu instid0(VALU_DEP_2) | instskip(NEXT) | instid1(VALU_DEP_1)
	v_xor_b32_e32 v5, v5, v9
	v_xor_b32_e32 v5, v11, v5
	s_delay_alu instid0(VALU_DEP_1) | instskip(NEXT) | instid1(VALU_DEP_1)
	v_mad_u64_u32 v[16:17], null, 0xcd9e8d57, v5, 0
	v_xor3_b32 v6, v21, v17, v6
	v_xor3_b32 v17, v20, v41, v4
	s_delay_alu instid0(VALU_DEP_2) | instskip(NEXT) | instid1(VALU_DEP_2)
	v_mad_u64_u32 v[4:5], null, 0xd2511f53, v6, 0
	v_mad_u64_u32 v[6:7], null, 0xcd9e8d57, v17, 0
	s_delay_alu instid0(VALU_DEP_2) | instskip(NEXT) | instid1(VALU_DEP_2)
	v_xor3_b32 v5, v23, v5, v40
	v_xor3_b32 v7, v22, v7, v16
	s_delay_alu instid0(VALU_DEP_2) | instskip(NEXT) | instid1(VALU_DEP_2)
	v_mad_u64_u32 v[16:17], null, 0xcd9e8d57, v5, 0
	v_mad_u64_u32 v[40:41], null, 0xd2511f53, v7, 0
	s_delay_alu instid0(VALU_DEP_2) | instskip(NEXT) | instid1(VALU_DEP_2)
	v_xor3_b32 v6, v25, v17, v6
	v_xor3_b32 v17, v24, v41, v4
	s_delay_alu instid0(VALU_DEP_2) | instskip(NEXT) | instid1(VALU_DEP_2)
	v_mad_u64_u32 v[4:5], null, 0xd2511f53, v6, 0
	v_mad_u64_u32 v[6:7], null, 0xcd9e8d57, v17, 0
	s_delay_alu instid0(VALU_DEP_2) | instskip(NEXT) | instid1(VALU_DEP_2)
	v_xor3_b32 v5, v27, v5, v40
	v_xor3_b32 v7, v26, v7, v16
	s_delay_alu instid0(VALU_DEP_2) | instskip(NEXT) | instid1(VALU_DEP_2)
	v_mad_u64_u32 v[16:17], null, 0xcd9e8d57, v5, 0
	v_mad_u64_u32 v[40:41], null, 0xd2511f53, v7, 0
	s_delay_alu instid0(VALU_DEP_2) | instskip(NEXT) | instid1(VALU_DEP_2)
	v_xor3_b32 v6, v29, v17, v6
	v_xor3_b32 v17, v28, v41, v4
	s_delay_alu instid0(VALU_DEP_2) | instskip(NEXT) | instid1(VALU_DEP_2)
	v_mad_u64_u32 v[4:5], null, 0xd2511f53, v6, 0
	v_mad_u64_u32 v[6:7], null, 0xcd9e8d57, v17, 0
	s_delay_alu instid0(VALU_DEP_2) | instskip(NEXT) | instid1(VALU_DEP_2)
	v_xor3_b32 v5, v32, v5, v40
	v_xor3_b32 v7, v30, v7, v16
	s_delay_alu instid0(VALU_DEP_2) | instskip(NEXT) | instid1(VALU_DEP_2)
	v_mad_u64_u32 v[16:17], null, 0xcd9e8d57, v5, 0
	v_mad_u64_u32 v[40:41], null, 0xd2511f53, v7, 0
	s_delay_alu instid0(VALU_DEP_2) | instskip(NEXT) | instid1(VALU_DEP_2)
	v_xor3_b32 v5, v31, v17, v6
	v_xor3_b32 v6, v33, v41, v4
	s_delay_alu instid0(VALU_DEP_2) | instskip(NEXT) | instid1(VALU_DEP_2)
	v_mad_u64_u32 v[41:42], null, 0xd2511f53, v5, 0
	v_mad_u64_u32 v[4:5], null, 0xcd9e8d57, v6, 0
	s_delay_alu instid0(VALU_DEP_2) | instskip(NEXT) | instid1(VALU_DEP_2)
	v_xor3_b32 v7, v35, v42, v40
	v_xor3_b32 v40, v34, v5, v16
	s_delay_alu instid0(VALU_DEP_2) | instskip(NEXT) | instid1(VALU_DEP_2)
	v_mad_u64_u32 v[5:6], null, 0xcd9e8d57, v7, 0
	v_mad_u64_u32 v[16:17], null, 0xd2511f53, v40, 0
	s_delay_alu instid0(VALU_DEP_2) | instskip(NEXT) | instid1(VALU_DEP_2)
	v_xor3_b32 v4, v6, v4, v37
	v_xor3_b32 v6, v17, v41, v38
	v_cmpx_lt_i32_e32 1, v36
	s_xor_b32 s0, exec_lo, s0
	s_cbranch_execz .LBB108_12
; %bb.7:                                ;   in Loop: Header=BB108_6 Depth=1
	s_mov_b32 s1, exec_lo
	v_cmpx_lt_i32_e32 2, v36
	s_xor_b32 s1, exec_lo, s1
; %bb.8:                                ;   in Loop: Header=BB108_6 Depth=1
	v_dual_mov_b32 v0, v3 :: v_dual_mov_b32 v1, v4
; %bb.9:                                ;   in Loop: Header=BB108_6 Depth=1
	s_and_not1_saveexec_b32 s1, s1
; %bb.10:                               ;   in Loop: Header=BB108_6 Depth=1
	v_dual_mov_b32 v0, v2 :: v_dual_mov_b32 v1, v3
; %bb.11:                               ;   in Loop: Header=BB108_6 Depth=1
	s_or_b32 exec_lo, exec_lo, s1
.LBB108_12:                             ;   in Loop: Header=BB108_6 Depth=1
	s_and_not1_saveexec_b32 s0, s0
	s_cbranch_execz .LBB108_5
; %bb.13:                               ;   in Loop: Header=BB108_6 Depth=1
	s_mov_b32 s1, exec_lo
	v_cmpx_eq_u32_e32 1, v36
	s_cbranch_execz .LBB108_4
; %bb.14:                               ;   in Loop: Header=BB108_6 Depth=1
	v_dual_mov_b32 v0, v1 :: v_dual_mov_b32 v1, v2
	s_branch .LBB108_4
.LBB108_15:
	s_endpgm
	.section	.rodata,"a",@progbits
	.p2align	6, 0x0
	.amdhsa_kernel _ZN2at6native12_GLOBAL__N_124fused_dropout_kernel_vecIN3c108BFloat16EfmLi1ELi2EhEEvNS_4cuda6detail10TensorInfoIKT_T1_EENS7_IS8_SA_EENS7_IT4_SA_EESA_T0_NS_15PhiloxCudaStateE
		.amdhsa_group_segment_fixed_size 0
		.amdhsa_private_segment_fixed_size 0
		.amdhsa_kernarg_size 1552
		.amdhsa_user_sgpr_count 15
		.amdhsa_user_sgpr_dispatch_ptr 0
		.amdhsa_user_sgpr_queue_ptr 0
		.amdhsa_user_sgpr_kernarg_segment_ptr 1
		.amdhsa_user_sgpr_dispatch_id 0
		.amdhsa_user_sgpr_private_segment_size 0
		.amdhsa_wavefront_size32 1
		.amdhsa_uses_dynamic_stack 0
		.amdhsa_enable_private_segment 0
		.amdhsa_system_sgpr_workgroup_id_x 1
		.amdhsa_system_sgpr_workgroup_id_y 0
		.amdhsa_system_sgpr_workgroup_id_z 0
		.amdhsa_system_sgpr_workgroup_info 0
		.amdhsa_system_vgpr_workitem_id 0
		.amdhsa_next_free_vgpr 44
		.amdhsa_next_free_sgpr 16
		.amdhsa_reserve_vcc 1
		.amdhsa_float_round_mode_32 0
		.amdhsa_float_round_mode_16_64 0
		.amdhsa_float_denorm_mode_32 3
		.amdhsa_float_denorm_mode_16_64 3
		.amdhsa_dx10_clamp 1
		.amdhsa_ieee_mode 1
		.amdhsa_fp16_overflow 0
		.amdhsa_workgroup_processor_mode 1
		.amdhsa_memory_ordered 1
		.amdhsa_forward_progress 0
		.amdhsa_shared_vgpr_count 0
		.amdhsa_exception_fp_ieee_invalid_op 0
		.amdhsa_exception_fp_denorm_src 0
		.amdhsa_exception_fp_ieee_div_zero 0
		.amdhsa_exception_fp_ieee_overflow 0
		.amdhsa_exception_fp_ieee_underflow 0
		.amdhsa_exception_fp_ieee_inexact 0
		.amdhsa_exception_int_div_zero 0
	.end_amdhsa_kernel
	.section	.text._ZN2at6native12_GLOBAL__N_124fused_dropout_kernel_vecIN3c108BFloat16EfmLi1ELi2EhEEvNS_4cuda6detail10TensorInfoIKT_T1_EENS7_IS8_SA_EENS7_IT4_SA_EESA_T0_NS_15PhiloxCudaStateE,"axG",@progbits,_ZN2at6native12_GLOBAL__N_124fused_dropout_kernel_vecIN3c108BFloat16EfmLi1ELi2EhEEvNS_4cuda6detail10TensorInfoIKT_T1_EENS7_IS8_SA_EENS7_IT4_SA_EESA_T0_NS_15PhiloxCudaStateE,comdat
.Lfunc_end108:
	.size	_ZN2at6native12_GLOBAL__N_124fused_dropout_kernel_vecIN3c108BFloat16EfmLi1ELi2EhEEvNS_4cuda6detail10TensorInfoIKT_T1_EENS7_IS8_SA_EENS7_IT4_SA_EESA_T0_NS_15PhiloxCudaStateE, .Lfunc_end108-_ZN2at6native12_GLOBAL__N_124fused_dropout_kernel_vecIN3c108BFloat16EfmLi1ELi2EhEEvNS_4cuda6detail10TensorInfoIKT_T1_EENS7_IS8_SA_EENS7_IT4_SA_EESA_T0_NS_15PhiloxCudaStateE
                                        ; -- End function
	.section	.AMDGPU.csdata,"",@progbits
; Kernel info:
; codeLenInByte = 2056
; NumSgprs: 18
; NumVgprs: 44
; ScratchSize: 0
; MemoryBound: 0
; FloatMode: 240
; IeeeMode: 1
; LDSByteSize: 0 bytes/workgroup (compile time only)
; SGPRBlocks: 2
; VGPRBlocks: 5
; NumSGPRsForWavesPerEU: 18
; NumVGPRsForWavesPerEU: 44
; Occupancy: 16
; WaveLimiterHint : 1
; COMPUTE_PGM_RSRC2:SCRATCH_EN: 0
; COMPUTE_PGM_RSRC2:USER_SGPR: 15
; COMPUTE_PGM_RSRC2:TRAP_HANDLER: 0
; COMPUTE_PGM_RSRC2:TGID_X_EN: 1
; COMPUTE_PGM_RSRC2:TGID_Y_EN: 0
; COMPUTE_PGM_RSRC2:TGID_Z_EN: 0
; COMPUTE_PGM_RSRC2:TIDIG_COMP_CNT: 0
	.section	.text._ZN2at6native12_GLOBAL__N_120fused_dropout_kernelIN3c108BFloat16EfmLi1ELi1EhEEvNS_4cuda6detail10TensorInfoIKT_T1_EENS7_IS8_SA_EENS7_IT4_SA_EESA_T0_NS_15PhiloxCudaStateE,"axG",@progbits,_ZN2at6native12_GLOBAL__N_120fused_dropout_kernelIN3c108BFloat16EfmLi1ELi1EhEEvNS_4cuda6detail10TensorInfoIKT_T1_EENS7_IS8_SA_EENS7_IT4_SA_EESA_T0_NS_15PhiloxCudaStateE,comdat
	.globl	_ZN2at6native12_GLOBAL__N_120fused_dropout_kernelIN3c108BFloat16EfmLi1ELi1EhEEvNS_4cuda6detail10TensorInfoIKT_T1_EENS7_IS8_SA_EENS7_IT4_SA_EESA_T0_NS_15PhiloxCudaStateE ; -- Begin function _ZN2at6native12_GLOBAL__N_120fused_dropout_kernelIN3c108BFloat16EfmLi1ELi1EhEEvNS_4cuda6detail10TensorInfoIKT_T1_EENS7_IS8_SA_EENS7_IT4_SA_EESA_T0_NS_15PhiloxCudaStateE
	.p2align	8
	.type	_ZN2at6native12_GLOBAL__N_120fused_dropout_kernelIN3c108BFloat16EfmLi1ELi1EhEEvNS_4cuda6detail10TensorInfoIKT_T1_EENS7_IS8_SA_EENS7_IT4_SA_EESA_T0_NS_15PhiloxCudaStateE,@function
_ZN2at6native12_GLOBAL__N_120fused_dropout_kernelIN3c108BFloat16EfmLi1ELi1EhEEvNS_4cuda6detail10TensorInfoIKT_T1_EENS7_IS8_SA_EENS7_IT4_SA_EESA_T0_NS_15PhiloxCudaStateE: ; @_ZN2at6native12_GLOBAL__N_120fused_dropout_kernelIN3c108BFloat16EfmLi1ELi1EhEEvNS_4cuda6detail10TensorInfoIKT_T1_EENS7_IS8_SA_EENS7_IT4_SA_EESA_T0_NS_15PhiloxCudaStateE
; %bb.0:
	s_clause 0x1
	s_load_b128 s[4:7], s[0:1], 0x4f0
	s_load_b32 s2, s[0:1], 0x508
	s_waitcnt lgkmcnt(0)
	v_dual_mov_b32 v1, s6 :: v_dual_mov_b32 v2, s7
	v_dual_mov_b32 v12, s5 :: v_dual_mov_b32 v11, s4
	s_bitcmp0_b32 s2, 0
	s_mov_b32 s2, 0
	s_cbranch_scc1 .LBB109_2
; %bb.1:
	v_dual_mov_b32 v1, s6 :: v_dual_mov_b32 v2, s7
	v_dual_mov_b32 v3, s4 :: v_dual_mov_b32 v4, s5
	s_load_b64 s[4:5], s[0:1], 0x500
	flat_load_b64 v[1:2], v[1:2]
	flat_load_b64 v[11:12], v[3:4]
	s_waitcnt vmcnt(1) lgkmcnt(0)
	v_add_co_u32 v1, vcc_lo, v1, s4
	v_add_co_ci_u32_e32 v2, vcc_lo, s5, v2, vcc_lo
.LBB109_2:
	s_clause 0x2
	s_load_b32 s3, s[0:1], 0x51c
	s_load_b64 s[4:5], s[0:1], 0x4e0
	s_load_b32 s6, s[0:1], 0x510
	s_waitcnt lgkmcnt(0)
	s_and_b32 s7, s3, 0xffff
	s_add_u32 s8, s4, -1
	s_mul_i32 s20, s6, s7
	s_addc_u32 s3, s5, -1
	s_lshl_b32 s21, s20, 2
	s_cmp_lg_u64 s[2:3], 0
	s_cbranch_scc0 .LBB109_35
; %bb.3:
	v_cvt_f32_u32_e32 v3, s21
	s_sub_u32 s10, 0, s21
	s_subb_u32 s11, 0, 0
	s_delay_alu instid0(VALU_DEP_1) | instskip(NEXT) | instid1(VALU_DEP_1)
	v_fmamk_f32 v3, 0, 0x4f800000, v3
	v_rcp_f32_e32 v3, v3
	s_waitcnt_depctr 0xfff
	v_mul_f32_e32 v3, 0x5f7ffffc, v3
	s_delay_alu instid0(VALU_DEP_1) | instskip(NEXT) | instid1(VALU_DEP_1)
	v_mul_f32_e32 v4, 0x2f800000, v3
	v_trunc_f32_e32 v4, v4
	s_delay_alu instid0(VALU_DEP_1) | instskip(SKIP_1) | instid1(VALU_DEP_2)
	v_fmamk_f32 v3, v4, 0xcf800000, v3
	v_cvt_u32_f32_e32 v4, v4
	v_cvt_u32_f32_e32 v3, v3
	s_delay_alu instid0(VALU_DEP_2) | instskip(NEXT) | instid1(VALU_DEP_2)
	v_readfirstlane_b32 s2, v4
	v_readfirstlane_b32 s9, v3
	s_delay_alu instid0(VALU_DEP_2) | instskip(NEXT) | instid1(VALU_DEP_1)
	s_mul_i32 s12, s10, s2
	s_mul_hi_u32 s14, s10, s9
	s_mul_i32 s13, s11, s9
	s_add_i32 s12, s14, s12
	s_mul_i32 s16, s10, s9
	s_add_i32 s12, s12, s13
	s_mul_hi_u32 s14, s9, s16
	s_mul_hi_u32 s17, s2, s16
	s_mul_i32 s13, s2, s16
	s_mul_hi_u32 s16, s9, s12
	s_mul_i32 s9, s9, s12
	s_mul_hi_u32 s18, s2, s12
	s_add_u32 s9, s14, s9
	s_addc_u32 s14, 0, s16
	s_add_u32 s9, s9, s13
	s_mul_i32 s12, s2, s12
	s_addc_u32 s9, s14, s17
	s_addc_u32 s13, s18, 0
	s_add_u32 s9, s9, s12
	s_addc_u32 s12, 0, s13
	v_add_co_u32 v3, s9, v3, s9
	s_delay_alu instid0(VALU_DEP_1) | instskip(SKIP_1) | instid1(VALU_DEP_1)
	s_cmp_lg_u32 s9, 0
	s_addc_u32 s2, s2, s12
	v_readfirstlane_b32 s9, v3
	s_mul_i32 s12, s10, s2
	s_delay_alu instid0(VALU_DEP_1)
	s_mul_hi_u32 s13, s10, s9
	s_mul_i32 s11, s11, s9
	s_add_i32 s12, s13, s12
	s_mul_i32 s10, s10, s9
	s_add_i32 s12, s12, s11
	s_mul_hi_u32 s13, s2, s10
	s_mul_i32 s14, s2, s10
	s_mul_hi_u32 s10, s9, s10
	s_mul_hi_u32 s16, s9, s12
	s_mul_i32 s9, s9, s12
	s_mul_hi_u32 s11, s2, s12
	s_add_u32 s9, s10, s9
	s_addc_u32 s10, 0, s16
	s_add_u32 s9, s9, s14
	s_mul_i32 s12, s2, s12
	s_addc_u32 s9, s10, s13
	s_addc_u32 s10, s11, 0
	s_add_u32 s9, s9, s12
	s_addc_u32 s10, 0, s10
	v_add_co_u32 v3, s9, v3, s9
	s_delay_alu instid0(VALU_DEP_1) | instskip(SKIP_1) | instid1(VALU_DEP_1)
	s_cmp_lg_u32 s9, 0
	s_addc_u32 s2, s2, s10
	v_readfirstlane_b32 s9, v3
	s_mul_i32 s11, s8, s2
	s_mul_hi_u32 s10, s8, s2
	s_mul_hi_u32 s12, s3, s2
	s_mul_i32 s2, s3, s2
	s_mul_hi_u32 s13, s8, s9
	s_mul_hi_u32 s14, s3, s9
	s_mul_i32 s9, s3, s9
	s_add_u32 s11, s13, s11
	s_addc_u32 s10, 0, s10
	s_add_u32 s9, s11, s9
	s_addc_u32 s9, s10, s14
	s_addc_u32 s10, s12, 0
	s_add_u32 s2, s9, s2
	s_addc_u32 s10, 0, s10
	s_mul_i32 s11, s21, s2
	s_add_u32 s9, s2, 1
	v_sub_co_u32 v3, s11, s8, s11
	s_mul_hi_u32 s12, s21, s2
	s_addc_u32 s13, s10, 0
	s_mul_i32 s14, s21, s10
	s_delay_alu instid0(VALU_DEP_1)
	v_sub_co_u32 v4, s16, v3, s21
	s_add_u32 s17, s2, 2
	s_addc_u32 s18, s10, 0
	s_add_i32 s12, s12, s14
	s_cmp_lg_u32 s11, 0
	v_readfirstlane_b32 s11, v4
	s_subb_u32 s3, s3, s12
	s_cmp_lg_u32 s16, 0
	s_subb_u32 s12, s3, 0
	s_delay_alu instid0(VALU_DEP_1) | instskip(SKIP_4) | instid1(SALU_CYCLE_1)
	s_cmp_ge_u32 s11, s21
	s_cselect_b32 s11, -1, 0
	s_cmp_eq_u32 s12, 0
	v_readfirstlane_b32 s12, v3
	s_cselect_b32 s11, s11, -1
	s_cmp_lg_u32 s11, 0
	s_cselect_b32 s11, s17, s9
	s_cselect_b32 s13, s18, s13
	s_cmp_ge_u32 s12, s21
	s_cselect_b32 s9, -1, 0
	s_cmp_eq_u32 s3, 0
	s_cselect_b32 s3, s9, -1
	s_delay_alu instid0(SALU_CYCLE_1)
	s_cmp_lg_u32 s3, 0
	s_cselect_b32 s3, s13, s10
	s_cselect_b32 s2, s11, s2
	s_cbranch_execnz .LBB109_5
.LBB109_4:
	v_cvt_f32_u32_e32 v3, s21
	s_sub_i32 s3, 0, s21
	s_delay_alu instid0(VALU_DEP_1) | instskip(SKIP_2) | instid1(VALU_DEP_1)
	v_rcp_iflag_f32_e32 v3, v3
	s_waitcnt_depctr 0xfff
	v_mul_f32_e32 v3, 0x4f7ffffe, v3
	v_cvt_u32_f32_e32 v3, v3
	s_delay_alu instid0(VALU_DEP_1) | instskip(NEXT) | instid1(VALU_DEP_1)
	v_readfirstlane_b32 s2, v3
	s_mul_i32 s3, s3, s2
	s_delay_alu instid0(SALU_CYCLE_1) | instskip(NEXT) | instid1(SALU_CYCLE_1)
	s_mul_hi_u32 s3, s2, s3
	s_add_i32 s2, s2, s3
	s_delay_alu instid0(SALU_CYCLE_1) | instskip(NEXT) | instid1(SALU_CYCLE_1)
	s_mul_hi_u32 s2, s8, s2
	s_mul_i32 s3, s2, s21
	s_delay_alu instid0(SALU_CYCLE_1)
	s_sub_i32 s3, s8, s3
	s_add_i32 s8, s2, 1
	s_sub_i32 s9, s3, s21
	s_cmp_ge_u32 s3, s21
	s_cselect_b32 s2, s8, s2
	s_cselect_b32 s3, s9, s3
	s_add_i32 s8, s2, 1
	s_cmp_ge_u32 s3, s21
	s_mov_b32 s3, 0
	s_cselect_b32 s2, s8, s2
.LBB109_5:
	s_delay_alu instid0(SALU_CYCLE_1)
	s_add_u32 s2, s2, 1
	s_addc_u32 s3, s3, 0
	v_mad_u64_u32 v[13:14], null, s15, s7, v[0:1]
	s_mul_i32 s3, s20, s3
	s_mul_hi_u32 s8, s20, s2
	s_mul_hi_u32 s6, s6, s7
	s_add_i32 s3, s8, s3
	s_mul_i32 s6, s6, s2
	v_mov_b32_e32 v14, 0
	s_add_i32 s3, s3, s6
	s_mul_i32 s2, s20, s2
	s_delay_alu instid0(SALU_CYCLE_1)
	s_lshl_b64 s[6:7], s[2:3], 2
	s_mov_b32 s2, exec_lo
	v_cmpx_gt_u64_e64 s[6:7], v[13:14]
	s_cbranch_execz .LBB109_34
; %bb.6:
	v_alignbit_b32 v43, v2, v1, 2
	v_mad_u64_u32 v[3:4], null, 0xcd9e8d57, v13, 0
	v_lshrrev_b32_e32 v44, 2, v2
	s_waitcnt vmcnt(0)
	v_dual_mov_b32 v10, v12 :: v_dual_and_b32 v53, 3, v1
	v_mad_u64_u32 v[5:6], null, 0xd2511f53, v43, 0
	v_add_co_u32 v46, null, 0x9e3779b9, v11
	v_xor3_b32 v0, v11, v4, v44
	s_delay_alu instid0(VALU_DEP_4) | instskip(SKIP_2) | instid1(VALU_DEP_4)
	v_add_co_u32 v45, null, 0xbb67ae85, v10
	v_add_co_u32 v47, null, 0x3c6ef372, v11
	v_xor_b32_e32 v2, v6, v12
	v_mad_u64_u32 v[6:7], null, 0xd2511f53, v0, 0
	v_add_co_u32 v48, null, 0x76cf5d0a, v10
	s_delay_alu instid0(VALU_DEP_3) | instskip(SKIP_1) | instid1(VALU_DEP_4)
	v_mad_u64_u32 v[8:9], null, 0xcd9e8d57, v2, 0
	v_add_co_u32 v50, null, 0x32370b8f, v10
	v_xor3_b32 v0, v45, v7, v5
	v_add_co_u32 v49, null, 0xdaa66d2b, v11
	v_add_co_u32 v51, null, 0x78dde6e4, v11
	v_xor3_b32 v7, v9, v46, v3
	s_delay_alu instid0(VALU_DEP_4)
	v_mad_u64_u32 v[2:3], null, 0xcd9e8d57, v0, 0
	s_clause 0x5
	s_load_b64 s[8:9], s[0:1], 0x0
	s_load_b64 s[2:3], s[0:1], 0xd0
	;; [unrolled: 1-line block ×5, first 2 shown]
	s_load_b32 s22, s[0:1], 0x4e8
	v_mad_u64_u32 v[4:5], null, 0xd2511f53, v7, 0
	v_add_co_u32 v52, null, 0xed9eba14, v10
	v_xor3_b32 v0, v47, v3, v8
	v_add_co_u32 v56, null, 0xa9066899, v10
	v_add_co_u32 v57, null, 0x1715609d, v11
	v_xor3_b32 v3, v5, v48, v6
	s_delay_alu instid0(VALU_DEP_4) | instskip(SKIP_1) | instid1(VALU_DEP_3)
	v_mad_u64_u32 v[5:6], null, 0xd2511f53, v0, 0
	v_add_co_u32 v58, null, 0xb54cda56, v11
	v_mad_u64_u32 v[7:8], null, 0xcd9e8d57, v3, 0
	v_add_co_u32 v61, null, 0x646e171e, v10
	s_delay_alu instid0(VALU_DEP_4)
	v_xor3_b32 v0, v50, v6, v4
	s_waitcnt lgkmcnt(0)
	v_div_scale_f32 v17, null, s22, s22, 1.0
	v_add_co_u32 v60, null, 0x1fd5c5a3, v10
	v_xor3_b32 v4, v8, v49, v2
	v_mad_u64_u32 v[2:3], null, 0xcd9e8d57, v0, 0
	s_delay_alu instid0(VALU_DEP_4) | instskip(SKIP_1) | instid1(VALU_DEP_3)
	v_rcp_f32_e32 v19, v17
	v_add_co_u32 v59, null, 0x5384540f, v11
	v_mad_u64_u32 v[8:9], null, 0xd2511f53, v4, 0
	v_mad_u64_u32 v[15:16], null, s16, v13, 0
	s_delay_alu instid0(VALU_DEP_4) | instskip(SKIP_3) | instid1(VALU_DEP_4)
	v_xor3_b32 v3, v51, v3, v7
	v_add_nc_u32_e32 v54, 0x8ff34781, v11
	v_add_co_u32 v62, null, 0xf1bbcdc8, v11
	v_xor3_b32 v5, v9, v52, v5
	v_mad_u64_u32 v[0:1], null, 0xd2511f53, v3, 0
	v_div_scale_f32 v18, vcc_lo, 1.0, s22, 1.0
	s_delay_alu instid0(VALU_DEP_3) | instskip(SKIP_1) | instid1(VALU_DEP_4)
	v_mad_u64_u32 v[3:4], null, 0xcd9e8d57, v5, 0
	v_add_co_u32 v63, null, 0xdb3d7428, v10
	v_xor3_b32 v5, v56, v1, v8
	v_mad_u64_u32 v[8:9], null, s2, v13, 0
	s_mul_i32 s25, s20, 3
	s_delay_alu instid0(VALU_DEP_4) | instskip(NEXT) | instid1(VALU_DEP_3)
	v_xor3_b32 v6, v4, v57, v2
	v_mad_u64_u32 v[1:2], null, 0xcd9e8d57, v5, 0
	s_lshl_b32 s24, s20, 1
	s_mul_hi_u32 s1, s16, s21
	s_delay_alu instid0(VALU_DEP_2) | instskip(SKIP_2) | instid1(VALU_DEP_4)
	v_mad_u64_u32 v[4:5], null, 0xd2511f53, v6, 0
	v_fma_f32 v6, -v17, v19, 1.0
	v_add_co_u32 v23, s18, s24, v13
	v_xor3_b32 v7, v58, v2, v3
	s_mul_i32 s14, s16, s21
	s_delay_alu instid0(VALU_DEP_3) | instskip(SKIP_3) | instid1(VALU_DEP_3)
	v_fmac_f32_e32 v19, v6, v19
	v_xor3_b32 v0, v5, v61, v0
	v_mad_u64_u32 v[21:22], null, s16, v23, 0
	v_mad_u64_u32 v[2:3], null, 0xd2511f53, v7, 0
	;; [unrolled: 1-line block ×3, first 2 shown]
	v_mul_lo_u32 v32, s3, v23
	s_mov_b32 s23, 0
                                        ; implicit-def: $vgpr65
                                        ; implicit-def: $vgpr66
                                        ; implicit-def: $vgpr67
                                        ; implicit-def: $vgpr68
	s_delay_alu instid0(VALU_DEP_3) | instskip(NEXT) | instid1(VALU_DEP_3)
	v_xor3_b32 v3, v60, v3, v4
	v_xor3_b32 v4, v6, v59, v1
	s_delay_alu instid0(VALU_DEP_2) | instskip(SKIP_1) | instid1(VALU_DEP_3)
	v_mad_u64_u32 v[0:1], null, 0xcd9e8d57, v3, 0
	v_mov_b32_e32 v3, v16
	v_mad_u64_u32 v[6:7], null, 0xd2511f53, v4, 0
	s_delay_alu instid0(VALU_DEP_3) | instskip(NEXT) | instid1(VALU_DEP_3)
	v_xor3_b32 v1, v62, v1, v5
	v_mad_u64_u32 v[4:5], null, s17, v13, v[3:4]
	s_delay_alu instid0(VALU_DEP_3) | instskip(NEXT) | instid1(VALU_DEP_2)
	v_xor3_b32 v3, v7, v63, v2
	v_dual_mov_b32 v16, v4 :: v_dual_add_nc_u32 v55, 0x96a522ad, v12
	v_mul_f32_e32 v20, v18, v19
	s_delay_alu instid0(VALU_DEP_1) | instskip(NEXT) | instid1(VALU_DEP_1)
	v_fma_f32 v10, -v17, v20, v18
	v_fmac_f32_e32 v20, v10, v19
	v_add_co_u32 v10, s0, s25, v13
	s_delay_alu instid0(VALU_DEP_1) | instskip(NEXT) | instid1(VALU_DEP_3)
	v_add_co_ci_u32_e64 v4, null, 0, 0, s0
	v_fma_f32 v5, -v17, v20, v18
	v_mad_u64_u32 v[17:18], null, 0xd2511f53, v1, 0
	v_mad_u64_u32 v[1:2], null, 0xcd9e8d57, v3, 0
	s_delay_alu instid0(VALU_DEP_3)
	v_div_fmas_f32 v3, v5, v19, v20
	v_mov_b32_e32 v5, v9
	v_mul_lo_u32 v29, s3, v10
	v_mul_lo_u32 v30, s2, v4
	s_mul_i32 s0, s17, s21
	v_div_fixup_f32 v64, v3, s22, 1.0
	v_xor3_b32 v0, v0, v2, v54
	v_xor3_b32 v2, v18, v6, v55
	v_mad_u64_u32 v[6:7], null, s3, v13, v[5:6]
	v_mov_b32_e32 v3, v17
	v_mul_lo_u32 v5, s17, v10
	v_mul_lo_u32 v7, s16, v4
	v_mad_u64_u32 v[17:18], null, s16, v10, 0
	v_lshlrev_b64 v[19:20], 1, v[15:16]
	v_mov_b32_e32 v9, v6
	v_add_co_ci_u32_e64 v6, null, 0, 0, s18
	v_add_co_u32 v25, s18, s20, v13
	s_delay_alu instid0(VALU_DEP_1)
	v_add_co_ci_u32_e64 v26, null, 0, 0, s18
	v_add3_u32 v18, v18, v7, v5
	v_mad_u64_u32 v[4:5], null, s2, v10, 0
	v_mul_lo_u32 v10, s17, v23
	v_mul_lo_u32 v31, s16, v6
	;; [unrolled: 1-line block ×3, first 2 shown]
	v_mad_u64_u32 v[6:7], null, s2, v23, 0
	v_mul_lo_u32 v34, s17, v25
	v_mul_lo_u32 v35, s16, v26
	v_mad_u64_u32 v[23:24], null, s16, v25, 0
	v_mul_lo_u32 v36, s3, v25
	v_mul_lo_u32 v39, s2, v26
	v_mad_u64_u32 v[37:38], null, s2, v25, 0
	v_add3_u32 v5, v5, v30, v29
	v_add3_u32 v22, v22, v31, v10
	;; [unrolled: 1-line block ×4, first 2 shown]
	s_add_i32 s15, s1, s0
	s_mul_i32 s0, s3, s21
	v_add3_u32 v38, v38, v39, v36
	v_mov_b32_e32 v40, v14
	s_mul_hi_u32 s1, s2, s21
	v_lshlrev_b64 v[25:26], 1, v[8:9]
	v_lshlrev_b64 v[27:28], 1, v[17:18]
	;; [unrolled: 1-line block ×7, first 2 shown]
	v_mov_b32_e32 v39, v13
	s_add_i32 s1, s1, s0
	s_mul_i32 s0, s2, s21
	s_lshl_b64 s[16:17], s[14:15], 1
	s_lshl_b64 s[18:19], s[0:1], 1
	s_branch .LBB109_8
.LBB109_7:                              ;   in Loop: Header=BB109_8 Depth=1
	s_or_b32 exec_lo, exec_lo, s1
	v_add_co_u32 v39, vcc_lo, v39, s21
	v_add_co_ci_u32_e32 v40, vcc_lo, 0, v40, vcc_lo
	v_mov_b32_e32 v7, v41
	s_add_u32 s10, s10, s16
	s_addc_u32 s11, s11, s17
	s_delay_alu instid0(VALU_DEP_2)
	v_cmp_le_u64_e32 vcc_lo, s[6:7], v[39:40]
	s_add_u32 s12, s12, s14
	v_dual_mov_b32 v0, v4 :: v_dual_mov_b32 v1, v5
	s_addc_u32 s13, s13, s15
	v_dual_mov_b32 v2, v6 :: v_dual_mov_b32 v3, v7
	s_add_u32 s8, s8, s18
	s_addc_u32 s9, s9, s19
	s_or_b32 s23, vcc_lo, s23
	s_waitcnt vmcnt(0)
	s_waitcnt_vscnt null, 0x0
	s_barrier
	buffer_gl0_inv
	s_and_not1_b32 exec_lo, exec_lo, s23
	s_cbranch_execz .LBB109_34
.LBB109_8:                              ; =>This Inner Loop Header: Depth=1
	v_add_co_u32 v43, vcc_lo, v43, 1
	s_delay_alu instid0(VALU_DEP_1) | instskip(SKIP_2) | instid1(VALU_DEP_1)
	v_cndmask_b32_e64 v4, 0, 1, vcc_lo
	v_add_co_ci_u32_e32 v44, vcc_lo, 0, v44, vcc_lo
	s_mov_b32 s0, exec_lo
	v_cmp_eq_u32_e32 vcc_lo, 0, v44
	s_delay_alu instid0(VALU_DEP_3) | instskip(NEXT) | instid1(VALU_DEP_1)
	v_cndmask_b32_e32 v4, 0, v4, vcc_lo
	v_add_nc_u32_e32 v13, v4, v13
	s_delay_alu instid0(VALU_DEP_1) | instskip(SKIP_2) | instid1(VALU_DEP_2)
	v_cmp_eq_u32_e32 vcc_lo, 0, v13
	v_cndmask_b32_e32 v4, 0, v4, vcc_lo
	v_mad_u64_u32 v[6:7], null, 0xcd9e8d57, v13, 0
	v_add_nc_u32_e32 v14, v4, v14
	v_mad_u64_u32 v[4:5], null, 0xd2511f53, v43, 0
	s_delay_alu instid0(VALU_DEP_3) | instskip(NEXT) | instid1(VALU_DEP_2)
	v_xor3_b32 v9, v7, v11, v44
	v_xor_b32_e32 v5, v5, v12
	s_delay_alu instid0(VALU_DEP_2) | instskip(NEXT) | instid1(VALU_DEP_2)
	v_mad_u64_u32 v[7:8], null, 0xd2511f53, v9, 0
	v_xor_b32_e32 v5, v14, v5
	s_delay_alu instid0(VALU_DEP_2) | instskip(NEXT) | instid1(VALU_DEP_2)
	v_xor3_b32 v8, v45, v8, v4
	v_mad_u64_u32 v[9:10], null, 0xcd9e8d57, v5, 0
	s_delay_alu instid0(VALU_DEP_2) | instskip(NEXT) | instid1(VALU_DEP_2)
	v_mad_u64_u32 v[4:5], null, 0xcd9e8d57, v8, 0
	v_xor3_b32 v6, v46, v10, v6
	s_delay_alu instid0(VALU_DEP_2) | instskip(NEXT) | instid1(VALU_DEP_2)
	v_xor3_b32 v8, v47, v5, v9
	v_mad_u64_u32 v[41:42], null, 0xd2511f53, v6, 0
	s_delay_alu instid0(VALU_DEP_2) | instskip(NEXT) | instid1(VALU_DEP_2)
	v_mad_u64_u32 v[5:6], null, 0xd2511f53, v8, 0
	v_xor3_b32 v9, v48, v42, v7
	s_delay_alu instid0(VALU_DEP_2) | instskip(NEXT) | instid1(VALU_DEP_2)
	v_xor3_b32 v6, v50, v6, v41
	v_mad_u64_u32 v[7:8], null, 0xcd9e8d57, v9, 0
	s_delay_alu instid0(VALU_DEP_1) | instskip(NEXT) | instid1(VALU_DEP_3)
	v_xor3_b32 v4, v49, v8, v4
	v_mad_u64_u32 v[8:9], null, 0xcd9e8d57, v6, 0
	s_delay_alu instid0(VALU_DEP_2) | instskip(NEXT) | instid1(VALU_DEP_2)
	v_mad_u64_u32 v[41:42], null, 0xd2511f53, v4, 0
	v_xor3_b32 v6, v51, v9, v7
	s_delay_alu instid0(VALU_DEP_2) | instskip(NEXT) | instid1(VALU_DEP_2)
	v_xor3_b32 v9, v52, v42, v5
	v_mad_u64_u32 v[4:5], null, 0xd2511f53, v6, 0
	s_delay_alu instid0(VALU_DEP_2) | instskip(NEXT) | instid1(VALU_DEP_2)
	v_mad_u64_u32 v[6:7], null, 0xcd9e8d57, v9, 0
	v_xor3_b32 v5, v56, v5, v41
	s_delay_alu instid0(VALU_DEP_2) | instskip(NEXT) | instid1(VALU_DEP_2)
	;; [unrolled: 6-line block ×6, first 2 shown]
	v_xor3_b32 v4, v6, v7, v54
	v_mov_b32_e32 v6, v10
	v_cmpx_lt_i32_e32 1, v53
	s_xor_b32 s0, exec_lo, s0
	s_cbranch_execnz .LBB109_21
; %bb.9:                                ;   in Loop: Header=BB109_8 Depth=1
	s_and_not1_saveexec_b32 s0, s0
	s_cbranch_execnz .LBB109_26
.LBB109_10:                             ;   in Loop: Header=BB109_8 Depth=1
	s_or_b32 exec_lo, exec_lo, s0
	v_cmp_gt_u64_e64 s2, s[4:5], v[39:40]
	s_delay_alu instid0(VALU_DEP_1)
	s_and_saveexec_b32 s0, s2
	s_cbranch_execz .LBB109_12
.LBB109_11:                             ;   in Loop: Header=BB109_8 Depth=1
	v_add_co_u32 v7, vcc_lo, s8, v25
	v_add_co_ci_u32_e32 v8, vcc_lo, s9, v26, vcc_lo
	global_load_u16 v68, v[7:8], off
.LBB109_12:                             ;   in Loop: Header=BB109_8 Depth=1
	s_or_b32 exec_lo, exec_lo, s0
	v_add_co_u32 v7, vcc_lo, s20, v39
	v_add_co_ci_u32_e32 v8, vcc_lo, 0, v40, vcc_lo
	s_delay_alu instid0(VALU_DEP_1) | instskip(NEXT) | instid1(VALU_DEP_1)
	v_cmp_gt_u64_e64 s1, s[4:5], v[7:8]
	s_and_saveexec_b32 s0, s1
	s_cbranch_execz .LBB109_14
; %bb.13:                               ;   in Loop: Header=BB109_8 Depth=1
	v_add_co_u32 v7, vcc_lo, s8, v37
	v_add_co_ci_u32_e32 v8, vcc_lo, s9, v38, vcc_lo
	global_load_u16 v67, v[7:8], off
.LBB109_14:                             ;   in Loop: Header=BB109_8 Depth=1
	s_or_b32 exec_lo, exec_lo, s0
	v_add_co_u32 v7, vcc_lo, s24, v39
	v_add_co_ci_u32_e32 v8, vcc_lo, 0, v40, vcc_lo
	s_delay_alu instid0(VALU_DEP_1) | instskip(NEXT) | instid1(VALU_DEP_1)
	v_cmp_gt_u64_e64 s0, s[4:5], v[7:8]
	s_and_saveexec_b32 s3, s0
	s_cbranch_execz .LBB109_16
; %bb.15:                               ;   in Loop: Header=BB109_8 Depth=1
	v_add_co_u32 v7, vcc_lo, s8, v33
	v_add_co_ci_u32_e32 v8, vcc_lo, s9, v34, vcc_lo
	global_load_u16 v66, v[7:8], off
.LBB109_16:                             ;   in Loop: Header=BB109_8 Depth=1
	s_or_b32 exec_lo, exec_lo, s3
	v_add_co_u32 v7, vcc_lo, s25, v39
	v_add_co_ci_u32_e32 v8, vcc_lo, 0, v40, vcc_lo
	s_delay_alu instid0(VALU_DEP_1)
	v_cmp_gt_u64_e32 vcc_lo, s[4:5], v[7:8]
	s_and_saveexec_b32 s26, vcc_lo
	s_cbranch_execnz .LBB109_29
; %bb.17:                               ;   in Loop: Header=BB109_8 Depth=1
	s_or_b32 exec_lo, exec_lo, s26
	s_and_saveexec_b32 s26, s2
	s_cbranch_execnz .LBB109_30
.LBB109_18:                             ;   in Loop: Header=BB109_8 Depth=1
	s_or_b32 exec_lo, exec_lo, s26
	s_and_saveexec_b32 s3, s1
	s_cbranch_execnz .LBB109_31
.LBB109_19:                             ;   in Loop: Header=BB109_8 Depth=1
	s_or_b32 exec_lo, exec_lo, s3
	s_and_saveexec_b32 s2, s0
	s_cbranch_execnz .LBB109_32
.LBB109_20:                             ;   in Loop: Header=BB109_8 Depth=1
	s_or_b32 exec_lo, exec_lo, s2
	s_and_saveexec_b32 s1, vcc_lo
	s_cbranch_execz .LBB109_7
	s_branch .LBB109_33
.LBB109_21:                             ;   in Loop: Header=BB109_8 Depth=1
	s_mov_b32 s1, exec_lo
	v_cmpx_lt_i32_e32 2, v53
	s_xor_b32 s1, exec_lo, s1
; %bb.22:                               ;   in Loop: Header=BB109_8 Depth=1
	v_dual_mov_b32 v7, v3 :: v_dual_mov_b32 v8, v4
	v_mov_b32_e32 v9, v5
	s_delay_alu instid0(VALU_DEP_2) | instskip(NEXT) | instid1(VALU_DEP_2)
	v_dual_mov_b32 v0, v7 :: v_dual_mov_b32 v1, v8
	v_dual_mov_b32 v2, v9 :: v_dual_mov_b32 v3, v10
; %bb.23:                               ;   in Loop: Header=BB109_8 Depth=1
	s_and_not1_saveexec_b32 s1, s1
; %bb.24:                               ;   in Loop: Header=BB109_8 Depth=1
	s_delay_alu instid0(VALU_DEP_1)
	v_dual_mov_b32 v0, v2 :: v_dual_mov_b32 v1, v3
	v_dual_mov_b32 v2, v4 :: v_dual_mov_b32 v3, v5
; %bb.25:                               ;   in Loop: Header=BB109_8 Depth=1
	s_or_b32 exec_lo, exec_lo, s1
	s_and_not1_saveexec_b32 s0, s0
	s_cbranch_execz .LBB109_10
.LBB109_26:                             ;   in Loop: Header=BB109_8 Depth=1
	s_mov_b32 s1, exec_lo
	v_cmpx_eq_u32_e32 1, v53
; %bb.27:                               ;   in Loop: Header=BB109_8 Depth=1
	v_dual_mov_b32 v0, v1 :: v_dual_mov_b32 v1, v2
	v_dual_mov_b32 v2, v3 :: v_dual_mov_b32 v3, v4
; %bb.28:                               ;   in Loop: Header=BB109_8 Depth=1
	s_or_b32 exec_lo, exec_lo, s1
	s_delay_alu instid0(SALU_CYCLE_1) | instskip(SKIP_1) | instid1(VALU_DEP_1)
	s_or_b32 exec_lo, exec_lo, s0
	v_cmp_gt_u64_e64 s2, s[4:5], v[39:40]
	s_and_saveexec_b32 s0, s2
	s_cbranch_execnz .LBB109_11
	s_branch .LBB109_12
.LBB109_29:                             ;   in Loop: Header=BB109_8 Depth=1
	v_add_co_u32 v7, s3, s8, v29
	s_delay_alu instid0(VALU_DEP_1)
	v_add_co_ci_u32_e64 v8, s3, s9, v30, s3
	global_load_u16 v65, v[7:8], off
	s_or_b32 exec_lo, exec_lo, s26
	s_and_saveexec_b32 s26, s2
	s_cbranch_execz .LBB109_18
.LBB109_30:                             ;   in Loop: Header=BB109_8 Depth=1
	v_cvt_f32_u32_e32 v0, v0
	s_waitcnt vmcnt(0)
	v_lshlrev_b32_e32 v7, 16, v68
	s_delay_alu instid0(VALU_DEP_2) | instskip(NEXT) | instid1(VALU_DEP_1)
	v_fmaak_f32 v0, 0x2f800000, v0, 0x2f800000
	v_cmp_gt_f32_e64 s2, s22, v0
	s_delay_alu instid0(VALU_DEP_1) | instskip(NEXT) | instid1(VALU_DEP_1)
	v_cndmask_b32_e64 v0, 0, 1.0, s2
	v_mul_f32_e32 v0, v0, v7
	s_delay_alu instid0(VALU_DEP_1) | instskip(NEXT) | instid1(VALU_DEP_1)
	v_mul_f32_e32 v0, v64, v0
	v_bfe_u32 v7, v0, 16, 1
	s_delay_alu instid0(VALU_DEP_1) | instskip(SKIP_1) | instid1(VALU_DEP_1)
	v_add3_u32 v9, v0, v7, 0x7fff
	v_add_co_u32 v7, s3, s10, v19
	v_add_co_ci_u32_e64 v8, s3, s11, v20, s3
	s_delay_alu instid0(VALU_DEP_3) | instskip(SKIP_1) | instid1(VALU_DEP_1)
	v_lshrrev_b32_e32 v42, 16, v9
	v_add_co_u32 v9, s3, s12, v15
	v_add_co_ci_u32_e64 v10, s3, s13, v16, s3
	v_cmp_o_f32_e64 s3, v0, v0
	s_delay_alu instid0(VALU_DEP_1)
	v_cndmask_b32_e64 v0, 0x7fc0, v42, s3
	v_cndmask_b32_e64 v42, 0, 1, s2
	global_store_b16 v[7:8], v0, off
	global_store_b8 v[9:10], v42, off
	s_or_b32 exec_lo, exec_lo, s26
	s_and_saveexec_b32 s3, s1
	s_cbranch_execz .LBB109_19
.LBB109_31:                             ;   in Loop: Header=BB109_8 Depth=1
	v_cvt_f32_u32_e32 v0, v1
	s_waitcnt vmcnt(0)
	s_delay_alu instid0(VALU_DEP_1) | instskip(NEXT) | instid1(VALU_DEP_1)
	v_dual_fmaak_f32 v0, 0x2f800000, v0, 0x2f800000 :: v_dual_lshlrev_b32 v1, 16, v67
	v_cmp_gt_f32_e64 s1, s22, v0
	s_delay_alu instid0(VALU_DEP_1) | instskip(NEXT) | instid1(VALU_DEP_1)
	v_cndmask_b32_e64 v0, 0, 1.0, s1
	v_mul_f32_e32 v0, v0, v1
	s_delay_alu instid0(VALU_DEP_1) | instskip(NEXT) | instid1(VALU_DEP_1)
	v_mul_f32_e32 v9, v64, v0
	v_bfe_u32 v0, v9, 16, 1
	s_delay_alu instid0(VALU_DEP_1) | instskip(SKIP_1) | instid1(VALU_DEP_1)
	v_add3_u32 v7, v9, v0, 0x7fff
	v_add_co_u32 v0, s2, s10, v35
	v_add_co_ci_u32_e64 v1, s2, s11, v36, s2
	s_delay_alu instid0(VALU_DEP_3) | instskip(SKIP_1) | instid1(VALU_DEP_1)
	v_lshrrev_b32_e32 v10, 16, v7
	v_add_co_u32 v7, s2, s12, v23
	v_add_co_ci_u32_e64 v8, s2, s13, v24, s2
	v_cmp_o_f32_e64 s2, v9, v9
	s_delay_alu instid0(VALU_DEP_1)
	v_cndmask_b32_e64 v9, 0x7fc0, v10, s2
	v_cndmask_b32_e64 v10, 0, 1, s1
	global_store_b16 v[0:1], v9, off
	global_store_b8 v[7:8], v10, off
	s_or_b32 exec_lo, exec_lo, s3
	s_and_saveexec_b32 s2, s0
	s_cbranch_execz .LBB109_20
.LBB109_32:                             ;   in Loop: Header=BB109_8 Depth=1
	v_cvt_f32_u32_e32 v0, v2
	s_waitcnt vmcnt(0)
	s_delay_alu instid0(VALU_DEP_1) | instskip(NEXT) | instid1(VALU_DEP_1)
	v_dual_fmaak_f32 v0, 0x2f800000, v0, 0x2f800000 :: v_dual_lshlrev_b32 v1, 16, v66
	v_cmp_gt_f32_e64 s0, s22, v0
	s_delay_alu instid0(VALU_DEP_1) | instskip(NEXT) | instid1(VALU_DEP_1)
	v_cndmask_b32_e64 v0, 0, 1.0, s0
	v_mul_f32_e32 v0, v0, v1
	s_delay_alu instid0(VALU_DEP_1) | instskip(NEXT) | instid1(VALU_DEP_1)
	v_mul_f32_e32 v2, v64, v0
	v_bfe_u32 v0, v2, 16, 1
	s_delay_alu instid0(VALU_DEP_1) | instskip(SKIP_1) | instid1(VALU_DEP_1)
	v_add3_u32 v7, v2, v0, 0x7fff
	v_add_co_u32 v0, s1, s10, v31
	v_add_co_ci_u32_e64 v1, s1, s11, v32, s1
	s_delay_alu instid0(VALU_DEP_3) | instskip(SKIP_1) | instid1(VALU_DEP_1)
	v_lshrrev_b32_e32 v9, 16, v7
	v_add_co_u32 v7, s1, s12, v21
	v_add_co_ci_u32_e64 v8, s1, s13, v22, s1
	v_cmp_o_f32_e64 s1, v2, v2
	s_delay_alu instid0(VALU_DEP_1)
	v_cndmask_b32_e64 v2, 0x7fc0, v9, s1
	v_cndmask_b32_e64 v9, 0, 1, s0
	global_store_b16 v[0:1], v2, off
	global_store_b8 v[7:8], v9, off
	s_or_b32 exec_lo, exec_lo, s2
	s_and_saveexec_b32 s1, vcc_lo
	s_cbranch_execz .LBB109_7
.LBB109_33:                             ;   in Loop: Header=BB109_8 Depth=1
	v_cvt_f32_u32_e32 v0, v3
	s_waitcnt vmcnt(0)
	s_delay_alu instid0(VALU_DEP_1) | instskip(NEXT) | instid1(VALU_DEP_1)
	v_dual_fmaak_f32 v0, 0x2f800000, v0, 0x2f800000 :: v_dual_lshlrev_b32 v1, 16, v65
	v_cmp_gt_f32_e32 vcc_lo, s22, v0
	v_cndmask_b32_e64 v0, 0, 1.0, vcc_lo
	s_delay_alu instid0(VALU_DEP_1) | instskip(NEXT) | instid1(VALU_DEP_1)
	v_mul_f32_e32 v0, v0, v1
	v_mul_f32_e32 v7, v64, v0
	s_delay_alu instid0(VALU_DEP_1) | instskip(NEXT) | instid1(VALU_DEP_1)
	v_bfe_u32 v0, v7, 16, 1
	v_add3_u32 v2, v7, v0, 0x7fff
	v_add_co_u32 v0, s0, s10, v27
	s_delay_alu instid0(VALU_DEP_1) | instskip(NEXT) | instid1(VALU_DEP_3)
	v_add_co_ci_u32_e64 v1, s0, s11, v28, s0
	v_lshrrev_b32_e32 v8, 16, v2
	v_add_co_u32 v2, s0, s12, v17
	s_delay_alu instid0(VALU_DEP_1) | instskip(SKIP_1) | instid1(VALU_DEP_1)
	v_add_co_ci_u32_e64 v3, s0, s13, v18, s0
	v_cmp_o_f32_e64 s0, v7, v7
	v_cndmask_b32_e64 v7, 0x7fc0, v8, s0
	v_cndmask_b32_e64 v8, 0, 1, vcc_lo
	global_store_b16 v[0:1], v7, off
	global_store_b8 v[2:3], v8, off
	s_branch .LBB109_7
.LBB109_34:
	s_endpgm
.LBB109_35:
                                        ; implicit-def: $sgpr2_sgpr3
	s_branch .LBB109_4
	.section	.rodata,"a",@progbits
	.p2align	6, 0x0
	.amdhsa_kernel _ZN2at6native12_GLOBAL__N_120fused_dropout_kernelIN3c108BFloat16EfmLi1ELi1EhEEvNS_4cuda6detail10TensorInfoIKT_T1_EENS7_IS8_SA_EENS7_IT4_SA_EESA_T0_NS_15PhiloxCudaStateE
		.amdhsa_group_segment_fixed_size 0
		.amdhsa_private_segment_fixed_size 0
		.amdhsa_kernarg_size 1552
		.amdhsa_user_sgpr_count 15
		.amdhsa_user_sgpr_dispatch_ptr 0
		.amdhsa_user_sgpr_queue_ptr 0
		.amdhsa_user_sgpr_kernarg_segment_ptr 1
		.amdhsa_user_sgpr_dispatch_id 0
		.amdhsa_user_sgpr_private_segment_size 0
		.amdhsa_wavefront_size32 1
		.amdhsa_uses_dynamic_stack 0
		.amdhsa_enable_private_segment 0
		.amdhsa_system_sgpr_workgroup_id_x 1
		.amdhsa_system_sgpr_workgroup_id_y 0
		.amdhsa_system_sgpr_workgroup_id_z 0
		.amdhsa_system_sgpr_workgroup_info 0
		.amdhsa_system_vgpr_workitem_id 0
		.amdhsa_next_free_vgpr 69
		.amdhsa_next_free_sgpr 27
		.amdhsa_reserve_vcc 1
		.amdhsa_float_round_mode_32 0
		.amdhsa_float_round_mode_16_64 0
		.amdhsa_float_denorm_mode_32 3
		.amdhsa_float_denorm_mode_16_64 3
		.amdhsa_dx10_clamp 1
		.amdhsa_ieee_mode 1
		.amdhsa_fp16_overflow 0
		.amdhsa_workgroup_processor_mode 1
		.amdhsa_memory_ordered 1
		.amdhsa_forward_progress 0
		.amdhsa_shared_vgpr_count 0
		.amdhsa_exception_fp_ieee_invalid_op 0
		.amdhsa_exception_fp_denorm_src 0
		.amdhsa_exception_fp_ieee_div_zero 0
		.amdhsa_exception_fp_ieee_overflow 0
		.amdhsa_exception_fp_ieee_underflow 0
		.amdhsa_exception_fp_ieee_inexact 0
		.amdhsa_exception_int_div_zero 0
	.end_amdhsa_kernel
	.section	.text._ZN2at6native12_GLOBAL__N_120fused_dropout_kernelIN3c108BFloat16EfmLi1ELi1EhEEvNS_4cuda6detail10TensorInfoIKT_T1_EENS7_IS8_SA_EENS7_IT4_SA_EESA_T0_NS_15PhiloxCudaStateE,"axG",@progbits,_ZN2at6native12_GLOBAL__N_120fused_dropout_kernelIN3c108BFloat16EfmLi1ELi1EhEEvNS_4cuda6detail10TensorInfoIKT_T1_EENS7_IS8_SA_EENS7_IT4_SA_EESA_T0_NS_15PhiloxCudaStateE,comdat
.Lfunc_end109:
	.size	_ZN2at6native12_GLOBAL__N_120fused_dropout_kernelIN3c108BFloat16EfmLi1ELi1EhEEvNS_4cuda6detail10TensorInfoIKT_T1_EENS7_IS8_SA_EENS7_IT4_SA_EESA_T0_NS_15PhiloxCudaStateE, .Lfunc_end109-_ZN2at6native12_GLOBAL__N_120fused_dropout_kernelIN3c108BFloat16EfmLi1ELi1EhEEvNS_4cuda6detail10TensorInfoIKT_T1_EENS7_IS8_SA_EENS7_IT4_SA_EESA_T0_NS_15PhiloxCudaStateE
                                        ; -- End function
	.section	.AMDGPU.csdata,"",@progbits
; Kernel info:
; codeLenInByte = 3908
; NumSgprs: 29
; NumVgprs: 69
; ScratchSize: 0
; MemoryBound: 0
; FloatMode: 240
; IeeeMode: 1
; LDSByteSize: 0 bytes/workgroup (compile time only)
; SGPRBlocks: 3
; VGPRBlocks: 8
; NumSGPRsForWavesPerEU: 29
; NumVGPRsForWavesPerEU: 69
; Occupancy: 16
; WaveLimiterHint : 1
; COMPUTE_PGM_RSRC2:SCRATCH_EN: 0
; COMPUTE_PGM_RSRC2:USER_SGPR: 15
; COMPUTE_PGM_RSRC2:TRAP_HANDLER: 0
; COMPUTE_PGM_RSRC2:TGID_X_EN: 1
; COMPUTE_PGM_RSRC2:TGID_Y_EN: 0
; COMPUTE_PGM_RSRC2:TGID_Z_EN: 0
; COMPUTE_PGM_RSRC2:TIDIG_COMP_CNT: 0
	.section	.text._ZN2at6native12_GLOBAL__N_120fused_dropout_kernelIN3c108BFloat16EfmLin1ELi1EhEEvNS_4cuda6detail10TensorInfoIKT_T1_EENS7_IS8_SA_EENS7_IT4_SA_EESA_T0_NS_15PhiloxCudaStateE,"axG",@progbits,_ZN2at6native12_GLOBAL__N_120fused_dropout_kernelIN3c108BFloat16EfmLin1ELi1EhEEvNS_4cuda6detail10TensorInfoIKT_T1_EENS7_IS8_SA_EENS7_IT4_SA_EESA_T0_NS_15PhiloxCudaStateE,comdat
	.globl	_ZN2at6native12_GLOBAL__N_120fused_dropout_kernelIN3c108BFloat16EfmLin1ELi1EhEEvNS_4cuda6detail10TensorInfoIKT_T1_EENS7_IS8_SA_EENS7_IT4_SA_EESA_T0_NS_15PhiloxCudaStateE ; -- Begin function _ZN2at6native12_GLOBAL__N_120fused_dropout_kernelIN3c108BFloat16EfmLin1ELi1EhEEvNS_4cuda6detail10TensorInfoIKT_T1_EENS7_IS8_SA_EENS7_IT4_SA_EESA_T0_NS_15PhiloxCudaStateE
	.p2align	8
	.type	_ZN2at6native12_GLOBAL__N_120fused_dropout_kernelIN3c108BFloat16EfmLin1ELi1EhEEvNS_4cuda6detail10TensorInfoIKT_T1_EENS7_IS8_SA_EENS7_IT4_SA_EESA_T0_NS_15PhiloxCudaStateE,@function
_ZN2at6native12_GLOBAL__N_120fused_dropout_kernelIN3c108BFloat16EfmLin1ELi1EhEEvNS_4cuda6detail10TensorInfoIKT_T1_EENS7_IS8_SA_EENS7_IT4_SA_EESA_T0_NS_15PhiloxCudaStateE: ; @_ZN2at6native12_GLOBAL__N_120fused_dropout_kernelIN3c108BFloat16EfmLin1ELi1EhEEvNS_4cuda6detail10TensorInfoIKT_T1_EENS7_IS8_SA_EENS7_IT4_SA_EESA_T0_NS_15PhiloxCudaStateE
; %bb.0:
	s_clause 0x1
	s_load_b128 s[4:7], s[0:1], 0x4f0
	s_load_b32 s2, s[0:1], 0x508
	s_waitcnt lgkmcnt(0)
	v_dual_mov_b32 v1, s6 :: v_dual_mov_b32 v2, s7
	v_dual_mov_b32 v12, s5 :: v_dual_mov_b32 v11, s4
	s_bitcmp0_b32 s2, 0
	s_mov_b32 s2, 0
	s_cbranch_scc1 .LBB110_2
; %bb.1:
	v_dual_mov_b32 v1, s6 :: v_dual_mov_b32 v2, s7
	v_dual_mov_b32 v3, s4 :: v_dual_mov_b32 v4, s5
	s_load_b64 s[4:5], s[0:1], 0x500
	flat_load_b64 v[1:2], v[1:2]
	flat_load_b64 v[11:12], v[3:4]
	s_waitcnt vmcnt(1) lgkmcnt(0)
	v_add_co_u32 v1, vcc_lo, v1, s4
	v_add_co_ci_u32_e32 v2, vcc_lo, s5, v2, vcc_lo
.LBB110_2:
	s_clause 0x2
	s_load_b32 s3, s[0:1], 0x51c
	s_load_b64 s[6:7], s[0:1], 0x4e0
	s_load_b32 s4, s[0:1], 0x510
	s_waitcnt lgkmcnt(0)
	s_and_b32 s5, s3, 0xffff
	s_add_u32 s8, s6, -1
	s_mul_i32 s26, s4, s5
	s_addc_u32 s3, s7, -1
	s_lshl_b32 s27, s26, 2
	s_cmp_lg_u64 s[2:3], 0
	s_cbranch_scc0 .LBB110_63
; %bb.3:
	v_cvt_f32_u32_e32 v3, s27
	s_sub_u32 s10, 0, s27
	s_subb_u32 s11, 0, 0
	s_delay_alu instid0(VALU_DEP_1) | instskip(NEXT) | instid1(VALU_DEP_1)
	v_fmamk_f32 v3, 0, 0x4f800000, v3
	v_rcp_f32_e32 v3, v3
	s_waitcnt_depctr 0xfff
	v_mul_f32_e32 v3, 0x5f7ffffc, v3
	s_delay_alu instid0(VALU_DEP_1) | instskip(NEXT) | instid1(VALU_DEP_1)
	v_mul_f32_e32 v4, 0x2f800000, v3
	v_trunc_f32_e32 v4, v4
	s_delay_alu instid0(VALU_DEP_1) | instskip(SKIP_1) | instid1(VALU_DEP_2)
	v_fmamk_f32 v3, v4, 0xcf800000, v3
	v_cvt_u32_f32_e32 v4, v4
	v_cvt_u32_f32_e32 v3, v3
	s_delay_alu instid0(VALU_DEP_2) | instskip(NEXT) | instid1(VALU_DEP_2)
	v_readfirstlane_b32 s2, v4
	v_readfirstlane_b32 s9, v3
	s_delay_alu instid0(VALU_DEP_2) | instskip(NEXT) | instid1(VALU_DEP_1)
	s_mul_i32 s12, s10, s2
	s_mul_hi_u32 s14, s10, s9
	s_mul_i32 s13, s11, s9
	s_add_i32 s12, s14, s12
	s_mul_i32 s16, s10, s9
	s_add_i32 s12, s12, s13
	s_mul_hi_u32 s14, s9, s16
	s_mul_hi_u32 s17, s2, s16
	s_mul_i32 s13, s2, s16
	s_mul_hi_u32 s16, s9, s12
	s_mul_i32 s9, s9, s12
	s_mul_hi_u32 s18, s2, s12
	s_add_u32 s9, s14, s9
	s_addc_u32 s14, 0, s16
	s_add_u32 s9, s9, s13
	s_mul_i32 s12, s2, s12
	s_addc_u32 s9, s14, s17
	s_addc_u32 s13, s18, 0
	s_add_u32 s9, s9, s12
	s_addc_u32 s12, 0, s13
	v_add_co_u32 v3, s9, v3, s9
	s_delay_alu instid0(VALU_DEP_1) | instskip(SKIP_1) | instid1(VALU_DEP_1)
	s_cmp_lg_u32 s9, 0
	s_addc_u32 s2, s2, s12
	v_readfirstlane_b32 s9, v3
	s_mul_i32 s12, s10, s2
	s_delay_alu instid0(VALU_DEP_1)
	s_mul_hi_u32 s13, s10, s9
	s_mul_i32 s11, s11, s9
	s_add_i32 s12, s13, s12
	s_mul_i32 s10, s10, s9
	s_add_i32 s12, s12, s11
	s_mul_hi_u32 s13, s2, s10
	s_mul_i32 s14, s2, s10
	s_mul_hi_u32 s10, s9, s10
	s_mul_hi_u32 s16, s9, s12
	s_mul_i32 s9, s9, s12
	s_mul_hi_u32 s11, s2, s12
	s_add_u32 s9, s10, s9
	s_addc_u32 s10, 0, s16
	s_add_u32 s9, s9, s14
	s_mul_i32 s12, s2, s12
	s_addc_u32 s9, s10, s13
	s_addc_u32 s10, s11, 0
	s_add_u32 s9, s9, s12
	s_addc_u32 s10, 0, s10
	v_add_co_u32 v3, s9, v3, s9
	s_delay_alu instid0(VALU_DEP_1) | instskip(SKIP_1) | instid1(VALU_DEP_1)
	s_cmp_lg_u32 s9, 0
	s_addc_u32 s2, s2, s10
	v_readfirstlane_b32 s9, v3
	s_mul_i32 s11, s8, s2
	s_mul_hi_u32 s10, s8, s2
	s_mul_hi_u32 s12, s3, s2
	s_mul_i32 s2, s3, s2
	s_mul_hi_u32 s13, s8, s9
	s_mul_hi_u32 s14, s3, s9
	s_mul_i32 s9, s3, s9
	s_add_u32 s11, s13, s11
	s_addc_u32 s10, 0, s10
	s_add_u32 s9, s11, s9
	s_addc_u32 s9, s10, s14
	s_addc_u32 s10, s12, 0
	s_add_u32 s2, s9, s2
	s_addc_u32 s10, 0, s10
	s_mul_i32 s11, s27, s2
	s_add_u32 s9, s2, 1
	v_sub_co_u32 v3, s11, s8, s11
	s_mul_hi_u32 s12, s27, s2
	s_addc_u32 s13, s10, 0
	s_mul_i32 s14, s27, s10
	s_delay_alu instid0(VALU_DEP_1)
	v_sub_co_u32 v4, s16, v3, s27
	s_add_u32 s17, s2, 2
	s_addc_u32 s18, s10, 0
	s_add_i32 s12, s12, s14
	s_cmp_lg_u32 s11, 0
	v_readfirstlane_b32 s11, v4
	s_subb_u32 s3, s3, s12
	s_cmp_lg_u32 s16, 0
	s_subb_u32 s12, s3, 0
	s_delay_alu instid0(VALU_DEP_1) | instskip(SKIP_4) | instid1(SALU_CYCLE_1)
	s_cmp_ge_u32 s11, s27
	s_cselect_b32 s11, -1, 0
	s_cmp_eq_u32 s12, 0
	v_readfirstlane_b32 s12, v3
	s_cselect_b32 s11, s11, -1
	s_cmp_lg_u32 s11, 0
	s_cselect_b32 s11, s17, s9
	s_cselect_b32 s13, s18, s13
	s_cmp_ge_u32 s12, s27
	s_cselect_b32 s9, -1, 0
	s_cmp_eq_u32 s3, 0
	s_cselect_b32 s3, s9, -1
	s_delay_alu instid0(SALU_CYCLE_1)
	s_cmp_lg_u32 s3, 0
	s_cselect_b32 s3, s13, s10
	s_cselect_b32 s2, s11, s2
	s_cbranch_execnz .LBB110_5
.LBB110_4:
	v_cvt_f32_u32_e32 v3, s27
	s_sub_i32 s3, 0, s27
	s_delay_alu instid0(VALU_DEP_1) | instskip(SKIP_2) | instid1(VALU_DEP_1)
	v_rcp_iflag_f32_e32 v3, v3
	s_waitcnt_depctr 0xfff
	v_mul_f32_e32 v3, 0x4f7ffffe, v3
	v_cvt_u32_f32_e32 v3, v3
	s_delay_alu instid0(VALU_DEP_1) | instskip(NEXT) | instid1(VALU_DEP_1)
	v_readfirstlane_b32 s2, v3
	s_mul_i32 s3, s3, s2
	s_delay_alu instid0(SALU_CYCLE_1) | instskip(NEXT) | instid1(SALU_CYCLE_1)
	s_mul_hi_u32 s3, s2, s3
	s_add_i32 s2, s2, s3
	s_delay_alu instid0(SALU_CYCLE_1) | instskip(NEXT) | instid1(SALU_CYCLE_1)
	s_mul_hi_u32 s2, s8, s2
	s_mul_i32 s3, s2, s27
	s_delay_alu instid0(SALU_CYCLE_1)
	s_sub_i32 s3, s8, s3
	s_add_i32 s8, s2, 1
	s_sub_i32 s9, s3, s27
	s_cmp_ge_u32 s3, s27
	s_cselect_b32 s2, s8, s2
	s_cselect_b32 s3, s9, s3
	s_add_i32 s8, s2, 1
	s_cmp_ge_u32 s3, s27
	s_mov_b32 s3, 0
	s_cselect_b32 s2, s8, s2
.LBB110_5:
	s_delay_alu instid0(SALU_CYCLE_1)
	s_add_u32 s2, s2, 1
	s_addc_u32 s3, s3, 0
	v_mov_b32_e32 v15, 0
	v_mad_u64_u32 v[13:14], null, s15, s5, v[0:1]
	s_mul_i32 s3, s26, s3
	s_mul_hi_u32 s8, s26, s2
	s_mul_hi_u32 s4, s4, s5
	s_add_i32 s3, s8, s3
	s_mul_i32 s4, s4, s2
	v_mov_b32_e32 v14, v15
	s_add_i32 s3, s3, s4
	s_mul_i32 s2, s26, s2
	s_delay_alu instid0(SALU_CYCLE_1)
	s_lshl_b64 s[8:9], s[2:3], 2
	s_mov_b32 s2, exec_lo
	v_cmpx_gt_u64_e64 s[8:9], v[13:14]
	s_cbranch_execz .LBB110_62
; %bb.6:
	v_alignbit_b32 v28, v2, v1, 2
	v_mad_u64_u32 v[3:4], null, 0xcd9e8d57, v13, 0
	v_lshrrev_b32_e32 v29, 2, v2
	s_waitcnt vmcnt(0)
	v_dual_mov_b32 v10, v12 :: v_dual_add_nc_u32 v37, 0x8ff34781, v11
	v_mad_u64_u32 v[5:6], null, 0xd2511f53, v28, 0
	v_add_co_u32 v31, null, 0x9e3779b9, v11
	v_xor3_b32 v0, v11, v4, v29
	s_delay_alu instid0(VALU_DEP_4) | instskip(SKIP_2) | instid1(VALU_DEP_4)
	v_add_co_u32 v30, null, 0xbb67ae85, v10
	v_add_co_u32 v32, null, 0x3c6ef372, v11
	v_xor_b32_e32 v2, v6, v12
	v_mad_u64_u32 v[6:7], null, 0xd2511f53, v0, 0
	v_add_co_u32 v33, null, 0x76cf5d0a, v10
	s_delay_alu instid0(VALU_DEP_3) | instskip(SKIP_1) | instid1(VALU_DEP_4)
	v_mad_u64_u32 v[8:9], null, 0xcd9e8d57, v2, 0
	v_add_co_u32 v34, null, 0xdaa66d2b, v11
	v_xor3_b32 v0, v30, v7, v5
	v_add_co_u32 v35, null, 0x32370b8f, v10
	s_clause 0x2
	s_load_b64 s[10:11], s[0:1], 0x270
	s_load_b64 s[12:13], s[0:1], 0x340
	s_load_b32 s28, s[0:1], 0x4e8
	v_xor3_b32 v7, v9, v31, v3
	v_mad_u64_u32 v[2:3], null, 0xcd9e8d57, v0, 0
	v_and_b32_e32 v36, 3, v1
	v_add_co_u32 v38, null, 0x78dde6e4, v11
	s_delay_alu instid0(VALU_DEP_4)
	v_mad_u64_u32 v[4:5], null, 0xd2511f53, v7, 0
	v_add_co_u32 v39, null, 0xed9eba14, v10
	v_xor3_b32 v0, v32, v3, v8
	v_add_co_u32 v42, null, 0xa9066899, v10
	v_add_co_u32 v43, null, 0x1715609d, v11
	v_xor3_b32 v3, v5, v33, v6
	s_delay_alu instid0(VALU_DEP_4) | instskip(SKIP_1) | instid1(VALU_DEP_3)
	v_mad_u64_u32 v[5:6], null, 0xd2511f53, v0, 0
	v_add_co_u32 v41, null, 0xb54cda56, v11
	v_mad_u64_u32 v[7:8], null, 0xcd9e8d57, v3, 0
	v_add_co_u32 v46, null, 0x646e171e, v10
	s_delay_alu instid0(VALU_DEP_4) | instskip(SKIP_3) | instid1(VALU_DEP_4)
	v_xor3_b32 v3, v35, v6, v4
	v_add_co_u32 v44, null, 0x5384540f, v11
	v_add_co_u32 v47, null, 0x1fd5c5a3, v10
	v_xor3_b32 v4, v8, v34, v2
	v_mad_u64_u32 v[0:1], null, 0xcd9e8d57, v3, 0
	s_waitcnt lgkmcnt(0)
	v_div_scale_f32 v8, null, s28, s28, 1.0
	s_delay_alu instid0(VALU_DEP_3) | instskip(SKIP_1) | instid1(VALU_DEP_4)
	v_mad_u64_u32 v[2:3], null, 0xd2511f53, v4, 0
	v_div_scale_f32 v16, vcc_lo, 1.0, s28, 1.0
	v_xor3_b32 v1, v38, v1, v7
	s_delay_alu instid0(VALU_DEP_4)
	v_rcp_f32_e32 v9, v8
	s_clause 0x1
	s_load_b64 s[14:15], s[0:1], 0x1a0
	s_load_b32 s20, s[0:1], 0x198
	v_add_co_u32 v45, null, 0xf1bbcdc8, v11
	v_xor3_b32 v7, v3, v39, v5
	v_mad_u64_u32 v[3:4], null, 0xd2511f53, v1, 0
	s_clause 0x1
	s_load_b64 s[16:17], s[0:1], 0xd0
	s_load_b64 s[18:19], s[0:1], 0x0
	s_mov_b32 s5, 0
	v_mad_u64_u32 v[5:6], null, 0xcd9e8d57, v7, 0
	v_mov_b32_e32 v49, 0
	s_mul_i32 s29, s26, 3
	v_xor3_b32 v2, v42, v4, v2
                                        ; implicit-def: $vgpr26
                                        ; implicit-def: $vgpr50
                                        ; implicit-def: $vgpr51
                                        ; implicit-def: $vgpr52
	v_dual_mov_b32 v18, v14 :: v_dual_mov_b32 v17, v13
	v_add_co_u32 v14, null, 0xdb3d7428, v10
	v_xor3_b32 v4, v6, v43, v0
	s_delay_alu instid0(VALU_DEP_4) | instskip(SKIP_2) | instid1(VALU_DEP_4)
	v_mad_u64_u32 v[0:1], null, 0xcd9e8d57, v2, 0
	v_fma_f32 v2, -v8, v9, 1.0
	v_add_nc_u32_e32 v40, 0x96a522ad, v12
	v_mad_u64_u32 v[6:7], null, 0xd2511f53, v4, 0
	s_waitcnt lgkmcnt(0)
	s_cmp_gt_i32 s20, 1
	v_fmac_f32_e32 v9, v2, v9
	v_xor3_b32 v4, v41, v1, v5
	s_cselect_b32 s30, -1, 0
	s_add_i32 s4, s20, -1
	s_lshl_b32 s31, s26, 1
	v_xor3_b32 v5, v7, v46, v3
	v_mad_u64_u32 v[1:2], null, 0xd2511f53, v4, 0
	v_mul_f32_e32 v19, v16, v9
	s_lshl_b64 s[2:3], s[4:5], 3
	s_delay_alu instid0(VALU_DEP_3) | instskip(SKIP_1) | instid1(VALU_DEP_2)
	v_mad_u64_u32 v[3:4], null, 0xcd9e8d57, v5, 0
	s_add_i32 s33, s20, 1
	v_fma_f32 v20, -v8, v19, v16
	s_delay_alu instid0(VALU_DEP_4) | instskip(SKIP_3) | instid1(VALU_DEP_3)
	v_xor3_b32 v2, v47, v2, v6
	s_add_u32 s0, s2, s0
	s_addc_u32 s1, s3, s1
	s_add_u32 s20, s0, 8
	v_xor3_b32 v0, v4, v44, v0
	v_mad_u64_u32 v[4:5], null, 0xcd9e8d57, v2, 0
	v_fmac_f32_e32 v19, v20, v9
	s_addc_u32 s21, s1, 0
	s_delay_alu instid0(VALU_DEP_3) | instskip(NEXT) | instid1(VALU_DEP_3)
	v_mad_u64_u32 v[6:7], null, 0xd2511f53, v0, 0
	v_xor3_b32 v0, v45, v5, v3
	s_delay_alu instid0(VALU_DEP_3) | instskip(NEXT) | instid1(VALU_DEP_3)
	v_fma_f32 v5, -v8, v19, v16
	v_xor3_b32 v3, v7, v14, v1
	s_delay_alu instid0(VALU_DEP_3) | instskip(NEXT) | instid1(VALU_DEP_3)
	v_mad_u64_u32 v[7:8], null, 0xd2511f53, v0, 0
	v_div_fmas_f32 v0, v5, v9, v19
	s_delay_alu instid0(VALU_DEP_3) | instskip(NEXT) | instid1(VALU_DEP_2)
	v_mad_u64_u32 v[1:2], null, 0xcd9e8d57, v3, 0
	v_div_fixup_f32 v48, v0, s28, 1.0
	s_delay_alu instid0(VALU_DEP_4) | instskip(NEXT) | instid1(VALU_DEP_3)
	v_mov_b32_e32 v3, v7
	v_xor3_b32 v0, v4, v2, v37
	v_xor3_b32 v2, v8, v6, v40
	s_branch .LBB110_8
.LBB110_7:                              ;   in Loop: Header=BB110_8 Depth=1
	s_or_b32 exec_lo, exec_lo, s1
	v_add_co_u32 v17, vcc_lo, v17, s27
	v_add_co_ci_u32_e32 v18, vcc_lo, 0, v18, vcc_lo
	v_mov_b32_e32 v7, v19
	v_dual_mov_b32 v0, v4 :: v_dual_mov_b32 v1, v5
	s_delay_alu instid0(VALU_DEP_3) | instskip(NEXT) | instid1(VALU_DEP_3)
	v_cmp_le_u64_e32 vcc_lo, s[8:9], v[17:18]
	v_dual_mov_b32 v2, v6 :: v_dual_mov_b32 v3, v7
	s_waitcnt vmcnt(0)
	s_waitcnt_vscnt null, 0x0
	s_barrier
	buffer_gl0_inv
	s_or_b32 s5, vcc_lo, s5
	s_delay_alu instid0(SALU_CYCLE_1)
	s_and_not1_b32 exec_lo, exec_lo, s5
	s_cbranch_execz .LBB110_62
.LBB110_8:                              ; =>This Loop Header: Depth=1
                                        ;     Child Loop BB110_20 Depth 2
                                        ;     Child Loop BB110_29 Depth 2
	;; [unrolled: 1-line block ×4, first 2 shown]
	v_add_co_u32 v28, vcc_lo, v28, 1
	s_delay_alu instid0(VALU_DEP_1) | instskip(SKIP_2) | instid1(VALU_DEP_1)
	v_cndmask_b32_e64 v4, 0, 1, vcc_lo
	v_add_co_ci_u32_e32 v29, vcc_lo, 0, v29, vcc_lo
	s_mov_b32 s0, exec_lo
	v_cmp_eq_u32_e32 vcc_lo, 0, v29
	s_delay_alu instid0(VALU_DEP_3) | instskip(NEXT) | instid1(VALU_DEP_1)
	v_cndmask_b32_e32 v4, 0, v4, vcc_lo
	v_add_nc_u32_e32 v13, v4, v13
	s_delay_alu instid0(VALU_DEP_1) | instskip(SKIP_2) | instid1(VALU_DEP_2)
	v_cmp_eq_u32_e32 vcc_lo, 0, v13
	v_cndmask_b32_e32 v4, 0, v4, vcc_lo
	v_mad_u64_u32 v[6:7], null, 0xcd9e8d57, v13, 0
	v_add_nc_u32_e32 v49, v4, v49
	v_mad_u64_u32 v[4:5], null, 0xd2511f53, v28, 0
	s_delay_alu instid0(VALU_DEP_3) | instskip(NEXT) | instid1(VALU_DEP_2)
	v_xor3_b32 v9, v7, v11, v29
	v_xor_b32_e32 v5, v5, v12
	s_delay_alu instid0(VALU_DEP_2) | instskip(NEXT) | instid1(VALU_DEP_2)
	v_mad_u64_u32 v[7:8], null, 0xd2511f53, v9, 0
	v_xor_b32_e32 v5, v49, v5
	s_delay_alu instid0(VALU_DEP_2) | instskip(NEXT) | instid1(VALU_DEP_2)
	v_xor3_b32 v8, v30, v8, v4
	v_mad_u64_u32 v[9:10], null, 0xcd9e8d57, v5, 0
	s_delay_alu instid0(VALU_DEP_2) | instskip(NEXT) | instid1(VALU_DEP_2)
	v_mad_u64_u32 v[4:5], null, 0xcd9e8d57, v8, 0
	v_xor3_b32 v6, v31, v10, v6
	s_delay_alu instid0(VALU_DEP_2) | instskip(NEXT) | instid1(VALU_DEP_2)
	v_xor3_b32 v8, v32, v5, v9
	v_mad_u64_u32 v[19:20], null, 0xd2511f53, v6, 0
	s_delay_alu instid0(VALU_DEP_2) | instskip(NEXT) | instid1(VALU_DEP_2)
	v_mad_u64_u32 v[5:6], null, 0xd2511f53, v8, 0
	v_xor3_b32 v9, v33, v20, v7
	s_delay_alu instid0(VALU_DEP_2) | instskip(NEXT) | instid1(VALU_DEP_2)
	v_xor3_b32 v6, v35, v6, v19
	v_mad_u64_u32 v[7:8], null, 0xcd9e8d57, v9, 0
	s_delay_alu instid0(VALU_DEP_1) | instskip(NEXT) | instid1(VALU_DEP_3)
	v_xor3_b32 v4, v34, v8, v4
	v_mad_u64_u32 v[8:9], null, 0xcd9e8d57, v6, 0
	s_delay_alu instid0(VALU_DEP_2) | instskip(NEXT) | instid1(VALU_DEP_2)
	v_mad_u64_u32 v[19:20], null, 0xd2511f53, v4, 0
	v_xor3_b32 v6, v38, v9, v7
	s_delay_alu instid0(VALU_DEP_2) | instskip(NEXT) | instid1(VALU_DEP_2)
	v_xor3_b32 v9, v39, v20, v5
	v_mad_u64_u32 v[4:5], null, 0xd2511f53, v6, 0
	s_delay_alu instid0(VALU_DEP_2) | instskip(NEXT) | instid1(VALU_DEP_2)
	v_mad_u64_u32 v[6:7], null, 0xcd9e8d57, v9, 0
	v_xor3_b32 v5, v42, v5, v19
	s_delay_alu instid0(VALU_DEP_2) | instskip(NEXT) | instid1(VALU_DEP_2)
	;; [unrolled: 6-line block ×6, first 2 shown]
	v_xor3_b32 v4, v6, v7, v37
	v_mov_b32_e32 v6, v10
	v_cmpx_lt_i32_e32 1, v36
	s_xor_b32 s0, exec_lo, s0
	s_cbranch_execnz .LBB110_11
; %bb.9:                                ;   in Loop: Header=BB110_8 Depth=1
	s_and_not1_saveexec_b32 s0, s0
	s_cbranch_execnz .LBB110_16
.LBB110_10:                             ;   in Loop: Header=BB110_8 Depth=1
	s_or_b32 exec_lo, exec_lo, s0
	v_cmp_gt_u64_e64 s0, s[6:7], v[17:18]
	s_delay_alu instid0(VALU_DEP_1)
	s_and_saveexec_b32 s4, s0
	s_cbranch_execnz .LBB110_19
	s_branch .LBB110_27
.LBB110_11:                             ;   in Loop: Header=BB110_8 Depth=1
	s_mov_b32 s1, exec_lo
	v_cmpx_lt_i32_e32 2, v36
	s_xor_b32 s1, exec_lo, s1
; %bb.12:                               ;   in Loop: Header=BB110_8 Depth=1
	v_dual_mov_b32 v7, v3 :: v_dual_mov_b32 v8, v4
	v_mov_b32_e32 v9, v5
	s_delay_alu instid0(VALU_DEP_2) | instskip(NEXT) | instid1(VALU_DEP_2)
	v_dual_mov_b32 v0, v7 :: v_dual_mov_b32 v1, v8
	v_dual_mov_b32 v2, v9 :: v_dual_mov_b32 v3, v10
; %bb.13:                               ;   in Loop: Header=BB110_8 Depth=1
	s_and_not1_saveexec_b32 s1, s1
; %bb.14:                               ;   in Loop: Header=BB110_8 Depth=1
	s_delay_alu instid0(VALU_DEP_1)
	v_dual_mov_b32 v0, v2 :: v_dual_mov_b32 v1, v3
	v_dual_mov_b32 v2, v4 :: v_dual_mov_b32 v3, v5
; %bb.15:                               ;   in Loop: Header=BB110_8 Depth=1
	s_or_b32 exec_lo, exec_lo, s1
	s_and_not1_saveexec_b32 s0, s0
	s_cbranch_execz .LBB110_10
.LBB110_16:                             ;   in Loop: Header=BB110_8 Depth=1
	s_mov_b32 s1, exec_lo
	v_cmpx_eq_u32_e32 1, v36
; %bb.17:                               ;   in Loop: Header=BB110_8 Depth=1
	v_dual_mov_b32 v0, v1 :: v_dual_mov_b32 v1, v2
	v_dual_mov_b32 v2, v3 :: v_dual_mov_b32 v3, v4
; %bb.18:                               ;   in Loop: Header=BB110_8 Depth=1
	s_or_b32 exec_lo, exec_lo, s1
	s_delay_alu instid0(SALU_CYCLE_1) | instskip(SKIP_1) | instid1(VALU_DEP_1)
	s_or_b32 exec_lo, exec_lo, s0
	v_cmp_gt_u64_e64 s0, s[6:7], v[17:18]
	s_and_saveexec_b32 s4, s0
	s_cbranch_execz .LBB110_27
.LBB110_19:                             ;   in Loop: Header=BB110_8 Depth=1
	v_mov_b32_e32 v7, 0
	v_dual_mov_b32 v8, 0 :: v_dual_mov_b32 v9, v17
	v_mov_b32_e32 v10, v18
	v_dual_mov_b32 v21, v18 :: v_dual_mov_b32 v20, v17
	s_and_not1_b32 vcc_lo, exec_lo, s30
	s_mov_b64 s[2:3], s[20:21]
	s_mov_b32 s24, s33
	s_cbranch_vccnz .LBB110_26
.LBB110_20:                             ;   Parent Loop BB110_8 Depth=1
                                        ; =>  This Inner Loop Header: Depth=2
	s_load_b64 s[22:23], s[2:3], 0x0
                                        ; implicit-def: $vgpr20_vgpr21
	s_mov_b32 s1, exec_lo
	s_waitcnt lgkmcnt(0)
	v_or_b32_e32 v16, s23, v10
	s_delay_alu instid0(VALU_DEP_1)
	v_cmpx_ne_u64_e32 0, v[15:16]
	s_xor_b32 s25, exec_lo, s1
	s_cbranch_execz .LBB110_22
; %bb.21:                               ;   in Loop: Header=BB110_20 Depth=2
	v_cvt_f32_u32_e32 v16, s22
	v_cvt_f32_u32_e32 v20, s23
	s_sub_u32 s1, 0, s22
	s_subb_u32 s34, 0, s23
	s_delay_alu instid0(VALU_DEP_1) | instskip(NEXT) | instid1(VALU_DEP_1)
	v_fmac_f32_e32 v16, 0x4f800000, v20
	v_rcp_f32_e32 v16, v16
	s_waitcnt_depctr 0xfff
	v_mul_f32_e32 v16, 0x5f7ffffc, v16
	s_delay_alu instid0(VALU_DEP_1) | instskip(NEXT) | instid1(VALU_DEP_1)
	v_mul_f32_e32 v20, 0x2f800000, v16
	v_trunc_f32_e32 v20, v20
	s_delay_alu instid0(VALU_DEP_1) | instskip(SKIP_1) | instid1(VALU_DEP_2)
	v_fmac_f32_e32 v16, 0xcf800000, v20
	v_cvt_u32_f32_e32 v20, v20
	v_cvt_u32_f32_e32 v16, v16
	s_delay_alu instid0(VALU_DEP_2) | instskip(NEXT) | instid1(VALU_DEP_2)
	v_mul_lo_u32 v21, s1, v20
	v_mul_hi_u32 v22, s1, v16
	v_mul_lo_u32 v23, s34, v16
	s_delay_alu instid0(VALU_DEP_2) | instskip(SKIP_1) | instid1(VALU_DEP_2)
	v_add_nc_u32_e32 v21, v22, v21
	v_mul_lo_u32 v22, s1, v16
	v_add_nc_u32_e32 v21, v21, v23
	s_delay_alu instid0(VALU_DEP_2) | instskip(NEXT) | instid1(VALU_DEP_2)
	v_mul_hi_u32 v23, v16, v22
	v_mul_lo_u32 v24, v16, v21
	v_mul_hi_u32 v25, v16, v21
	v_mul_hi_u32 v27, v20, v22
	v_mul_lo_u32 v22, v20, v22
	v_mul_hi_u32 v52, v20, v21
	v_mul_lo_u32 v21, v20, v21
	v_add_co_u32 v23, vcc_lo, v23, v24
	v_add_co_ci_u32_e32 v24, vcc_lo, 0, v25, vcc_lo
	s_delay_alu instid0(VALU_DEP_2) | instskip(NEXT) | instid1(VALU_DEP_2)
	v_add_co_u32 v22, vcc_lo, v23, v22
	v_add_co_ci_u32_e32 v22, vcc_lo, v24, v27, vcc_lo
	v_add_co_ci_u32_e32 v23, vcc_lo, 0, v52, vcc_lo
	s_delay_alu instid0(VALU_DEP_2) | instskip(NEXT) | instid1(VALU_DEP_2)
	v_add_co_u32 v21, vcc_lo, v22, v21
	v_add_co_ci_u32_e32 v22, vcc_lo, 0, v23, vcc_lo
	s_delay_alu instid0(VALU_DEP_2) | instskip(NEXT) | instid1(VALU_DEP_2)
	v_add_co_u32 v16, vcc_lo, v16, v21
	v_add_co_ci_u32_e32 v20, vcc_lo, v20, v22, vcc_lo
	s_delay_alu instid0(VALU_DEP_2) | instskip(SKIP_1) | instid1(VALU_DEP_3)
	v_mul_hi_u32 v21, s1, v16
	v_mul_lo_u32 v23, s34, v16
	v_mul_lo_u32 v22, s1, v20
	s_delay_alu instid0(VALU_DEP_1) | instskip(SKIP_1) | instid1(VALU_DEP_2)
	v_add_nc_u32_e32 v21, v21, v22
	v_mul_lo_u32 v22, s1, v16
	v_add_nc_u32_e32 v21, v21, v23
	s_delay_alu instid0(VALU_DEP_2) | instskip(NEXT) | instid1(VALU_DEP_2)
	v_mul_hi_u32 v23, v16, v22
	v_mul_lo_u32 v24, v16, v21
	v_mul_hi_u32 v25, v16, v21
	v_mul_hi_u32 v27, v20, v22
	v_mul_lo_u32 v22, v20, v22
	v_mul_hi_u32 v52, v20, v21
	v_mul_lo_u32 v21, v20, v21
	v_add_co_u32 v23, vcc_lo, v23, v24
	v_add_co_ci_u32_e32 v24, vcc_lo, 0, v25, vcc_lo
	s_delay_alu instid0(VALU_DEP_2) | instskip(NEXT) | instid1(VALU_DEP_2)
	v_add_co_u32 v22, vcc_lo, v23, v22
	v_add_co_ci_u32_e32 v22, vcc_lo, v24, v27, vcc_lo
	v_add_co_ci_u32_e32 v23, vcc_lo, 0, v52, vcc_lo
	s_delay_alu instid0(VALU_DEP_2) | instskip(NEXT) | instid1(VALU_DEP_2)
	v_add_co_u32 v21, vcc_lo, v22, v21
	v_add_co_ci_u32_e32 v22, vcc_lo, 0, v23, vcc_lo
	s_delay_alu instid0(VALU_DEP_2) | instskip(NEXT) | instid1(VALU_DEP_2)
	v_add_co_u32 v16, vcc_lo, v16, v21
	v_add_co_ci_u32_e32 v27, vcc_lo, v20, v22, vcc_lo
	s_delay_alu instid0(VALU_DEP_2) | instskip(SKIP_1) | instid1(VALU_DEP_3)
	v_mul_hi_u32 v52, v9, v16
	v_mad_u64_u32 v[22:23], null, v10, v16, 0
	v_mad_u64_u32 v[20:21], null, v9, v27, 0
	;; [unrolled: 1-line block ×3, first 2 shown]
	s_delay_alu instid0(VALU_DEP_2) | instskip(NEXT) | instid1(VALU_DEP_3)
	v_add_co_u32 v16, vcc_lo, v52, v20
	v_add_co_ci_u32_e32 v20, vcc_lo, 0, v21, vcc_lo
	s_delay_alu instid0(VALU_DEP_2) | instskip(NEXT) | instid1(VALU_DEP_2)
	v_add_co_u32 v16, vcc_lo, v16, v22
	v_add_co_ci_u32_e32 v16, vcc_lo, v20, v23, vcc_lo
	v_add_co_ci_u32_e32 v20, vcc_lo, 0, v25, vcc_lo
	s_delay_alu instid0(VALU_DEP_2) | instskip(NEXT) | instid1(VALU_DEP_2)
	v_add_co_u32 v16, vcc_lo, v16, v24
	v_add_co_ci_u32_e32 v22, vcc_lo, 0, v20, vcc_lo
	s_delay_alu instid0(VALU_DEP_2) | instskip(SKIP_1) | instid1(VALU_DEP_3)
	v_mul_lo_u32 v23, s23, v16
	v_mad_u64_u32 v[20:21], null, s22, v16, 0
	v_mul_lo_u32 v24, s22, v22
	s_delay_alu instid0(VALU_DEP_2) | instskip(NEXT) | instid1(VALU_DEP_2)
	v_sub_co_u32 v20, vcc_lo, v9, v20
	v_add3_u32 v21, v21, v24, v23
	s_delay_alu instid0(VALU_DEP_1) | instskip(NEXT) | instid1(VALU_DEP_1)
	v_sub_nc_u32_e32 v23, v10, v21
	v_subrev_co_ci_u32_e64 v23, s1, s23, v23, vcc_lo
	v_add_co_u32 v24, s1, v16, 2
	s_delay_alu instid0(VALU_DEP_1) | instskip(SKIP_3) | instid1(VALU_DEP_3)
	v_add_co_ci_u32_e64 v25, s1, 0, v22, s1
	v_sub_co_u32 v27, s1, v20, s22
	v_sub_co_ci_u32_e32 v21, vcc_lo, v10, v21, vcc_lo
	v_subrev_co_ci_u32_e64 v23, s1, 0, v23, s1
	v_cmp_le_u32_e32 vcc_lo, s22, v27
	s_delay_alu instid0(VALU_DEP_3) | instskip(SKIP_1) | instid1(VALU_DEP_4)
	v_cmp_eq_u32_e64 s1, s23, v21
	v_cndmask_b32_e64 v27, 0, -1, vcc_lo
	v_cmp_le_u32_e32 vcc_lo, s23, v23
	v_cndmask_b32_e64 v52, 0, -1, vcc_lo
	v_cmp_le_u32_e32 vcc_lo, s22, v20
	;; [unrolled: 2-line block ×3, first 2 shown]
	v_cndmask_b32_e64 v53, 0, -1, vcc_lo
	v_cmp_eq_u32_e32 vcc_lo, s23, v23
	s_delay_alu instid0(VALU_DEP_2) | instskip(SKIP_3) | instid1(VALU_DEP_3)
	v_cndmask_b32_e64 v20, v53, v20, s1
	v_cndmask_b32_e32 v23, v52, v27, vcc_lo
	v_add_co_u32 v27, vcc_lo, v16, 1
	v_add_co_ci_u32_e32 v52, vcc_lo, 0, v22, vcc_lo
	v_cmp_ne_u32_e32 vcc_lo, 0, v23
	s_delay_alu instid0(VALU_DEP_2) | instskip(NEXT) | instid1(VALU_DEP_4)
	v_cndmask_b32_e32 v21, v52, v25, vcc_lo
	v_cndmask_b32_e32 v23, v27, v24, vcc_lo
	v_cmp_ne_u32_e32 vcc_lo, 0, v20
	s_delay_alu instid0(VALU_DEP_2)
	v_dual_cndmask_b32 v21, v22, v21 :: v_dual_cndmask_b32 v20, v16, v23
.LBB110_22:                             ;   in Loop: Header=BB110_20 Depth=2
	s_and_not1_saveexec_b32 s1, s25
	s_cbranch_execz .LBB110_24
; %bb.23:                               ;   in Loop: Header=BB110_20 Depth=2
	v_cvt_f32_u32_e32 v16, s22
	s_sub_i32 s25, 0, s22
	s_delay_alu instid0(VALU_DEP_1) | instskip(SKIP_2) | instid1(VALU_DEP_1)
	v_rcp_iflag_f32_e32 v16, v16
	s_waitcnt_depctr 0xfff
	v_mul_f32_e32 v16, 0x4f7ffffe, v16
	v_cvt_u32_f32_e32 v16, v16
	s_delay_alu instid0(VALU_DEP_1) | instskip(NEXT) | instid1(VALU_DEP_1)
	v_mul_lo_u32 v20, s25, v16
	v_mul_hi_u32 v20, v16, v20
	s_delay_alu instid0(VALU_DEP_1) | instskip(NEXT) | instid1(VALU_DEP_1)
	v_add_nc_u32_e32 v16, v16, v20
	v_mul_hi_u32 v16, v9, v16
	s_delay_alu instid0(VALU_DEP_1) | instskip(NEXT) | instid1(VALU_DEP_1)
	v_mul_lo_u32 v20, v16, s22
	v_sub_nc_u32_e32 v20, v9, v20
	s_delay_alu instid0(VALU_DEP_1) | instskip(SKIP_1) | instid1(VALU_DEP_2)
	v_subrev_nc_u32_e32 v22, s22, v20
	v_cmp_le_u32_e32 vcc_lo, s22, v20
	v_dual_cndmask_b32 v20, v20, v22 :: v_dual_add_nc_u32 v21, 1, v16
	s_delay_alu instid0(VALU_DEP_1) | instskip(NEXT) | instid1(VALU_DEP_2)
	v_cndmask_b32_e32 v16, v16, v21, vcc_lo
	v_cmp_le_u32_e32 vcc_lo, s22, v20
	s_delay_alu instid0(VALU_DEP_2) | instskip(NEXT) | instid1(VALU_DEP_1)
	v_add_nc_u32_e32 v21, 1, v16
	v_dual_cndmask_b32 v20, v16, v21 :: v_dual_mov_b32 v21, v15
.LBB110_24:                             ;   in Loop: Header=BB110_20 Depth=2
	s_or_b32 exec_lo, exec_lo, s1
	s_load_b64 s[34:35], s[2:3], 0xc8
	s_delay_alu instid0(VALU_DEP_1) | instskip(NEXT) | instid1(VALU_DEP_2)
	v_mul_lo_u32 v16, v21, s22
	v_mul_lo_u32 v24, v20, s23
	v_mad_u64_u32 v[22:23], null, v20, s22, 0
	s_add_i32 s24, s24, -1
	s_add_u32 s2, s2, -8
	s_addc_u32 s3, s3, -1
	s_cmp_gt_u32 s24, 2
	s_delay_alu instid0(VALU_DEP_1) | instskip(NEXT) | instid1(VALU_DEP_2)
	v_add3_u32 v16, v23, v24, v16
	v_sub_co_u32 v22, vcc_lo, v9, v22
	s_delay_alu instid0(VALU_DEP_2) | instskip(SKIP_1) | instid1(VALU_DEP_2)
	v_sub_co_ci_u32_e32 v9, vcc_lo, v10, v16, vcc_lo
	s_waitcnt lgkmcnt(0)
	v_mul_lo_u32 v23, s35, v22
	s_delay_alu instid0(VALU_DEP_2) | instskip(SKIP_1) | instid1(VALU_DEP_1)
	v_mul_lo_u32 v16, s34, v9
	v_mad_u64_u32 v[9:10], null, s34, v22, v[7:8]
	v_add3_u32 v8, v23, v10, v16
	s_delay_alu instid0(VALU_DEP_2)
	v_mov_b32_e32 v7, v9
	s_cbranch_scc0 .LBB110_26
; %bb.25:                               ;   in Loop: Header=BB110_20 Depth=2
	v_dual_mov_b32 v9, v20 :: v_dual_mov_b32 v10, v21
	s_branch .LBB110_20
.LBB110_26:                             ;   in Loop: Header=BB110_8 Depth=1
	v_mul_lo_u32 v16, s17, v20
	v_mul_lo_u32 v21, s16, v21
	v_mad_u64_u32 v[9:10], null, s16, v20, 0
	v_lshlrev_b64 v[7:8], 1, v[7:8]
	s_delay_alu instid0(VALU_DEP_2) | instskip(NEXT) | instid1(VALU_DEP_1)
	v_add3_u32 v10, v10, v21, v16
	v_lshlrev_b64 v[9:10], 1, v[9:10]
	s_delay_alu instid0(VALU_DEP_1) | instskip(NEXT) | instid1(VALU_DEP_2)
	v_add_co_u32 v9, vcc_lo, s18, v9
	v_add_co_ci_u32_e32 v10, vcc_lo, s19, v10, vcc_lo
	s_delay_alu instid0(VALU_DEP_2) | instskip(NEXT) | instid1(VALU_DEP_2)
	v_add_co_u32 v7, vcc_lo, v9, v7
	v_add_co_ci_u32_e32 v8, vcc_lo, v10, v8, vcc_lo
	global_load_u16 v52, v[7:8], off
.LBB110_27:                             ;   in Loop: Header=BB110_8 Depth=1
	s_or_b32 exec_lo, exec_lo, s4
	v_add_co_u32 v7, vcc_lo, v17, s26
	v_add_co_ci_u32_e32 v8, vcc_lo, 0, v18, vcc_lo
	s_delay_alu instid0(VALU_DEP_1) | instskip(NEXT) | instid1(VALU_DEP_1)
	v_cmp_gt_u64_e64 s1, s[6:7], v[7:8]
	s_and_saveexec_b32 s3, s1
	s_cbranch_execz .LBB110_36
; %bb.28:                               ;   in Loop: Header=BB110_8 Depth=1
	v_mov_b32_e32 v9, 0
	v_dual_mov_b32 v10, 0 :: v_dual_mov_b32 v21, v8
	v_dual_mov_b32 v20, v7 :: v_dual_mov_b32 v23, v8
	v_mov_b32_e32 v22, v7
	s_and_not1_b32 vcc_lo, exec_lo, s30
	s_mov_b64 s[22:23], s[20:21]
	s_mov_b32 s4, s33
	s_cbranch_vccnz .LBB110_35
.LBB110_29:                             ;   Parent Loop BB110_8 Depth=1
                                        ; =>  This Inner Loop Header: Depth=2
	s_load_b64 s[24:25], s[22:23], 0x0
                                        ; implicit-def: $vgpr22_vgpr23
	s_mov_b32 s2, exec_lo
	s_waitcnt lgkmcnt(0)
	v_or_b32_e32 v16, s25, v21
	s_delay_alu instid0(VALU_DEP_1)
	v_cmpx_ne_u64_e32 0, v[15:16]
	s_xor_b32 s34, exec_lo, s2
	s_cbranch_execz .LBB110_31
; %bb.30:                               ;   in Loop: Header=BB110_29 Depth=2
	v_cvt_f32_u32_e32 v16, s24
	v_cvt_f32_u32_e32 v22, s25
	s_sub_u32 s2, 0, s24
	s_subb_u32 s35, 0, s25
	s_delay_alu instid0(VALU_DEP_1) | instskip(NEXT) | instid1(VALU_DEP_1)
	v_fmac_f32_e32 v16, 0x4f800000, v22
	v_rcp_f32_e32 v16, v16
	s_waitcnt_depctr 0xfff
	v_mul_f32_e32 v16, 0x5f7ffffc, v16
	s_delay_alu instid0(VALU_DEP_1) | instskip(NEXT) | instid1(VALU_DEP_1)
	v_mul_f32_e32 v22, 0x2f800000, v16
	v_trunc_f32_e32 v22, v22
	s_delay_alu instid0(VALU_DEP_1) | instskip(SKIP_1) | instid1(VALU_DEP_2)
	v_fmac_f32_e32 v16, 0xcf800000, v22
	v_cvt_u32_f32_e32 v22, v22
	v_cvt_u32_f32_e32 v16, v16
	s_delay_alu instid0(VALU_DEP_2) | instskip(NEXT) | instid1(VALU_DEP_2)
	v_mul_lo_u32 v23, s2, v22
	v_mul_hi_u32 v24, s2, v16
	v_mul_lo_u32 v25, s35, v16
	s_delay_alu instid0(VALU_DEP_2) | instskip(SKIP_1) | instid1(VALU_DEP_2)
	v_add_nc_u32_e32 v23, v24, v23
	v_mul_lo_u32 v24, s2, v16
	v_add_nc_u32_e32 v23, v23, v25
	s_delay_alu instid0(VALU_DEP_2) | instskip(NEXT) | instid1(VALU_DEP_2)
	v_mul_hi_u32 v25, v16, v24
	v_mul_lo_u32 v27, v16, v23
	v_mul_hi_u32 v51, v16, v23
	v_mul_hi_u32 v53, v22, v24
	v_mul_lo_u32 v24, v22, v24
	v_mul_hi_u32 v54, v22, v23
	v_mul_lo_u32 v23, v22, v23
	v_add_co_u32 v25, vcc_lo, v25, v27
	v_add_co_ci_u32_e32 v27, vcc_lo, 0, v51, vcc_lo
	s_delay_alu instid0(VALU_DEP_2) | instskip(NEXT) | instid1(VALU_DEP_2)
	v_add_co_u32 v24, vcc_lo, v25, v24
	v_add_co_ci_u32_e32 v24, vcc_lo, v27, v53, vcc_lo
	v_add_co_ci_u32_e32 v25, vcc_lo, 0, v54, vcc_lo
	s_delay_alu instid0(VALU_DEP_2) | instskip(NEXT) | instid1(VALU_DEP_2)
	v_add_co_u32 v23, vcc_lo, v24, v23
	v_add_co_ci_u32_e32 v24, vcc_lo, 0, v25, vcc_lo
	s_delay_alu instid0(VALU_DEP_2) | instskip(NEXT) | instid1(VALU_DEP_2)
	v_add_co_u32 v16, vcc_lo, v16, v23
	v_add_co_ci_u32_e32 v22, vcc_lo, v22, v24, vcc_lo
	s_delay_alu instid0(VALU_DEP_2) | instskip(SKIP_1) | instid1(VALU_DEP_3)
	v_mul_hi_u32 v23, s2, v16
	v_mul_lo_u32 v25, s35, v16
	v_mul_lo_u32 v24, s2, v22
	s_delay_alu instid0(VALU_DEP_1) | instskip(SKIP_1) | instid1(VALU_DEP_2)
	v_add_nc_u32_e32 v23, v23, v24
	v_mul_lo_u32 v24, s2, v16
	v_add_nc_u32_e32 v23, v23, v25
	s_delay_alu instid0(VALU_DEP_2) | instskip(NEXT) | instid1(VALU_DEP_2)
	v_mul_hi_u32 v25, v16, v24
	v_mul_lo_u32 v27, v16, v23
	v_mul_hi_u32 v51, v16, v23
	v_mul_hi_u32 v53, v22, v24
	v_mul_lo_u32 v24, v22, v24
	v_mul_hi_u32 v54, v22, v23
	v_mul_lo_u32 v23, v22, v23
	v_add_co_u32 v25, vcc_lo, v25, v27
	v_add_co_ci_u32_e32 v27, vcc_lo, 0, v51, vcc_lo
	s_delay_alu instid0(VALU_DEP_2) | instskip(NEXT) | instid1(VALU_DEP_2)
	v_add_co_u32 v24, vcc_lo, v25, v24
	v_add_co_ci_u32_e32 v24, vcc_lo, v27, v53, vcc_lo
	v_add_co_ci_u32_e32 v25, vcc_lo, 0, v54, vcc_lo
	s_delay_alu instid0(VALU_DEP_2) | instskip(NEXT) | instid1(VALU_DEP_2)
	v_add_co_u32 v23, vcc_lo, v24, v23
	v_add_co_ci_u32_e32 v24, vcc_lo, 0, v25, vcc_lo
	s_delay_alu instid0(VALU_DEP_2) | instskip(NEXT) | instid1(VALU_DEP_2)
	v_add_co_u32 v16, vcc_lo, v16, v23
	v_add_co_ci_u32_e32 v27, vcc_lo, v22, v24, vcc_lo
	s_delay_alu instid0(VALU_DEP_2) | instskip(SKIP_1) | instid1(VALU_DEP_3)
	v_mul_hi_u32 v51, v20, v16
	v_mad_u64_u32 v[24:25], null, v21, v16, 0
	v_mad_u64_u32 v[22:23], null, v20, v27, 0
	;; [unrolled: 1-line block ×3, first 2 shown]
	s_delay_alu instid0(VALU_DEP_2) | instskip(NEXT) | instid1(VALU_DEP_3)
	v_add_co_u32 v16, vcc_lo, v51, v22
	v_add_co_ci_u32_e32 v22, vcc_lo, 0, v23, vcc_lo
	s_delay_alu instid0(VALU_DEP_2) | instskip(NEXT) | instid1(VALU_DEP_2)
	v_add_co_u32 v16, vcc_lo, v16, v24
	v_add_co_ci_u32_e32 v16, vcc_lo, v22, v25, vcc_lo
	v_add_co_ci_u32_e32 v22, vcc_lo, 0, v54, vcc_lo
	s_delay_alu instid0(VALU_DEP_2) | instskip(NEXT) | instid1(VALU_DEP_2)
	v_add_co_u32 v16, vcc_lo, v16, v53
	v_add_co_ci_u32_e32 v24, vcc_lo, 0, v22, vcc_lo
	s_delay_alu instid0(VALU_DEP_2) | instskip(SKIP_1) | instid1(VALU_DEP_3)
	v_mul_lo_u32 v25, s25, v16
	v_mad_u64_u32 v[22:23], null, s24, v16, 0
	v_mul_lo_u32 v27, s24, v24
	s_delay_alu instid0(VALU_DEP_2) | instskip(NEXT) | instid1(VALU_DEP_2)
	v_sub_co_u32 v22, vcc_lo, v20, v22
	v_add3_u32 v23, v23, v27, v25
	s_delay_alu instid0(VALU_DEP_1) | instskip(NEXT) | instid1(VALU_DEP_1)
	v_sub_nc_u32_e32 v25, v21, v23
	v_subrev_co_ci_u32_e64 v25, s2, s25, v25, vcc_lo
	v_add_co_u32 v27, s2, v16, 2
	s_delay_alu instid0(VALU_DEP_1) | instskip(SKIP_3) | instid1(VALU_DEP_3)
	v_add_co_ci_u32_e64 v51, s2, 0, v24, s2
	v_sub_co_u32 v53, s2, v22, s24
	v_sub_co_ci_u32_e32 v23, vcc_lo, v21, v23, vcc_lo
	v_subrev_co_ci_u32_e64 v25, s2, 0, v25, s2
	v_cmp_le_u32_e32 vcc_lo, s24, v53
	s_delay_alu instid0(VALU_DEP_3) | instskip(SKIP_1) | instid1(VALU_DEP_4)
	v_cmp_eq_u32_e64 s2, s25, v23
	v_cndmask_b32_e64 v53, 0, -1, vcc_lo
	v_cmp_le_u32_e32 vcc_lo, s25, v25
	v_cndmask_b32_e64 v54, 0, -1, vcc_lo
	v_cmp_le_u32_e32 vcc_lo, s24, v22
	;; [unrolled: 2-line block ×3, first 2 shown]
	v_cndmask_b32_e64 v55, 0, -1, vcc_lo
	v_cmp_eq_u32_e32 vcc_lo, s25, v25
	s_delay_alu instid0(VALU_DEP_2) | instskip(SKIP_3) | instid1(VALU_DEP_3)
	v_cndmask_b32_e64 v22, v55, v22, s2
	v_cndmask_b32_e32 v25, v54, v53, vcc_lo
	v_add_co_u32 v53, vcc_lo, v16, 1
	v_add_co_ci_u32_e32 v54, vcc_lo, 0, v24, vcc_lo
	v_cmp_ne_u32_e32 vcc_lo, 0, v25
	s_delay_alu instid0(VALU_DEP_3) | instskip(NEXT) | instid1(VALU_DEP_3)
	v_cndmask_b32_e32 v25, v53, v27, vcc_lo
	v_cndmask_b32_e32 v23, v54, v51, vcc_lo
	v_cmp_ne_u32_e32 vcc_lo, 0, v22
	s_delay_alu instid0(VALU_DEP_3) | instskip(NEXT) | instid1(VALU_DEP_3)
	v_cndmask_b32_e32 v22, v16, v25, vcc_lo
	v_cndmask_b32_e32 v23, v24, v23, vcc_lo
.LBB110_31:                             ;   in Loop: Header=BB110_29 Depth=2
	s_and_not1_saveexec_b32 s2, s34
	s_cbranch_execz .LBB110_33
; %bb.32:                               ;   in Loop: Header=BB110_29 Depth=2
	v_cvt_f32_u32_e32 v16, s24
	s_sub_i32 s34, 0, s24
	s_delay_alu instid0(VALU_DEP_1) | instskip(SKIP_2) | instid1(VALU_DEP_1)
	v_rcp_iflag_f32_e32 v16, v16
	s_waitcnt_depctr 0xfff
	v_mul_f32_e32 v16, 0x4f7ffffe, v16
	v_cvt_u32_f32_e32 v16, v16
	s_delay_alu instid0(VALU_DEP_1) | instskip(NEXT) | instid1(VALU_DEP_1)
	v_mul_lo_u32 v22, s34, v16
	v_mul_hi_u32 v22, v16, v22
	s_delay_alu instid0(VALU_DEP_1) | instskip(NEXT) | instid1(VALU_DEP_1)
	v_add_nc_u32_e32 v16, v16, v22
	v_mul_hi_u32 v16, v20, v16
	s_delay_alu instid0(VALU_DEP_1) | instskip(SKIP_1) | instid1(VALU_DEP_2)
	v_mul_lo_u32 v22, v16, s24
	v_add_nc_u32_e32 v23, 1, v16
	v_sub_nc_u32_e32 v22, v20, v22
	s_delay_alu instid0(VALU_DEP_1) | instskip(SKIP_1) | instid1(VALU_DEP_2)
	v_subrev_nc_u32_e32 v24, s24, v22
	v_cmp_le_u32_e32 vcc_lo, s24, v22
	v_cndmask_b32_e32 v22, v22, v24, vcc_lo
	v_cndmask_b32_e32 v16, v16, v23, vcc_lo
	s_delay_alu instid0(VALU_DEP_2) | instskip(NEXT) | instid1(VALU_DEP_2)
	v_cmp_le_u32_e32 vcc_lo, s24, v22
	v_add_nc_u32_e32 v23, 1, v16
	s_delay_alu instid0(VALU_DEP_1)
	v_dual_cndmask_b32 v22, v16, v23 :: v_dual_mov_b32 v23, v15
.LBB110_33:                             ;   in Loop: Header=BB110_29 Depth=2
	s_or_b32 exec_lo, exec_lo, s2
	s_load_b64 s[34:35], s[22:23], 0xc8
	s_delay_alu instid0(VALU_DEP_1) | instskip(NEXT) | instid1(VALU_DEP_2)
	v_mul_lo_u32 v16, v23, s24
	v_mul_lo_u32 v27, v22, s25
	v_mad_u64_u32 v[24:25], null, v22, s24, 0
	s_add_i32 s4, s4, -1
	s_add_u32 s22, s22, -8
	s_addc_u32 s23, s23, -1
	s_cmp_gt_u32 s4, 2
	s_delay_alu instid0(VALU_DEP_1) | instskip(NEXT) | instid1(VALU_DEP_2)
	v_add3_u32 v16, v25, v27, v16
	v_sub_co_u32 v24, vcc_lo, v20, v24
	s_delay_alu instid0(VALU_DEP_2) | instskip(SKIP_1) | instid1(VALU_DEP_2)
	v_sub_co_ci_u32_e32 v16, vcc_lo, v21, v16, vcc_lo
	s_waitcnt lgkmcnt(0)
	v_mul_lo_u32 v25, s35, v24
	s_delay_alu instid0(VALU_DEP_2) | instskip(SKIP_1) | instid1(VALU_DEP_1)
	v_mul_lo_u32 v16, s34, v16
	v_mad_u64_u32 v[20:21], null, s34, v24, v[9:10]
	v_add3_u32 v10, v25, v21, v16
	s_delay_alu instid0(VALU_DEP_2)
	v_mov_b32_e32 v9, v20
	s_cbranch_scc0 .LBB110_35
; %bb.34:                               ;   in Loop: Header=BB110_29 Depth=2
	v_dual_mov_b32 v20, v22 :: v_dual_mov_b32 v21, v23
	s_branch .LBB110_29
.LBB110_35:                             ;   in Loop: Header=BB110_8 Depth=1
	v_mul_lo_u32 v16, s17, v22
	v_mul_lo_u32 v23, s16, v23
	v_mad_u64_u32 v[20:21], null, s16, v22, 0
	v_lshlrev_b64 v[9:10], 1, v[9:10]
	s_delay_alu instid0(VALU_DEP_2) | instskip(NEXT) | instid1(VALU_DEP_1)
	v_add3_u32 v21, v21, v23, v16
	v_lshlrev_b64 v[20:21], 1, v[20:21]
	s_delay_alu instid0(VALU_DEP_1) | instskip(NEXT) | instid1(VALU_DEP_2)
	v_add_co_u32 v16, vcc_lo, s18, v20
	v_add_co_ci_u32_e32 v20, vcc_lo, s19, v21, vcc_lo
	s_delay_alu instid0(VALU_DEP_2) | instskip(NEXT) | instid1(VALU_DEP_2)
	v_add_co_u32 v9, vcc_lo, v16, v9
	v_add_co_ci_u32_e32 v10, vcc_lo, v20, v10, vcc_lo
	global_load_u16 v51, v[9:10], off
.LBB110_36:                             ;   in Loop: Header=BB110_8 Depth=1
	s_or_b32 exec_lo, exec_lo, s3
	v_add_co_u32 v9, vcc_lo, v17, s31
	v_add_co_ci_u32_e32 v10, vcc_lo, 0, v18, vcc_lo
	s_delay_alu instid0(VALU_DEP_1) | instskip(NEXT) | instid1(VALU_DEP_1)
	v_cmp_gt_u64_e64 s2, s[6:7], v[9:10]
	s_and_saveexec_b32 s4, s2
	s_cbranch_execz .LBB110_45
; %bb.37:                               ;   in Loop: Header=BB110_8 Depth=1
	v_dual_mov_b32 v20, 0 :: v_dual_mov_b32 v23, v10
	v_dual_mov_b32 v21, 0 :: v_dual_mov_b32 v22, v9
	;; [unrolled: 1-line block ×3, first 2 shown]
	s_and_not1_b32 vcc_lo, exec_lo, s30
	s_mov_b64 s[22:23], s[20:21]
	s_mov_b32 s34, s33
	s_cbranch_vccnz .LBB110_44
.LBB110_38:                             ;   Parent Loop BB110_8 Depth=1
                                        ; =>  This Inner Loop Header: Depth=2
	s_load_b64 s[24:25], s[22:23], 0x0
                                        ; implicit-def: $vgpr24_vgpr25
	s_mov_b32 s3, exec_lo
	s_waitcnt lgkmcnt(0)
	v_or_b32_e32 v16, s25, v23
	s_delay_alu instid0(VALU_DEP_1)
	v_cmpx_ne_u64_e32 0, v[15:16]
	s_xor_b32 s35, exec_lo, s3
	s_cbranch_execz .LBB110_40
; %bb.39:                               ;   in Loop: Header=BB110_38 Depth=2
	v_cvt_f32_u32_e32 v16, s24
	v_cvt_f32_u32_e32 v24, s25
	s_sub_u32 s3, 0, s24
	s_subb_u32 s36, 0, s25
	s_delay_alu instid0(VALU_DEP_1) | instskip(NEXT) | instid1(VALU_DEP_1)
	v_fmac_f32_e32 v16, 0x4f800000, v24
	v_rcp_f32_e32 v16, v16
	s_waitcnt_depctr 0xfff
	v_mul_f32_e32 v16, 0x5f7ffffc, v16
	s_delay_alu instid0(VALU_DEP_1) | instskip(NEXT) | instid1(VALU_DEP_1)
	v_mul_f32_e32 v24, 0x2f800000, v16
	v_trunc_f32_e32 v24, v24
	s_delay_alu instid0(VALU_DEP_1) | instskip(SKIP_1) | instid1(VALU_DEP_2)
	v_fmac_f32_e32 v16, 0xcf800000, v24
	v_cvt_u32_f32_e32 v24, v24
	v_cvt_u32_f32_e32 v16, v16
	s_delay_alu instid0(VALU_DEP_2) | instskip(NEXT) | instid1(VALU_DEP_2)
	v_mul_lo_u32 v25, s3, v24
	v_mul_hi_u32 v27, s3, v16
	v_mul_lo_u32 v50, s36, v16
	s_delay_alu instid0(VALU_DEP_2) | instskip(SKIP_1) | instid1(VALU_DEP_2)
	v_add_nc_u32_e32 v25, v27, v25
	v_mul_lo_u32 v27, s3, v16
	v_add_nc_u32_e32 v25, v25, v50
	s_delay_alu instid0(VALU_DEP_2) | instskip(NEXT) | instid1(VALU_DEP_2)
	v_mul_hi_u32 v50, v16, v27
	v_mul_lo_u32 v53, v16, v25
	v_mul_hi_u32 v54, v16, v25
	v_mul_hi_u32 v55, v24, v27
	v_mul_lo_u32 v27, v24, v27
	v_mul_hi_u32 v56, v24, v25
	v_mul_lo_u32 v25, v24, v25
	v_add_co_u32 v50, vcc_lo, v50, v53
	v_add_co_ci_u32_e32 v53, vcc_lo, 0, v54, vcc_lo
	s_delay_alu instid0(VALU_DEP_2) | instskip(NEXT) | instid1(VALU_DEP_2)
	v_add_co_u32 v27, vcc_lo, v50, v27
	v_add_co_ci_u32_e32 v27, vcc_lo, v53, v55, vcc_lo
	v_add_co_ci_u32_e32 v50, vcc_lo, 0, v56, vcc_lo
	s_delay_alu instid0(VALU_DEP_2) | instskip(NEXT) | instid1(VALU_DEP_2)
	v_add_co_u32 v25, vcc_lo, v27, v25
	v_add_co_ci_u32_e32 v27, vcc_lo, 0, v50, vcc_lo
	s_delay_alu instid0(VALU_DEP_2) | instskip(NEXT) | instid1(VALU_DEP_2)
	v_add_co_u32 v16, vcc_lo, v16, v25
	v_add_co_ci_u32_e32 v24, vcc_lo, v24, v27, vcc_lo
	s_delay_alu instid0(VALU_DEP_2) | instskip(SKIP_1) | instid1(VALU_DEP_3)
	v_mul_hi_u32 v25, s3, v16
	v_mul_lo_u32 v50, s36, v16
	v_mul_lo_u32 v27, s3, v24
	s_delay_alu instid0(VALU_DEP_1) | instskip(SKIP_1) | instid1(VALU_DEP_2)
	v_add_nc_u32_e32 v25, v25, v27
	v_mul_lo_u32 v27, s3, v16
	v_add_nc_u32_e32 v25, v25, v50
	s_delay_alu instid0(VALU_DEP_2) | instskip(NEXT) | instid1(VALU_DEP_2)
	v_mul_hi_u32 v50, v16, v27
	v_mul_lo_u32 v53, v16, v25
	v_mul_hi_u32 v54, v16, v25
	v_mul_hi_u32 v55, v24, v27
	v_mul_lo_u32 v27, v24, v27
	v_mul_hi_u32 v56, v24, v25
	v_mul_lo_u32 v25, v24, v25
	v_add_co_u32 v50, vcc_lo, v50, v53
	v_add_co_ci_u32_e32 v53, vcc_lo, 0, v54, vcc_lo
	s_delay_alu instid0(VALU_DEP_2) | instskip(NEXT) | instid1(VALU_DEP_2)
	v_add_co_u32 v27, vcc_lo, v50, v27
	v_add_co_ci_u32_e32 v27, vcc_lo, v53, v55, vcc_lo
	v_add_co_ci_u32_e32 v50, vcc_lo, 0, v56, vcc_lo
	s_delay_alu instid0(VALU_DEP_2) | instskip(NEXT) | instid1(VALU_DEP_2)
	v_add_co_u32 v25, vcc_lo, v27, v25
	v_add_co_ci_u32_e32 v27, vcc_lo, 0, v50, vcc_lo
	s_delay_alu instid0(VALU_DEP_2) | instskip(NEXT) | instid1(VALU_DEP_2)
	v_add_co_u32 v16, vcc_lo, v16, v25
	v_add_co_ci_u32_e32 v27, vcc_lo, v24, v27, vcc_lo
	s_delay_alu instid0(VALU_DEP_2) | instskip(SKIP_1) | instid1(VALU_DEP_3)
	v_mul_hi_u32 v50, v22, v16
	v_mad_u64_u32 v[53:54], null, v23, v16, 0
	v_mad_u64_u32 v[24:25], null, v22, v27, 0
	;; [unrolled: 1-line block ×3, first 2 shown]
	s_delay_alu instid0(VALU_DEP_2) | instskip(NEXT) | instid1(VALU_DEP_3)
	v_add_co_u32 v16, vcc_lo, v50, v24
	v_add_co_ci_u32_e32 v24, vcc_lo, 0, v25, vcc_lo
	s_delay_alu instid0(VALU_DEP_2) | instskip(NEXT) | instid1(VALU_DEP_2)
	v_add_co_u32 v16, vcc_lo, v16, v53
	v_add_co_ci_u32_e32 v16, vcc_lo, v24, v54, vcc_lo
	v_add_co_ci_u32_e32 v24, vcc_lo, 0, v56, vcc_lo
	s_delay_alu instid0(VALU_DEP_2) | instskip(NEXT) | instid1(VALU_DEP_2)
	v_add_co_u32 v16, vcc_lo, v16, v55
	v_add_co_ci_u32_e32 v27, vcc_lo, 0, v24, vcc_lo
	s_delay_alu instid0(VALU_DEP_2) | instskip(SKIP_1) | instid1(VALU_DEP_3)
	v_mul_lo_u32 v50, s25, v16
	v_mad_u64_u32 v[24:25], null, s24, v16, 0
	v_mul_lo_u32 v53, s24, v27
	s_delay_alu instid0(VALU_DEP_2) | instskip(NEXT) | instid1(VALU_DEP_2)
	v_sub_co_u32 v24, vcc_lo, v22, v24
	v_add3_u32 v25, v25, v53, v50
	s_delay_alu instid0(VALU_DEP_1) | instskip(NEXT) | instid1(VALU_DEP_1)
	v_sub_nc_u32_e32 v50, v23, v25
	v_subrev_co_ci_u32_e64 v50, s3, s25, v50, vcc_lo
	v_add_co_u32 v53, s3, v16, 2
	s_delay_alu instid0(VALU_DEP_1) | instskip(SKIP_3) | instid1(VALU_DEP_3)
	v_add_co_ci_u32_e64 v54, s3, 0, v27, s3
	v_sub_co_u32 v55, s3, v24, s24
	v_sub_co_ci_u32_e32 v25, vcc_lo, v23, v25, vcc_lo
	v_subrev_co_ci_u32_e64 v50, s3, 0, v50, s3
	v_cmp_le_u32_e32 vcc_lo, s24, v55
	s_delay_alu instid0(VALU_DEP_3) | instskip(SKIP_1) | instid1(VALU_DEP_4)
	v_cmp_eq_u32_e64 s3, s25, v25
	v_cndmask_b32_e64 v55, 0, -1, vcc_lo
	v_cmp_le_u32_e32 vcc_lo, s25, v50
	v_cndmask_b32_e64 v56, 0, -1, vcc_lo
	v_cmp_le_u32_e32 vcc_lo, s24, v24
	;; [unrolled: 2-line block ×3, first 2 shown]
	v_cndmask_b32_e64 v57, 0, -1, vcc_lo
	v_cmp_eq_u32_e32 vcc_lo, s25, v50
	s_delay_alu instid0(VALU_DEP_2) | instskip(SKIP_3) | instid1(VALU_DEP_3)
	v_cndmask_b32_e64 v24, v57, v24, s3
	v_cndmask_b32_e32 v50, v56, v55, vcc_lo
	v_add_co_u32 v55, vcc_lo, v16, 1
	v_add_co_ci_u32_e32 v56, vcc_lo, 0, v27, vcc_lo
	v_cmp_ne_u32_e32 vcc_lo, 0, v50
	s_delay_alu instid0(VALU_DEP_2) | instskip(SKIP_1) | instid1(VALU_DEP_2)
	v_dual_cndmask_b32 v25, v56, v54 :: v_dual_cndmask_b32 v50, v55, v53
	v_cmp_ne_u32_e32 vcc_lo, 0, v24
	v_dual_cndmask_b32 v25, v27, v25 :: v_dual_cndmask_b32 v24, v16, v50
.LBB110_40:                             ;   in Loop: Header=BB110_38 Depth=2
	s_and_not1_saveexec_b32 s3, s35
	s_cbranch_execz .LBB110_42
; %bb.41:                               ;   in Loop: Header=BB110_38 Depth=2
	v_cvt_f32_u32_e32 v16, s24
	s_sub_i32 s35, 0, s24
	s_delay_alu instid0(VALU_DEP_1) | instskip(SKIP_2) | instid1(VALU_DEP_1)
	v_rcp_iflag_f32_e32 v16, v16
	s_waitcnt_depctr 0xfff
	v_mul_f32_e32 v16, 0x4f7ffffe, v16
	v_cvt_u32_f32_e32 v16, v16
	s_delay_alu instid0(VALU_DEP_1) | instskip(NEXT) | instid1(VALU_DEP_1)
	v_mul_lo_u32 v24, s35, v16
	v_mul_hi_u32 v24, v16, v24
	s_delay_alu instid0(VALU_DEP_1) | instskip(NEXT) | instid1(VALU_DEP_1)
	v_add_nc_u32_e32 v16, v16, v24
	v_mul_hi_u32 v16, v22, v16
	s_delay_alu instid0(VALU_DEP_1) | instskip(NEXT) | instid1(VALU_DEP_1)
	v_mul_lo_u32 v24, v16, s24
	v_sub_nc_u32_e32 v24, v22, v24
	s_delay_alu instid0(VALU_DEP_1) | instskip(SKIP_1) | instid1(VALU_DEP_2)
	v_subrev_nc_u32_e32 v27, s24, v24
	v_cmp_le_u32_e32 vcc_lo, s24, v24
	v_dual_cndmask_b32 v24, v24, v27 :: v_dual_add_nc_u32 v25, 1, v16
	s_delay_alu instid0(VALU_DEP_1) | instskip(NEXT) | instid1(VALU_DEP_2)
	v_cndmask_b32_e32 v16, v16, v25, vcc_lo
	v_cmp_le_u32_e32 vcc_lo, s24, v24
	s_delay_alu instid0(VALU_DEP_2) | instskip(NEXT) | instid1(VALU_DEP_1)
	v_add_nc_u32_e32 v25, 1, v16
	v_dual_cndmask_b32 v24, v16, v25 :: v_dual_mov_b32 v25, v15
.LBB110_42:                             ;   in Loop: Header=BB110_38 Depth=2
	s_or_b32 exec_lo, exec_lo, s3
	s_load_b64 s[36:37], s[22:23], 0xc8
	s_delay_alu instid0(VALU_DEP_1) | instskip(NEXT) | instid1(VALU_DEP_2)
	v_mul_lo_u32 v16, v25, s24
	v_mul_lo_u32 v27, v24, s25
	v_mad_u64_u32 v[53:54], null, v24, s24, 0
	s_add_i32 s34, s34, -1
	s_add_u32 s22, s22, -8
	s_addc_u32 s23, s23, -1
	s_cmp_gt_u32 s34, 2
	s_delay_alu instid0(VALU_DEP_1) | instskip(NEXT) | instid1(VALU_DEP_2)
	v_add3_u32 v16, v54, v27, v16
	v_sub_co_u32 v27, vcc_lo, v22, v53
	s_delay_alu instid0(VALU_DEP_2) | instskip(SKIP_1) | instid1(VALU_DEP_2)
	v_sub_co_ci_u32_e32 v16, vcc_lo, v23, v16, vcc_lo
	s_waitcnt lgkmcnt(0)
	v_mul_lo_u32 v50, s37, v27
	s_delay_alu instid0(VALU_DEP_2) | instskip(SKIP_1) | instid1(VALU_DEP_1)
	v_mul_lo_u32 v16, s36, v16
	v_mad_u64_u32 v[22:23], null, s36, v27, v[20:21]
	v_add3_u32 v21, v50, v23, v16
	s_delay_alu instid0(VALU_DEP_2)
	v_mov_b32_e32 v20, v22
	s_cbranch_scc0 .LBB110_44
; %bb.43:                               ;   in Loop: Header=BB110_38 Depth=2
	v_dual_mov_b32 v22, v24 :: v_dual_mov_b32 v23, v25
	s_branch .LBB110_38
.LBB110_44:                             ;   in Loop: Header=BB110_8 Depth=1
	v_mul_lo_u32 v16, s17, v24
	v_mul_lo_u32 v25, s16, v25
	v_mad_u64_u32 v[22:23], null, s16, v24, 0
	v_lshlrev_b64 v[20:21], 1, v[20:21]
	s_delay_alu instid0(VALU_DEP_2) | instskip(NEXT) | instid1(VALU_DEP_1)
	v_add3_u32 v23, v23, v25, v16
	v_lshlrev_b64 v[22:23], 1, v[22:23]
	s_delay_alu instid0(VALU_DEP_1) | instskip(NEXT) | instid1(VALU_DEP_2)
	v_add_co_u32 v16, vcc_lo, s18, v22
	v_add_co_ci_u32_e32 v22, vcc_lo, s19, v23, vcc_lo
	s_delay_alu instid0(VALU_DEP_2) | instskip(NEXT) | instid1(VALU_DEP_2)
	v_add_co_u32 v20, vcc_lo, v16, v20
	v_add_co_ci_u32_e32 v21, vcc_lo, v22, v21, vcc_lo
	global_load_u16 v50, v[20:21], off
.LBB110_45:                             ;   in Loop: Header=BB110_8 Depth=1
	s_or_b32 exec_lo, exec_lo, s4
	v_add_co_u32 v20, vcc_lo, v17, s29
	v_add_co_ci_u32_e32 v21, vcc_lo, 0, v18, vcc_lo
	s_delay_alu instid0(VALU_DEP_1) | instskip(NEXT) | instid1(VALU_DEP_1)
	v_cmp_gt_u64_e64 s3, s[6:7], v[20:21]
	s_and_saveexec_b32 s34, s3
	s_cbranch_execnz .LBB110_50
; %bb.46:                               ;   in Loop: Header=BB110_8 Depth=1
	s_or_b32 exec_lo, exec_lo, s34
	s_and_saveexec_b32 s4, s0
	s_cbranch_execnz .LBB110_58
.LBB110_47:                             ;   in Loop: Header=BB110_8 Depth=1
	s_or_b32 exec_lo, exec_lo, s4
	s_and_saveexec_b32 s4, s1
	s_cbranch_execnz .LBB110_59
.LBB110_48:                             ;   in Loop: Header=BB110_8 Depth=1
	s_or_b32 exec_lo, exec_lo, s4
	s_and_saveexec_b32 s1, s2
	s_cbranch_execnz .LBB110_60
.LBB110_49:                             ;   in Loop: Header=BB110_8 Depth=1
	s_or_b32 exec_lo, exec_lo, s1
	s_and_saveexec_b32 s1, s3
	s_cbranch_execz .LBB110_7
	s_branch .LBB110_61
.LBB110_50:                             ;   in Loop: Header=BB110_8 Depth=1
	v_dual_mov_b32 v22, 0 :: v_dual_mov_b32 v25, v21
	v_dual_mov_b32 v23, 0 :: v_dual_mov_b32 v24, v20
	v_dual_mov_b32 v27, v21 :: v_dual_mov_b32 v26, v20
	s_and_not1_b32 vcc_lo, exec_lo, s30
	s_mov_b64 s[22:23], s[20:21]
	s_mov_b32 s35, s33
	s_cbranch_vccnz .LBB110_57
.LBB110_51:                             ;   Parent Loop BB110_8 Depth=1
                                        ; =>  This Inner Loop Header: Depth=2
	s_load_b64 s[24:25], s[22:23], 0x0
                                        ; implicit-def: $vgpr26_vgpr27
	s_mov_b32 s4, exec_lo
	s_waitcnt lgkmcnt(0)
	v_or_b32_e32 v16, s25, v25
	s_delay_alu instid0(VALU_DEP_1)
	v_cmpx_ne_u64_e32 0, v[15:16]
	s_xor_b32 s36, exec_lo, s4
	s_cbranch_execz .LBB110_53
; %bb.52:                               ;   in Loop: Header=BB110_51 Depth=2
	v_cvt_f32_u32_e32 v16, s24
	v_cvt_f32_u32_e32 v26, s25
	s_sub_u32 s4, 0, s24
	s_subb_u32 s37, 0, s25
	s_delay_alu instid0(VALU_DEP_1) | instskip(NEXT) | instid1(VALU_DEP_1)
	v_fmac_f32_e32 v16, 0x4f800000, v26
	v_rcp_f32_e32 v16, v16
	s_waitcnt_depctr 0xfff
	v_mul_f32_e32 v16, 0x5f7ffffc, v16
	s_delay_alu instid0(VALU_DEP_1) | instskip(NEXT) | instid1(VALU_DEP_1)
	v_mul_f32_e32 v26, 0x2f800000, v16
	v_trunc_f32_e32 v26, v26
	s_delay_alu instid0(VALU_DEP_1) | instskip(SKIP_1) | instid1(VALU_DEP_2)
	v_fmac_f32_e32 v16, 0xcf800000, v26
	v_cvt_u32_f32_e32 v26, v26
	v_cvt_u32_f32_e32 v16, v16
	s_delay_alu instid0(VALU_DEP_2) | instskip(NEXT) | instid1(VALU_DEP_2)
	v_mul_lo_u32 v27, s4, v26
	v_mul_hi_u32 v53, s4, v16
	v_mul_lo_u32 v54, s37, v16
	s_delay_alu instid0(VALU_DEP_2) | instskip(SKIP_1) | instid1(VALU_DEP_2)
	v_add_nc_u32_e32 v27, v53, v27
	v_mul_lo_u32 v53, s4, v16
	v_add_nc_u32_e32 v27, v27, v54
	s_delay_alu instid0(VALU_DEP_2) | instskip(NEXT) | instid1(VALU_DEP_2)
	v_mul_hi_u32 v54, v16, v53
	v_mul_lo_u32 v55, v16, v27
	v_mul_hi_u32 v56, v16, v27
	v_mul_hi_u32 v57, v26, v53
	v_mul_lo_u32 v53, v26, v53
	v_mul_hi_u32 v58, v26, v27
	v_mul_lo_u32 v27, v26, v27
	v_add_co_u32 v54, vcc_lo, v54, v55
	v_add_co_ci_u32_e32 v55, vcc_lo, 0, v56, vcc_lo
	s_delay_alu instid0(VALU_DEP_2) | instskip(NEXT) | instid1(VALU_DEP_2)
	v_add_co_u32 v53, vcc_lo, v54, v53
	v_add_co_ci_u32_e32 v53, vcc_lo, v55, v57, vcc_lo
	v_add_co_ci_u32_e32 v54, vcc_lo, 0, v58, vcc_lo
	s_delay_alu instid0(VALU_DEP_2) | instskip(NEXT) | instid1(VALU_DEP_2)
	v_add_co_u32 v27, vcc_lo, v53, v27
	v_add_co_ci_u32_e32 v53, vcc_lo, 0, v54, vcc_lo
	s_delay_alu instid0(VALU_DEP_2) | instskip(NEXT) | instid1(VALU_DEP_2)
	v_add_co_u32 v16, vcc_lo, v16, v27
	v_add_co_ci_u32_e32 v26, vcc_lo, v26, v53, vcc_lo
	s_delay_alu instid0(VALU_DEP_2) | instskip(SKIP_1) | instid1(VALU_DEP_3)
	v_mul_hi_u32 v27, s4, v16
	v_mul_lo_u32 v54, s37, v16
	v_mul_lo_u32 v53, s4, v26
	s_delay_alu instid0(VALU_DEP_1) | instskip(SKIP_1) | instid1(VALU_DEP_2)
	v_add_nc_u32_e32 v27, v27, v53
	v_mul_lo_u32 v53, s4, v16
	v_add_nc_u32_e32 v27, v27, v54
	s_delay_alu instid0(VALU_DEP_2) | instskip(NEXT) | instid1(VALU_DEP_2)
	v_mul_hi_u32 v54, v16, v53
	v_mul_lo_u32 v55, v16, v27
	v_mul_hi_u32 v56, v16, v27
	v_mul_hi_u32 v57, v26, v53
	v_mul_lo_u32 v53, v26, v53
	v_mul_hi_u32 v58, v26, v27
	v_mul_lo_u32 v27, v26, v27
	v_add_co_u32 v54, vcc_lo, v54, v55
	v_add_co_ci_u32_e32 v55, vcc_lo, 0, v56, vcc_lo
	s_delay_alu instid0(VALU_DEP_2) | instskip(NEXT) | instid1(VALU_DEP_2)
	v_add_co_u32 v53, vcc_lo, v54, v53
	v_add_co_ci_u32_e32 v53, vcc_lo, v55, v57, vcc_lo
	v_add_co_ci_u32_e32 v54, vcc_lo, 0, v58, vcc_lo
	s_delay_alu instid0(VALU_DEP_2) | instskip(NEXT) | instid1(VALU_DEP_2)
	v_add_co_u32 v27, vcc_lo, v53, v27
	v_add_co_ci_u32_e32 v53, vcc_lo, 0, v54, vcc_lo
	s_delay_alu instid0(VALU_DEP_2) | instskip(NEXT) | instid1(VALU_DEP_2)
	v_add_co_u32 v16, vcc_lo, v16, v27
	v_add_co_ci_u32_e32 v57, vcc_lo, v26, v53, vcc_lo
	s_delay_alu instid0(VALU_DEP_2) | instskip(SKIP_1) | instid1(VALU_DEP_3)
	v_mul_hi_u32 v58, v24, v16
	v_mad_u64_u32 v[53:54], null, v25, v16, 0
	v_mad_u64_u32 v[26:27], null, v24, v57, 0
	;; [unrolled: 1-line block ×3, first 2 shown]
	s_delay_alu instid0(VALU_DEP_2) | instskip(NEXT) | instid1(VALU_DEP_3)
	v_add_co_u32 v16, vcc_lo, v58, v26
	v_add_co_ci_u32_e32 v26, vcc_lo, 0, v27, vcc_lo
	s_delay_alu instid0(VALU_DEP_2) | instskip(NEXT) | instid1(VALU_DEP_2)
	v_add_co_u32 v16, vcc_lo, v16, v53
	v_add_co_ci_u32_e32 v16, vcc_lo, v26, v54, vcc_lo
	v_add_co_ci_u32_e32 v26, vcc_lo, 0, v56, vcc_lo
	s_delay_alu instid0(VALU_DEP_2) | instskip(NEXT) | instid1(VALU_DEP_2)
	v_add_co_u32 v16, vcc_lo, v16, v55
	v_add_co_ci_u32_e32 v53, vcc_lo, 0, v26, vcc_lo
	s_delay_alu instid0(VALU_DEP_2) | instskip(SKIP_1) | instid1(VALU_DEP_3)
	v_mul_lo_u32 v54, s25, v16
	v_mad_u64_u32 v[26:27], null, s24, v16, 0
	v_mul_lo_u32 v55, s24, v53
	s_delay_alu instid0(VALU_DEP_2) | instskip(NEXT) | instid1(VALU_DEP_2)
	v_sub_co_u32 v26, vcc_lo, v24, v26
	v_add3_u32 v27, v27, v55, v54
	s_delay_alu instid0(VALU_DEP_1) | instskip(NEXT) | instid1(VALU_DEP_1)
	v_sub_nc_u32_e32 v54, v25, v27
	v_subrev_co_ci_u32_e64 v54, s4, s25, v54, vcc_lo
	v_add_co_u32 v55, s4, v16, 2
	s_delay_alu instid0(VALU_DEP_1) | instskip(SKIP_3) | instid1(VALU_DEP_3)
	v_add_co_ci_u32_e64 v56, s4, 0, v53, s4
	v_sub_co_u32 v57, s4, v26, s24
	v_sub_co_ci_u32_e32 v27, vcc_lo, v25, v27, vcc_lo
	v_subrev_co_ci_u32_e64 v54, s4, 0, v54, s4
	v_cmp_le_u32_e32 vcc_lo, s24, v57
	s_delay_alu instid0(VALU_DEP_3) | instskip(SKIP_1) | instid1(VALU_DEP_4)
	v_cmp_eq_u32_e64 s4, s25, v27
	v_cndmask_b32_e64 v57, 0, -1, vcc_lo
	v_cmp_le_u32_e32 vcc_lo, s25, v54
	v_cndmask_b32_e64 v58, 0, -1, vcc_lo
	v_cmp_le_u32_e32 vcc_lo, s24, v26
	;; [unrolled: 2-line block ×3, first 2 shown]
	v_cndmask_b32_e64 v59, 0, -1, vcc_lo
	v_cmp_eq_u32_e32 vcc_lo, s25, v54
	s_delay_alu instid0(VALU_DEP_2) | instskip(SKIP_3) | instid1(VALU_DEP_3)
	v_cndmask_b32_e64 v26, v59, v26, s4
	v_cndmask_b32_e32 v54, v58, v57, vcc_lo
	v_add_co_u32 v57, vcc_lo, v16, 1
	v_add_co_ci_u32_e32 v58, vcc_lo, 0, v53, vcc_lo
	v_cmp_ne_u32_e32 vcc_lo, 0, v54
	s_delay_alu instid0(VALU_DEP_2) | instskip(SKIP_1) | instid1(VALU_DEP_2)
	v_dual_cndmask_b32 v27, v58, v56 :: v_dual_cndmask_b32 v54, v57, v55
	v_cmp_ne_u32_e32 vcc_lo, 0, v26
	v_dual_cndmask_b32 v27, v53, v27 :: v_dual_cndmask_b32 v26, v16, v54
.LBB110_53:                             ;   in Loop: Header=BB110_51 Depth=2
	s_and_not1_saveexec_b32 s4, s36
	s_cbranch_execz .LBB110_55
; %bb.54:                               ;   in Loop: Header=BB110_51 Depth=2
	v_cvt_f32_u32_e32 v16, s24
	s_sub_i32 s36, 0, s24
	s_delay_alu instid0(VALU_DEP_1) | instskip(SKIP_2) | instid1(VALU_DEP_1)
	v_rcp_iflag_f32_e32 v16, v16
	s_waitcnt_depctr 0xfff
	v_mul_f32_e32 v16, 0x4f7ffffe, v16
	v_cvt_u32_f32_e32 v16, v16
	s_delay_alu instid0(VALU_DEP_1) | instskip(NEXT) | instid1(VALU_DEP_1)
	v_mul_lo_u32 v26, s36, v16
	v_mul_hi_u32 v26, v16, v26
	s_delay_alu instid0(VALU_DEP_1) | instskip(NEXT) | instid1(VALU_DEP_1)
	v_add_nc_u32_e32 v16, v16, v26
	v_mul_hi_u32 v16, v24, v16
	s_delay_alu instid0(VALU_DEP_1) | instskip(NEXT) | instid1(VALU_DEP_1)
	v_mul_lo_u32 v26, v16, s24
	v_sub_nc_u32_e32 v26, v24, v26
	s_delay_alu instid0(VALU_DEP_1) | instskip(SKIP_1) | instid1(VALU_DEP_2)
	v_subrev_nc_u32_e32 v53, s24, v26
	v_cmp_le_u32_e32 vcc_lo, s24, v26
	v_dual_cndmask_b32 v26, v26, v53 :: v_dual_add_nc_u32 v27, 1, v16
	s_delay_alu instid0(VALU_DEP_1) | instskip(NEXT) | instid1(VALU_DEP_2)
	v_cndmask_b32_e32 v16, v16, v27, vcc_lo
	v_cmp_le_u32_e32 vcc_lo, s24, v26
	s_delay_alu instid0(VALU_DEP_2) | instskip(NEXT) | instid1(VALU_DEP_1)
	v_add_nc_u32_e32 v27, 1, v16
	v_dual_cndmask_b32 v26, v16, v27 :: v_dual_mov_b32 v27, v15
.LBB110_55:                             ;   in Loop: Header=BB110_51 Depth=2
	s_or_b32 exec_lo, exec_lo, s4
	s_load_b64 s[36:37], s[22:23], 0xc8
	s_delay_alu instid0(VALU_DEP_1) | instskip(NEXT) | instid1(VALU_DEP_2)
	v_mul_lo_u32 v16, v27, s24
	v_mul_lo_u32 v55, v26, s25
	v_mad_u64_u32 v[53:54], null, v26, s24, 0
	s_add_i32 s35, s35, -1
	s_add_u32 s22, s22, -8
	s_addc_u32 s23, s23, -1
	s_cmp_gt_u32 s35, 2
	s_delay_alu instid0(VALU_DEP_1) | instskip(NEXT) | instid1(VALU_DEP_2)
	v_add3_u32 v16, v54, v55, v16
	v_sub_co_u32 v53, vcc_lo, v24, v53
	s_delay_alu instid0(VALU_DEP_2) | instskip(SKIP_1) | instid1(VALU_DEP_2)
	v_sub_co_ci_u32_e32 v16, vcc_lo, v25, v16, vcc_lo
	s_waitcnt lgkmcnt(0)
	v_mul_lo_u32 v54, s37, v53
	s_delay_alu instid0(VALU_DEP_2) | instskip(SKIP_1) | instid1(VALU_DEP_1)
	v_mul_lo_u32 v16, s36, v16
	v_mad_u64_u32 v[24:25], null, s36, v53, v[22:23]
	v_add3_u32 v23, v54, v25, v16
	s_delay_alu instid0(VALU_DEP_2)
	v_mov_b32_e32 v22, v24
	s_cbranch_scc0 .LBB110_57
; %bb.56:                               ;   in Loop: Header=BB110_51 Depth=2
	v_dual_mov_b32 v24, v26 :: v_dual_mov_b32 v25, v27
	s_branch .LBB110_51
.LBB110_57:                             ;   in Loop: Header=BB110_8 Depth=1
	v_mul_lo_u32 v16, s17, v26
	v_mul_lo_u32 v27, s16, v27
	v_mad_u64_u32 v[24:25], null, s16, v26, 0
	v_lshlrev_b64 v[22:23], 1, v[22:23]
	s_delay_alu instid0(VALU_DEP_2) | instskip(NEXT) | instid1(VALU_DEP_1)
	v_add3_u32 v25, v25, v27, v16
	v_lshlrev_b64 v[24:25], 1, v[24:25]
	s_delay_alu instid0(VALU_DEP_1) | instskip(NEXT) | instid1(VALU_DEP_2)
	v_add_co_u32 v16, vcc_lo, s18, v24
	v_add_co_ci_u32_e32 v24, vcc_lo, s19, v25, vcc_lo
	s_delay_alu instid0(VALU_DEP_2) | instskip(NEXT) | instid1(VALU_DEP_2)
	v_add_co_u32 v22, vcc_lo, v16, v22
	v_add_co_ci_u32_e32 v23, vcc_lo, v24, v23, vcc_lo
	global_load_u16 v26, v[22:23], off
	s_or_b32 exec_lo, exec_lo, s34
	s_and_saveexec_b32 s4, s0
	s_cbranch_execz .LBB110_47
.LBB110_58:                             ;   in Loop: Header=BB110_8 Depth=1
	v_cvt_f32_u32_e32 v0, v0
	s_waitcnt vmcnt(0)
	v_lshlrev_b32_e32 v16, 16, v52
	v_mul_lo_u32 v24, v18, s10
	v_mul_lo_u32 v25, v17, s11
	v_mad_u64_u32 v[22:23], null, v17, s10, 0
	v_fmaak_f32 v0, 0x2f800000, v0, 0x2f800000
	s_delay_alu instid0(VALU_DEP_1) | instskip(NEXT) | instid1(VALU_DEP_3)
	v_cmp_gt_f32_e32 vcc_lo, s28, v0
	v_add3_u32 v23, v23, v25, v24
	v_cndmask_b32_e64 v0, 0, 1.0, vcc_lo
	s_delay_alu instid0(VALU_DEP_2) | instskip(SKIP_1) | instid1(VALU_DEP_1)
	v_lshlrev_b64 v[24:25], 1, v[22:23]
	v_add_co_u32 v22, s0, s12, v22
	v_add_co_ci_u32_e64 v23, s0, s13, v23, s0
	s_delay_alu instid0(VALU_DEP_4) | instskip(NEXT) | instid1(VALU_DEP_4)
	v_mul_f32_e32 v0, v0, v16
	v_add_co_u32 v24, s0, s14, v24
	s_delay_alu instid0(VALU_DEP_1) | instskip(NEXT) | instid1(VALU_DEP_3)
	v_add_co_ci_u32_e64 v25, s0, s15, v25, s0
	v_mul_f32_e32 v0, v48, v0
	s_delay_alu instid0(VALU_DEP_1) | instskip(SKIP_1) | instid1(VALU_DEP_2)
	v_bfe_u32 v16, v0, 16, 1
	v_cmp_o_f32_e64 s0, v0, v0
	v_add3_u32 v16, v0, v16, 0x7fff
	s_delay_alu instid0(VALU_DEP_1) | instskip(NEXT) | instid1(VALU_DEP_1)
	v_lshrrev_b32_e32 v16, 16, v16
	v_cndmask_b32_e64 v0, 0x7fc0, v16, s0
	v_cndmask_b32_e64 v16, 0, 1, vcc_lo
	global_store_b16 v[24:25], v0, off
	global_store_b8 v[22:23], v16, off
	s_or_b32 exec_lo, exec_lo, s4
	s_and_saveexec_b32 s4, s1
	s_cbranch_execz .LBB110_48
.LBB110_59:                             ;   in Loop: Header=BB110_8 Depth=1
	v_cvt_f32_u32_e32 v0, v1
	v_mul_lo_u32 v8, v8, s10
	v_mul_lo_u32 v16, v7, s11
	s_waitcnt vmcnt(0)
	s_delay_alu instid0(VALU_DEP_3) | instskip(NEXT) | instid1(VALU_DEP_1)
	v_dual_fmaak_f32 v0, 0x2f800000, v0, 0x2f800000 :: v_dual_lshlrev_b32 v1, 16, v51
	v_cmp_gt_f32_e32 vcc_lo, s28, v0
	v_cndmask_b32_e64 v0, 0, 1.0, vcc_lo
	s_delay_alu instid0(VALU_DEP_1) | instskip(SKIP_1) | instid1(VALU_DEP_2)
	v_mul_f32_e32 v22, v0, v1
	v_mad_u64_u32 v[0:1], null, v7, s10, 0
	v_mul_f32_e32 v22, v48, v22
	s_delay_alu instid0(VALU_DEP_2) | instskip(NEXT) | instid1(VALU_DEP_2)
	v_add3_u32 v1, v1, v16, v8
	v_bfe_u32 v16, v22, 16, 1
	s_delay_alu instid0(VALU_DEP_2) | instskip(SKIP_1) | instid1(VALU_DEP_3)
	v_lshlrev_b64 v[7:8], 1, v[0:1]
	v_add_co_u32 v0, s0, s12, v0
	v_add3_u32 v16, v22, v16, 0x7fff
	v_add_co_ci_u32_e64 v1, s0, s13, v1, s0
	s_delay_alu instid0(VALU_DEP_4) | instskip(NEXT) | instid1(VALU_DEP_1)
	v_add_co_u32 v7, s0, s14, v7
	v_add_co_ci_u32_e64 v8, s0, s15, v8, s0
	s_delay_alu instid0(VALU_DEP_4) | instskip(SKIP_2) | instid1(VALU_DEP_2)
	v_lshrrev_b32_e32 v16, 16, v16
	v_cmp_o_f32_e64 s0, v22, v22
	v_cndmask_b32_e64 v22, 0, 1, vcc_lo
	v_cndmask_b32_e64 v16, 0x7fc0, v16, s0
	global_store_b16 v[7:8], v16, off
	global_store_b8 v[0:1], v22, off
	s_or_b32 exec_lo, exec_lo, s4
	s_and_saveexec_b32 s1, s2
	s_cbranch_execz .LBB110_49
.LBB110_60:                             ;   in Loop: Header=BB110_8 Depth=1
	v_cvt_f32_u32_e32 v0, v2
	v_mul_lo_u32 v2, v10, s10
	v_mul_lo_u32 v7, v9, s11
	s_waitcnt vmcnt(0)
	s_delay_alu instid0(VALU_DEP_3) | instskip(NEXT) | instid1(VALU_DEP_1)
	v_dual_fmaak_f32 v0, 0x2f800000, v0, 0x2f800000 :: v_dual_lshlrev_b32 v1, 16, v50
	v_cmp_gt_f32_e32 vcc_lo, s28, v0
	v_cndmask_b32_e64 v0, 0, 1.0, vcc_lo
	s_delay_alu instid0(VALU_DEP_1) | instskip(SKIP_1) | instid1(VALU_DEP_2)
	v_mul_f32_e32 v8, v0, v1
	v_mad_u64_u32 v[0:1], null, v9, s10, 0
	v_mul_f32_e32 v9, v48, v8
	s_delay_alu instid0(VALU_DEP_2) | instskip(NEXT) | instid1(VALU_DEP_2)
	v_add3_u32 v1, v1, v7, v2
	v_bfe_u32 v2, v9, 16, 1
	s_delay_alu instid0(VALU_DEP_2) | instskip(SKIP_1) | instid1(VALU_DEP_3)
	v_lshlrev_b64 v[7:8], 1, v[0:1]
	v_add_co_u32 v0, s0, s12, v0
	v_add3_u32 v2, v9, v2, 0x7fff
	v_add_co_ci_u32_e64 v1, s0, s13, v1, s0
	s_delay_alu instid0(VALU_DEP_4) | instskip(NEXT) | instid1(VALU_DEP_1)
	v_add_co_u32 v7, s0, s14, v7
	v_add_co_ci_u32_e64 v8, s0, s15, v8, s0
	s_delay_alu instid0(VALU_DEP_4) | instskip(SKIP_2) | instid1(VALU_DEP_2)
	v_lshrrev_b32_e32 v2, 16, v2
	v_cmp_o_f32_e64 s0, v9, v9
	v_cndmask_b32_e64 v9, 0, 1, vcc_lo
	v_cndmask_b32_e64 v2, 0x7fc0, v2, s0
	global_store_b16 v[7:8], v2, off
	global_store_b8 v[0:1], v9, off
	s_or_b32 exec_lo, exec_lo, s1
	s_and_saveexec_b32 s1, s3
	s_cbranch_execz .LBB110_7
.LBB110_61:                             ;   in Loop: Header=BB110_8 Depth=1
	v_cvt_f32_u32_e32 v0, v3
	v_mul_lo_u32 v2, v21, s10
	v_mul_lo_u32 v3, v20, s11
	s_waitcnt vmcnt(0)
	s_delay_alu instid0(VALU_DEP_3) | instskip(NEXT) | instid1(VALU_DEP_1)
	v_dual_fmaak_f32 v0, 0x2f800000, v0, 0x2f800000 :: v_dual_lshlrev_b32 v1, 16, v26
	v_cmp_gt_f32_e32 vcc_lo, s28, v0
	v_cndmask_b32_e64 v0, 0, 1.0, vcc_lo
	s_delay_alu instid0(VALU_DEP_1) | instskip(SKIP_1) | instid1(VALU_DEP_2)
	v_mul_f32_e32 v7, v0, v1
	v_mad_u64_u32 v[0:1], null, v20, s10, 0
	v_mul_f32_e32 v7, v48, v7
	s_delay_alu instid0(VALU_DEP_2) | instskip(NEXT) | instid1(VALU_DEP_2)
	v_add3_u32 v1, v1, v3, v2
	v_bfe_u32 v8, v7, 16, 1
	s_delay_alu instid0(VALU_DEP_2) | instskip(SKIP_1) | instid1(VALU_DEP_3)
	v_lshlrev_b64 v[2:3], 1, v[0:1]
	v_add_co_u32 v0, s0, s12, v0
	v_add3_u32 v8, v7, v8, 0x7fff
	v_add_co_ci_u32_e64 v1, s0, s13, v1, s0
	s_delay_alu instid0(VALU_DEP_4) | instskip(NEXT) | instid1(VALU_DEP_1)
	v_add_co_u32 v2, s0, s14, v2
	v_add_co_ci_u32_e64 v3, s0, s15, v3, s0
	s_delay_alu instid0(VALU_DEP_4) | instskip(SKIP_1) | instid1(VALU_DEP_1)
	v_lshrrev_b32_e32 v8, 16, v8
	v_cmp_o_f32_e64 s0, v7, v7
	v_cndmask_b32_e64 v7, 0x7fc0, v8, s0
	v_cndmask_b32_e64 v8, 0, 1, vcc_lo
	global_store_b16 v[2:3], v7, off
	global_store_b8 v[0:1], v8, off
	s_branch .LBB110_7
.LBB110_62:
	s_endpgm
.LBB110_63:
                                        ; implicit-def: $sgpr2_sgpr3
	s_branch .LBB110_4
	.section	.rodata,"a",@progbits
	.p2align	6, 0x0
	.amdhsa_kernel _ZN2at6native12_GLOBAL__N_120fused_dropout_kernelIN3c108BFloat16EfmLin1ELi1EhEEvNS_4cuda6detail10TensorInfoIKT_T1_EENS7_IS8_SA_EENS7_IT4_SA_EESA_T0_NS_15PhiloxCudaStateE
		.amdhsa_group_segment_fixed_size 0
		.amdhsa_private_segment_fixed_size 0
		.amdhsa_kernarg_size 1552
		.amdhsa_user_sgpr_count 15
		.amdhsa_user_sgpr_dispatch_ptr 0
		.amdhsa_user_sgpr_queue_ptr 0
		.amdhsa_user_sgpr_kernarg_segment_ptr 1
		.amdhsa_user_sgpr_dispatch_id 0
		.amdhsa_user_sgpr_private_segment_size 0
		.amdhsa_wavefront_size32 1
		.amdhsa_uses_dynamic_stack 0
		.amdhsa_enable_private_segment 0
		.amdhsa_system_sgpr_workgroup_id_x 1
		.amdhsa_system_sgpr_workgroup_id_y 0
		.amdhsa_system_sgpr_workgroup_id_z 0
		.amdhsa_system_sgpr_workgroup_info 0
		.amdhsa_system_vgpr_workitem_id 0
		.amdhsa_next_free_vgpr 60
		.amdhsa_next_free_sgpr 38
		.amdhsa_reserve_vcc 1
		.amdhsa_float_round_mode_32 0
		.amdhsa_float_round_mode_16_64 0
		.amdhsa_float_denorm_mode_32 3
		.amdhsa_float_denorm_mode_16_64 3
		.amdhsa_dx10_clamp 1
		.amdhsa_ieee_mode 1
		.amdhsa_fp16_overflow 0
		.amdhsa_workgroup_processor_mode 1
		.amdhsa_memory_ordered 1
		.amdhsa_forward_progress 0
		.amdhsa_shared_vgpr_count 0
		.amdhsa_exception_fp_ieee_invalid_op 0
		.amdhsa_exception_fp_denorm_src 0
		.amdhsa_exception_fp_ieee_div_zero 0
		.amdhsa_exception_fp_ieee_overflow 0
		.amdhsa_exception_fp_ieee_underflow 0
		.amdhsa_exception_fp_ieee_inexact 0
		.amdhsa_exception_int_div_zero 0
	.end_amdhsa_kernel
	.section	.text._ZN2at6native12_GLOBAL__N_120fused_dropout_kernelIN3c108BFloat16EfmLin1ELi1EhEEvNS_4cuda6detail10TensorInfoIKT_T1_EENS7_IS8_SA_EENS7_IT4_SA_EESA_T0_NS_15PhiloxCudaStateE,"axG",@progbits,_ZN2at6native12_GLOBAL__N_120fused_dropout_kernelIN3c108BFloat16EfmLin1ELi1EhEEvNS_4cuda6detail10TensorInfoIKT_T1_EENS7_IS8_SA_EENS7_IT4_SA_EESA_T0_NS_15PhiloxCudaStateE,comdat
.Lfunc_end110:
	.size	_ZN2at6native12_GLOBAL__N_120fused_dropout_kernelIN3c108BFloat16EfmLin1ELi1EhEEvNS_4cuda6detail10TensorInfoIKT_T1_EENS7_IS8_SA_EENS7_IT4_SA_EESA_T0_NS_15PhiloxCudaStateE, .Lfunc_end110-_ZN2at6native12_GLOBAL__N_120fused_dropout_kernelIN3c108BFloat16EfmLin1ELi1EhEEvNS_4cuda6detail10TensorInfoIKT_T1_EENS7_IS8_SA_EENS7_IT4_SA_EESA_T0_NS_15PhiloxCudaStateE
                                        ; -- End function
	.section	.AMDGPU.csdata,"",@progbits
; Kernel info:
; codeLenInByte = 8388
; NumSgprs: 40
; NumVgprs: 60
; ScratchSize: 0
; MemoryBound: 0
; FloatMode: 240
; IeeeMode: 1
; LDSByteSize: 0 bytes/workgroup (compile time only)
; SGPRBlocks: 4
; VGPRBlocks: 7
; NumSGPRsForWavesPerEU: 40
; NumVGPRsForWavesPerEU: 60
; Occupancy: 16
; WaveLimiterHint : 1
; COMPUTE_PGM_RSRC2:SCRATCH_EN: 0
; COMPUTE_PGM_RSRC2:USER_SGPR: 15
; COMPUTE_PGM_RSRC2:TRAP_HANDLER: 0
; COMPUTE_PGM_RSRC2:TGID_X_EN: 1
; COMPUTE_PGM_RSRC2:TGID_Y_EN: 0
; COMPUTE_PGM_RSRC2:TGID_Z_EN: 0
; COMPUTE_PGM_RSRC2:TIDIG_COMP_CNT: 0
	.section	.text._ZN2at6native12_GLOBAL__N_120fused_dropout_kernelIN3c108BFloat16EfmLin1ELin1EhEEvNS_4cuda6detail10TensorInfoIKT_T1_EENS7_IS8_SA_EENS7_IT4_SA_EESA_T0_NS_15PhiloxCudaStateE,"axG",@progbits,_ZN2at6native12_GLOBAL__N_120fused_dropout_kernelIN3c108BFloat16EfmLin1ELin1EhEEvNS_4cuda6detail10TensorInfoIKT_T1_EENS7_IS8_SA_EENS7_IT4_SA_EESA_T0_NS_15PhiloxCudaStateE,comdat
	.globl	_ZN2at6native12_GLOBAL__N_120fused_dropout_kernelIN3c108BFloat16EfmLin1ELin1EhEEvNS_4cuda6detail10TensorInfoIKT_T1_EENS7_IS8_SA_EENS7_IT4_SA_EESA_T0_NS_15PhiloxCudaStateE ; -- Begin function _ZN2at6native12_GLOBAL__N_120fused_dropout_kernelIN3c108BFloat16EfmLin1ELin1EhEEvNS_4cuda6detail10TensorInfoIKT_T1_EENS7_IS8_SA_EENS7_IT4_SA_EESA_T0_NS_15PhiloxCudaStateE
	.p2align	8
	.type	_ZN2at6native12_GLOBAL__N_120fused_dropout_kernelIN3c108BFloat16EfmLin1ELin1EhEEvNS_4cuda6detail10TensorInfoIKT_T1_EENS7_IS8_SA_EENS7_IT4_SA_EESA_T0_NS_15PhiloxCudaStateE,@function
_ZN2at6native12_GLOBAL__N_120fused_dropout_kernelIN3c108BFloat16EfmLin1ELin1EhEEvNS_4cuda6detail10TensorInfoIKT_T1_EENS7_IS8_SA_EENS7_IT4_SA_EESA_T0_NS_15PhiloxCudaStateE: ; @_ZN2at6native12_GLOBAL__N_120fused_dropout_kernelIN3c108BFloat16EfmLin1ELin1EhEEvNS_4cuda6detail10TensorInfoIKT_T1_EENS7_IS8_SA_EENS7_IT4_SA_EESA_T0_NS_15PhiloxCudaStateE
; %bb.0:
	s_clause 0x1
	s_load_b128 s[4:7], s[0:1], 0x4f0
	s_load_b32 s2, s[0:1], 0x508
	s_waitcnt lgkmcnt(0)
	v_dual_mov_b32 v1, s6 :: v_dual_mov_b32 v2, s7
	v_dual_mov_b32 v12, s5 :: v_dual_mov_b32 v11, s4
	s_bitcmp0_b32 s2, 0
	s_mov_b32 s2, 0
	s_cbranch_scc1 .LBB111_2
; %bb.1:
	v_dual_mov_b32 v1, s6 :: v_dual_mov_b32 v2, s7
	v_dual_mov_b32 v3, s4 :: v_dual_mov_b32 v4, s5
	s_load_b64 s[4:5], s[0:1], 0x500
	flat_load_b64 v[1:2], v[1:2]
	flat_load_b64 v[11:12], v[3:4]
	s_waitcnt vmcnt(1) lgkmcnt(0)
	v_add_co_u32 v1, vcc_lo, v1, s4
	v_add_co_ci_u32_e32 v2, vcc_lo, s5, v2, vcc_lo
.LBB111_2:
	s_clause 0x2
	s_load_b32 s3, s[0:1], 0x51c
	s_load_b64 s[6:7], s[0:1], 0x4e0
	s_load_b32 s4, s[0:1], 0x510
	s_waitcnt lgkmcnt(0)
	s_and_b32 s5, s3, 0xffff
	s_add_u32 s8, s6, -1
	s_mul_i32 s28, s4, s5
	s_addc_u32 s3, s7, -1
	s_lshl_b32 s29, s28, 2
	s_cmp_lg_u64 s[2:3], 0
	s_cbranch_scc0 .LBB111_88
; %bb.3:
	v_cvt_f32_u32_e32 v3, s29
	s_sub_u32 s10, 0, s29
	s_subb_u32 s11, 0, 0
	s_delay_alu instid0(VALU_DEP_1) | instskip(NEXT) | instid1(VALU_DEP_1)
	v_fmamk_f32 v3, 0, 0x4f800000, v3
	v_rcp_f32_e32 v3, v3
	s_waitcnt_depctr 0xfff
	v_mul_f32_e32 v3, 0x5f7ffffc, v3
	s_delay_alu instid0(VALU_DEP_1) | instskip(NEXT) | instid1(VALU_DEP_1)
	v_mul_f32_e32 v4, 0x2f800000, v3
	v_trunc_f32_e32 v4, v4
	s_delay_alu instid0(VALU_DEP_1) | instskip(SKIP_1) | instid1(VALU_DEP_2)
	v_fmamk_f32 v3, v4, 0xcf800000, v3
	v_cvt_u32_f32_e32 v4, v4
	v_cvt_u32_f32_e32 v3, v3
	s_delay_alu instid0(VALU_DEP_2) | instskip(NEXT) | instid1(VALU_DEP_2)
	v_readfirstlane_b32 s2, v4
	v_readfirstlane_b32 s9, v3
	s_delay_alu instid0(VALU_DEP_2) | instskip(NEXT) | instid1(VALU_DEP_1)
	s_mul_i32 s12, s10, s2
	s_mul_hi_u32 s14, s10, s9
	s_mul_i32 s13, s11, s9
	s_add_i32 s12, s14, s12
	s_mul_i32 s16, s10, s9
	s_add_i32 s12, s12, s13
	s_mul_hi_u32 s14, s9, s16
	s_mul_hi_u32 s17, s2, s16
	s_mul_i32 s13, s2, s16
	s_mul_hi_u32 s16, s9, s12
	s_mul_i32 s9, s9, s12
	s_mul_hi_u32 s18, s2, s12
	s_add_u32 s9, s14, s9
	s_addc_u32 s14, 0, s16
	s_add_u32 s9, s9, s13
	s_mul_i32 s12, s2, s12
	s_addc_u32 s9, s14, s17
	s_addc_u32 s13, s18, 0
	s_add_u32 s9, s9, s12
	s_addc_u32 s12, 0, s13
	v_add_co_u32 v3, s9, v3, s9
	s_delay_alu instid0(VALU_DEP_1) | instskip(SKIP_1) | instid1(VALU_DEP_1)
	s_cmp_lg_u32 s9, 0
	s_addc_u32 s2, s2, s12
	v_readfirstlane_b32 s9, v3
	s_mul_i32 s12, s10, s2
	s_delay_alu instid0(VALU_DEP_1)
	s_mul_hi_u32 s13, s10, s9
	s_mul_i32 s11, s11, s9
	s_add_i32 s12, s13, s12
	s_mul_i32 s10, s10, s9
	s_add_i32 s12, s12, s11
	s_mul_hi_u32 s13, s2, s10
	s_mul_i32 s14, s2, s10
	s_mul_hi_u32 s10, s9, s10
	s_mul_hi_u32 s16, s9, s12
	s_mul_i32 s9, s9, s12
	s_mul_hi_u32 s11, s2, s12
	s_add_u32 s9, s10, s9
	s_addc_u32 s10, 0, s16
	s_add_u32 s9, s9, s14
	s_mul_i32 s12, s2, s12
	s_addc_u32 s9, s10, s13
	s_addc_u32 s10, s11, 0
	s_add_u32 s9, s9, s12
	s_addc_u32 s10, 0, s10
	v_add_co_u32 v3, s9, v3, s9
	s_delay_alu instid0(VALU_DEP_1) | instskip(SKIP_1) | instid1(VALU_DEP_1)
	s_cmp_lg_u32 s9, 0
	s_addc_u32 s2, s2, s10
	v_readfirstlane_b32 s9, v3
	s_mul_i32 s11, s8, s2
	s_mul_hi_u32 s10, s8, s2
	s_mul_hi_u32 s12, s3, s2
	s_mul_i32 s2, s3, s2
	s_mul_hi_u32 s13, s8, s9
	s_mul_hi_u32 s14, s3, s9
	s_mul_i32 s9, s3, s9
	s_add_u32 s11, s13, s11
	s_addc_u32 s10, 0, s10
	s_add_u32 s9, s11, s9
	s_addc_u32 s9, s10, s14
	s_addc_u32 s10, s12, 0
	s_add_u32 s2, s9, s2
	s_addc_u32 s10, 0, s10
	s_mul_i32 s11, s29, s2
	s_add_u32 s9, s2, 1
	v_sub_co_u32 v3, s11, s8, s11
	s_mul_hi_u32 s12, s29, s2
	s_addc_u32 s13, s10, 0
	s_mul_i32 s14, s29, s10
	s_delay_alu instid0(VALU_DEP_1)
	v_sub_co_u32 v4, s16, v3, s29
	s_add_u32 s17, s2, 2
	s_addc_u32 s18, s10, 0
	s_add_i32 s12, s12, s14
	s_cmp_lg_u32 s11, 0
	v_readfirstlane_b32 s11, v4
	s_subb_u32 s3, s3, s12
	s_cmp_lg_u32 s16, 0
	s_subb_u32 s12, s3, 0
	s_delay_alu instid0(VALU_DEP_1) | instskip(SKIP_4) | instid1(SALU_CYCLE_1)
	s_cmp_ge_u32 s11, s29
	s_cselect_b32 s11, -1, 0
	s_cmp_eq_u32 s12, 0
	v_readfirstlane_b32 s12, v3
	s_cselect_b32 s11, s11, -1
	s_cmp_lg_u32 s11, 0
	s_cselect_b32 s11, s17, s9
	s_cselect_b32 s13, s18, s13
	s_cmp_ge_u32 s12, s29
	s_cselect_b32 s9, -1, 0
	s_cmp_eq_u32 s3, 0
	s_cselect_b32 s3, s9, -1
	s_delay_alu instid0(SALU_CYCLE_1)
	s_cmp_lg_u32 s3, 0
	s_cselect_b32 s3, s13, s10
	s_cselect_b32 s2, s11, s2
	s_cbranch_execnz .LBB111_5
.LBB111_4:
	v_cvt_f32_u32_e32 v3, s29
	s_sub_i32 s3, 0, s29
	s_delay_alu instid0(VALU_DEP_1) | instskip(SKIP_2) | instid1(VALU_DEP_1)
	v_rcp_iflag_f32_e32 v3, v3
	s_waitcnt_depctr 0xfff
	v_mul_f32_e32 v3, 0x4f7ffffe, v3
	v_cvt_u32_f32_e32 v3, v3
	s_delay_alu instid0(VALU_DEP_1) | instskip(NEXT) | instid1(VALU_DEP_1)
	v_readfirstlane_b32 s2, v3
	s_mul_i32 s3, s3, s2
	s_delay_alu instid0(SALU_CYCLE_1) | instskip(NEXT) | instid1(SALU_CYCLE_1)
	s_mul_hi_u32 s3, s2, s3
	s_add_i32 s2, s2, s3
	s_delay_alu instid0(SALU_CYCLE_1) | instskip(NEXT) | instid1(SALU_CYCLE_1)
	s_mul_hi_u32 s2, s8, s2
	s_mul_i32 s3, s2, s29
	s_delay_alu instid0(SALU_CYCLE_1)
	s_sub_i32 s3, s8, s3
	s_add_i32 s8, s2, 1
	s_sub_i32 s9, s3, s29
	s_cmp_ge_u32 s3, s29
	s_cselect_b32 s2, s8, s2
	s_cselect_b32 s3, s9, s3
	s_add_i32 s8, s2, 1
	s_cmp_ge_u32 s3, s29
	s_mov_b32 s3, 0
	s_cselect_b32 s2, s8, s2
.LBB111_5:
	s_delay_alu instid0(SALU_CYCLE_1)
	s_add_u32 s2, s2, 1
	s_addc_u32 s3, s3, 0
	v_mov_b32_e32 v15, 0
	v_mad_u64_u32 v[13:14], null, s15, s5, v[0:1]
	s_mul_i32 s3, s28, s3
	s_mul_hi_u32 s8, s28, s2
	s_mul_hi_u32 s4, s4, s5
	s_add_i32 s3, s8, s3
	s_mul_i32 s4, s4, s2
	v_mov_b32_e32 v14, v15
	s_add_i32 s3, s3, s4
	s_mul_i32 s2, s28, s2
	s_delay_alu instid0(SALU_CYCLE_1)
	s_lshl_b64 s[8:9], s[2:3], 2
	s_mov_b32 s2, exec_lo
	v_cmpx_gt_u64_e64 s[8:9], v[13:14]
	s_cbranch_execz .LBB111_87
; %bb.6:
	v_alignbit_b32 v28, v2, v1, 2
	v_mad_u64_u32 v[3:4], null, 0xcd9e8d57, v13, 0
	v_lshrrev_b32_e32 v29, 2, v2
	s_waitcnt vmcnt(0)
	v_dual_mov_b32 v10, v12 :: v_dual_add_nc_u32 v35, 0x8ff34781, v11
	v_mad_u64_u32 v[5:6], null, 0xd2511f53, v28, 0
	v_add_co_u32 v31, null, 0x9e3779b9, v11
	v_xor3_b32 v0, v11, v4, v29
	s_delay_alu instid0(VALU_DEP_4) | instskip(SKIP_2) | instid1(VALU_DEP_4)
	v_add_co_u32 v30, null, 0xbb67ae85, v10
	v_add_co_u32 v32, null, 0x3c6ef372, v11
	v_xor_b32_e32 v2, v6, v12
	v_mad_u64_u32 v[6:7], null, 0xd2511f53, v0, 0
	v_add_co_u32 v33, null, 0x76cf5d0a, v10
	s_delay_alu instid0(VALU_DEP_3)
	v_mad_u64_u32 v[8:9], null, 0xcd9e8d57, v2, 0
	v_and_b32_e32 v34, 3, v1
	v_add_co_u32 v37, null, 0x32370b8f, v10
	v_xor3_b32 v0, v30, v7, v5
	v_add_co_u32 v38, null, 0xdaa66d2b, v11
	v_xor3_b32 v7, v9, v31, v3
	s_clause 0x1
	s_load_b32 s30, s[0:1], 0x4e8
	s_load_b64 s[18:19], s[0:1], 0x270
	v_mad_u64_u32 v[2:3], null, 0xcd9e8d57, v0, 0
	v_mad_u64_u32 v[4:5], null, 0xd2511f53, v7, 0
	v_add_co_u32 v40, null, 0x78dde6e4, v11
	v_add_co_u32 v41, null, 0xed9eba14, v10
	s_delay_alu instid0(VALU_DEP_4) | instskip(SKIP_3) | instid1(VALU_DEP_4)
	v_xor3_b32 v3, v32, v3, v8
	v_add_co_u32 v42, null, 0x1715609d, v11
	v_xor3_b32 v7, v5, v33, v6
	v_add_co_u32 v43, null, 0xa9066899, v10
	v_mad_u64_u32 v[0:1], null, 0xd2511f53, v3, 0
	s_delay_alu instid0(VALU_DEP_3) | instskip(SKIP_4) | instid1(VALU_DEP_4)
	v_mad_u64_u32 v[5:6], null, 0xcd9e8d57, v7, 0
	s_waitcnt lgkmcnt(0)
	v_div_scale_f32 v8, null, s30, s30, 1.0
	s_load_b64 s[12:13], s[0:1], 0x1a0
	v_add_co_u32 v39, null, 0xb54cda56, v11
	v_xor3_b32 v3, v37, v1, v4
	s_delay_alu instid0(VALU_DEP_4) | instskip(SKIP_2) | instid1(VALU_DEP_3)
	v_xor3_b32 v6, v6, v38, v2
	v_rcp_f32_e32 v9, v8
	v_add_co_u32 v46, null, 0x646e171e, v10
	v_mad_u64_u32 v[1:2], null, 0xcd9e8d57, v3, 0
	s_delay_alu instid0(VALU_DEP_3)
	v_mad_u64_u32 v[3:4], null, 0xd2511f53, v6, 0
	s_clause 0x2
	s_load_b32 s20, s[0:1], 0x198
	s_load_b64 s[10:11], s[0:1], 0x340
	s_load_b32 s23, s[0:1], 0x338
	v_add_co_u32 v44, null, 0x5384540f, v11
	s_delay_alu instid0(VALU_DEP_3) | instskip(SKIP_3) | instid1(VALU_DEP_4)
	v_xor3_b32 v2, v40, v2, v5
	v_add_co_u32 v47, null, 0x1fd5c5a3, v10
	v_xor3_b32 v0, v4, v41, v0
	v_div_scale_f32 v16, vcc_lo, 1.0, s30, 1.0
	v_mad_u64_u32 v[4:5], null, 0xd2511f53, v2, 0
	s_delay_alu instid0(VALU_DEP_3) | instskip(SKIP_2) | instid1(VALU_DEP_4)
	v_mad_u64_u32 v[6:7], null, 0xcd9e8d57, v0, 0
	v_add_co_u32 v45, null, 0xf1bbcdc8, v11
	v_add_co_u32 v48, null, 0xdb3d7428, v10
	v_xor3_b32 v2, v43, v5, v3
	s_add_u32 s22, s0, 0x1a0
	s_delay_alu instid0(VALU_DEP_4)
	v_xor3_b32 v5, v7, v42, v1
	s_addc_u32 s24, s1, 0
	s_clause 0x1
	s_load_b64 s[14:15], s[0:1], 0xd0
	s_load_b64 s[16:17], s[0:1], 0x0
	v_mad_u64_u32 v[0:1], null, 0xcd9e8d57, v2, 0
	v_mad_u64_u32 v[2:3], null, 0xd2511f53, v5, 0
	v_fma_f32 v5, -v8, v9, 1.0
	v_add_nc_u32_e32 v36, 0x96a522ad, v12
	s_waitcnt lgkmcnt(0)
	s_cmp_gt_i32 s20, 1
	s_mov_b32 s5, 0
	s_delay_alu instid0(VALU_DEP_4)
	v_xor3_b32 v1, v39, v1, v6
	v_fmac_f32_e32 v9, v5, v9
	v_xor3_b32 v7, v3, v46, v4
	s_cselect_b32 s31, -1, 0
	s_cmp_gt_i32 s23, 1
	v_mad_u64_u32 v[3:4], null, 0xd2511f53, v1, 0
	s_delay_alu instid0(VALU_DEP_2) | instskip(SKIP_4) | instid1(VALU_DEP_3)
	v_mad_u64_u32 v[5:6], null, 0xcd9e8d57, v7, 0
	v_mul_f32_e32 v17, v16, v9
	s_cselect_b32 s33, -1, 0
	s_add_i32 s4, s20, -1
	s_lshl_b32 s34, s28, 1
	v_xor3_b32 v2, v47, v4, v2
	v_fma_f32 v18, -v8, v17, v16
	s_delay_alu instid0(VALU_DEP_4) | instskip(SKIP_3) | instid1(VALU_DEP_2)
	v_xor3_b32 v4, v6, v44, v0
	s_lshl_b64 s[2:3], s[4:5], 3
	s_add_i32 s35, s20, 1
	v_mad_u64_u32 v[0:1], null, 0xcd9e8d57, v2, 0
	v_mad_u64_u32 v[6:7], null, 0xd2511f53, v4, 0
	v_fmac_f32_e32 v17, v18, v9
	s_add_u32 s0, s2, s0
	s_addc_u32 s1, s3, s1
	s_add_u32 s20, s0, 8
	s_delay_alu instid0(VALU_DEP_3) | instskip(SKIP_1) | instid1(VALU_DEP_3)
	v_xor3_b32 v1, v45, v1, v5
	s_addc_u32 s21, s1, 0
	v_xor3_b32 v5, v7, v48, v3
	v_fma_f32 v7, -v8, v17, v16
	s_add_i32 s4, s23, -1
	v_mad_u64_u32 v[3:4], null, 0xd2511f53, v1, 0
	s_delay_alu instid0(VALU_DEP_3) | instskip(NEXT) | instid1(VALU_DEP_3)
	v_mad_u64_u32 v[1:2], null, 0xcd9e8d57, v5, 0
	v_div_fmas_f32 v5, v7, v9, v17
	s_lshl_b64 s[0:1], s[4:5], 3
	s_add_i32 s37, s23, 1
	v_mov_b32_e32 v18, v14
	s_add_u32 s0, s0, s22
	v_div_fixup_f32 v49, v5, s30, 1.0
	s_delay_alu instid0(VALU_DEP_4)
	v_xor3_b32 v0, v0, v2, v35
	v_xor3_b32 v2, v4, v6, v36
	v_dual_mov_b32 v17, v13 :: v_dual_mov_b32 v14, 0
	s_addc_u32 s1, s1, s24
	s_add_u32 s22, s0, 8
	s_mul_i32 s36, s28, 3
	s_addc_u32 s23, s1, 0
                                        ; implicit-def: $vgpr50
                                        ; implicit-def: $vgpr51
                                        ; implicit-def: $vgpr52
                                        ; implicit-def: $vgpr53
	s_branch .LBB111_9
.LBB111_7:                              ;   in Loop: Header=BB111_9 Depth=1
	v_cvt_f32_u32_e32 v2, v3
	s_waitcnt vmcnt(0)
	v_lshlrev_b32_e32 v9, 16, v50
	s_delay_alu instid0(VALU_DEP_2) | instskip(NEXT) | instid1(VALU_DEP_1)
	v_fmaak_f32 v2, 0x2f800000, v2, 0x2f800000
	v_cmp_gt_f32_e32 vcc_lo, s30, v2
	v_mad_u64_u32 v[2:3], null, s18, v7, v[0:1]
	v_mul_lo_u32 v0, s18, v8
	v_mul_lo_u32 v7, s19, v7
	v_cndmask_b32_e64 v10, 0, 1.0, vcc_lo
	s_delay_alu instid0(VALU_DEP_1) | instskip(NEXT) | instid1(VALU_DEP_3)
	v_mul_f32_e32 v1, v10, v9
	v_add3_u32 v3, v7, v3, v0
	s_delay_alu instid0(VALU_DEP_2) | instskip(NEXT) | instid1(VALU_DEP_2)
	v_mul_f32_e32 v8, v49, v1
	v_lshlrev_b64 v[0:1], 1, v[2:3]
	v_add_co_u32 v2, s0, s10, v2
	s_delay_alu instid0(VALU_DEP_3) | instskip(SKIP_1) | instid1(VALU_DEP_4)
	v_bfe_u32 v7, v8, 16, 1
	v_add_co_ci_u32_e64 v3, s0, s11, v3, s0
	v_add_co_u32 v0, s0, s12, v0
	s_delay_alu instid0(VALU_DEP_3) | instskip(SKIP_3) | instid1(VALU_DEP_4)
	v_add3_u32 v7, v8, v7, 0x7fff
	v_add_co_ci_u32_e64 v1, s0, s13, v1, s0
	v_cmp_o_f32_e64 s0, v8, v8
	v_cndmask_b32_e64 v8, 0, 1, vcc_lo
	v_lshrrev_b32_e32 v7, 16, v7
	s_delay_alu instid0(VALU_DEP_1)
	v_cndmask_b32_e64 v7, 0x7fc0, v7, s0
	global_store_b16 v[0:1], v7, off
	global_store_b8 v[2:3], v8, off
.LBB111_8:                              ;   in Loop: Header=BB111_9 Depth=1
	s_or_b32 exec_lo, exec_lo, s1
	v_add_co_u32 v17, vcc_lo, v17, s29
	v_add_co_ci_u32_e32 v18, vcc_lo, 0, v18, vcc_lo
	v_mov_b32_e32 v7, v19
	v_dual_mov_b32 v0, v4 :: v_dual_mov_b32 v1, v5
	s_delay_alu instid0(VALU_DEP_3) | instskip(NEXT) | instid1(VALU_DEP_3)
	v_cmp_le_u64_e32 vcc_lo, s[8:9], v[17:18]
	v_dual_mov_b32 v2, v6 :: v_dual_mov_b32 v3, v7
	s_waitcnt vmcnt(0)
	s_waitcnt_vscnt null, 0x0
	s_barrier
	buffer_gl0_inv
	s_or_b32 s5, vcc_lo, s5
	s_delay_alu instid0(SALU_CYCLE_1)
	s_and_not1_b32 exec_lo, exec_lo, s5
	s_cbranch_execz .LBB111_87
.LBB111_9:                              ; =>This Loop Header: Depth=1
                                        ;     Child Loop BB111_21 Depth 2
                                        ;     Child Loop BB111_30 Depth 2
	;; [unrolled: 1-line block ×8, first 2 shown]
	v_add_co_u32 v28, vcc_lo, v28, 1
	s_delay_alu instid0(VALU_DEP_1) | instskip(SKIP_2) | instid1(VALU_DEP_1)
	v_cndmask_b32_e64 v4, 0, 1, vcc_lo
	v_add_co_ci_u32_e32 v29, vcc_lo, 0, v29, vcc_lo
	s_mov_b32 s0, exec_lo
	v_cmp_eq_u32_e32 vcc_lo, 0, v29
	s_delay_alu instid0(VALU_DEP_3) | instskip(NEXT) | instid1(VALU_DEP_1)
	v_cndmask_b32_e32 v4, 0, v4, vcc_lo
	v_add_nc_u32_e32 v13, v4, v13
	s_delay_alu instid0(VALU_DEP_1) | instskip(SKIP_2) | instid1(VALU_DEP_2)
	v_cmp_eq_u32_e32 vcc_lo, 0, v13
	v_cndmask_b32_e32 v4, 0, v4, vcc_lo
	v_mad_u64_u32 v[6:7], null, 0xcd9e8d57, v13, 0
	v_add_nc_u32_e32 v14, v4, v14
	v_mad_u64_u32 v[4:5], null, 0xd2511f53, v28, 0
	s_delay_alu instid0(VALU_DEP_3) | instskip(NEXT) | instid1(VALU_DEP_2)
	v_xor3_b32 v9, v7, v11, v29
	v_xor_b32_e32 v5, v5, v12
	s_delay_alu instid0(VALU_DEP_2) | instskip(NEXT) | instid1(VALU_DEP_2)
	v_mad_u64_u32 v[7:8], null, 0xd2511f53, v9, 0
	v_xor_b32_e32 v5, v14, v5
	s_delay_alu instid0(VALU_DEP_2) | instskip(NEXT) | instid1(VALU_DEP_2)
	v_xor3_b32 v8, v30, v8, v4
	v_mad_u64_u32 v[9:10], null, 0xcd9e8d57, v5, 0
	s_delay_alu instid0(VALU_DEP_2) | instskip(NEXT) | instid1(VALU_DEP_2)
	v_mad_u64_u32 v[4:5], null, 0xcd9e8d57, v8, 0
	v_xor3_b32 v6, v31, v10, v6
	s_delay_alu instid0(VALU_DEP_2) | instskip(NEXT) | instid1(VALU_DEP_2)
	v_xor3_b32 v8, v32, v5, v9
	v_mad_u64_u32 v[19:20], null, 0xd2511f53, v6, 0
	s_delay_alu instid0(VALU_DEP_2) | instskip(NEXT) | instid1(VALU_DEP_2)
	v_mad_u64_u32 v[5:6], null, 0xd2511f53, v8, 0
	v_xor3_b32 v9, v33, v20, v7
	s_delay_alu instid0(VALU_DEP_2) | instskip(NEXT) | instid1(VALU_DEP_2)
	v_xor3_b32 v6, v37, v6, v19
	v_mad_u64_u32 v[7:8], null, 0xcd9e8d57, v9, 0
	s_delay_alu instid0(VALU_DEP_1) | instskip(NEXT) | instid1(VALU_DEP_3)
	v_xor3_b32 v4, v38, v8, v4
	v_mad_u64_u32 v[8:9], null, 0xcd9e8d57, v6, 0
	s_delay_alu instid0(VALU_DEP_2) | instskip(NEXT) | instid1(VALU_DEP_2)
	v_mad_u64_u32 v[19:20], null, 0xd2511f53, v4, 0
	v_xor3_b32 v6, v40, v9, v7
	s_delay_alu instid0(VALU_DEP_2) | instskip(NEXT) | instid1(VALU_DEP_2)
	v_xor3_b32 v9, v41, v20, v5
	v_mad_u64_u32 v[4:5], null, 0xd2511f53, v6, 0
	s_delay_alu instid0(VALU_DEP_2) | instskip(NEXT) | instid1(VALU_DEP_2)
	v_mad_u64_u32 v[6:7], null, 0xcd9e8d57, v9, 0
	v_xor3_b32 v5, v43, v5, v19
	s_delay_alu instid0(VALU_DEP_2) | instskip(NEXT) | instid1(VALU_DEP_2)
	;; [unrolled: 6-line block ×6, first 2 shown]
	v_xor3_b32 v4, v6, v7, v35
	v_mov_b32_e32 v6, v10
	v_cmpx_lt_i32_e32 1, v34
	s_xor_b32 s0, exec_lo, s0
	s_cbranch_execnz .LBB111_12
; %bb.10:                               ;   in Loop: Header=BB111_9 Depth=1
	s_and_not1_saveexec_b32 s0, s0
	s_cbranch_execnz .LBB111_17
.LBB111_11:                             ;   in Loop: Header=BB111_9 Depth=1
	s_or_b32 exec_lo, exec_lo, s0
	v_cmp_gt_u64_e64 s3, s[6:7], v[17:18]
	s_delay_alu instid0(VALU_DEP_1)
	s_and_saveexec_b32 s1, s3
	s_cbranch_execnz .LBB111_20
	s_branch .LBB111_28
.LBB111_12:                             ;   in Loop: Header=BB111_9 Depth=1
	s_mov_b32 s1, exec_lo
	v_cmpx_lt_i32_e32 2, v34
	s_xor_b32 s1, exec_lo, s1
; %bb.13:                               ;   in Loop: Header=BB111_9 Depth=1
	v_dual_mov_b32 v7, v3 :: v_dual_mov_b32 v8, v4
	v_mov_b32_e32 v9, v5
	s_delay_alu instid0(VALU_DEP_2) | instskip(NEXT) | instid1(VALU_DEP_2)
	v_dual_mov_b32 v0, v7 :: v_dual_mov_b32 v1, v8
	v_dual_mov_b32 v2, v9 :: v_dual_mov_b32 v3, v10
; %bb.14:                               ;   in Loop: Header=BB111_9 Depth=1
	s_and_not1_saveexec_b32 s1, s1
; %bb.15:                               ;   in Loop: Header=BB111_9 Depth=1
	s_delay_alu instid0(VALU_DEP_1)
	v_dual_mov_b32 v0, v2 :: v_dual_mov_b32 v1, v3
	v_dual_mov_b32 v2, v4 :: v_dual_mov_b32 v3, v5
; %bb.16:                               ;   in Loop: Header=BB111_9 Depth=1
	s_or_b32 exec_lo, exec_lo, s1
	s_and_not1_saveexec_b32 s0, s0
	s_cbranch_execz .LBB111_11
.LBB111_17:                             ;   in Loop: Header=BB111_9 Depth=1
	s_mov_b32 s1, exec_lo
	v_cmpx_eq_u32_e32 1, v34
; %bb.18:                               ;   in Loop: Header=BB111_9 Depth=1
	v_dual_mov_b32 v0, v1 :: v_dual_mov_b32 v1, v2
	v_dual_mov_b32 v2, v3 :: v_dual_mov_b32 v3, v4
; %bb.19:                               ;   in Loop: Header=BB111_9 Depth=1
	s_or_b32 exec_lo, exec_lo, s1
	s_delay_alu instid0(SALU_CYCLE_1) | instskip(SKIP_1) | instid1(VALU_DEP_1)
	s_or_b32 exec_lo, exec_lo, s0
	v_cmp_gt_u64_e64 s3, s[6:7], v[17:18]
	s_and_saveexec_b32 s1, s3
	s_cbranch_execz .LBB111_28
.LBB111_20:                             ;   in Loop: Header=BB111_9 Depth=1
	v_mov_b32_e32 v7, 0
	v_dual_mov_b32 v8, 0 :: v_dual_mov_b32 v9, v17
	v_mov_b32_e32 v10, v18
	v_dual_mov_b32 v21, v18 :: v_dual_mov_b32 v20, v17
	s_and_not1_b32 vcc_lo, exec_lo, s31
	s_mov_b64 s[24:25], s[20:21]
	s_mov_b32 s2, s35
	s_cbranch_vccnz .LBB111_27
.LBB111_21:                             ;   Parent Loop BB111_9 Depth=1
                                        ; =>  This Inner Loop Header: Depth=2
	s_load_b64 s[26:27], s[24:25], 0x0
                                        ; implicit-def: $vgpr20_vgpr21
	s_mov_b32 s0, exec_lo
	s_waitcnt lgkmcnt(0)
	v_or_b32_e32 v16, s27, v10
	s_delay_alu instid0(VALU_DEP_1)
	v_cmpx_ne_u64_e32 0, v[15:16]
	s_xor_b32 s4, exec_lo, s0
	s_cbranch_execz .LBB111_23
; %bb.22:                               ;   in Loop: Header=BB111_21 Depth=2
	v_cvt_f32_u32_e32 v16, s26
	v_cvt_f32_u32_e32 v20, s27
	s_sub_u32 s0, 0, s26
	s_subb_u32 s38, 0, s27
	s_delay_alu instid0(VALU_DEP_1) | instskip(NEXT) | instid1(VALU_DEP_1)
	v_fmac_f32_e32 v16, 0x4f800000, v20
	v_rcp_f32_e32 v16, v16
	s_waitcnt_depctr 0xfff
	v_mul_f32_e32 v16, 0x5f7ffffc, v16
	s_delay_alu instid0(VALU_DEP_1) | instskip(NEXT) | instid1(VALU_DEP_1)
	v_mul_f32_e32 v20, 0x2f800000, v16
	v_trunc_f32_e32 v20, v20
	s_delay_alu instid0(VALU_DEP_1) | instskip(SKIP_1) | instid1(VALU_DEP_2)
	v_fmac_f32_e32 v16, 0xcf800000, v20
	v_cvt_u32_f32_e32 v20, v20
	v_cvt_u32_f32_e32 v16, v16
	s_delay_alu instid0(VALU_DEP_2) | instskip(NEXT) | instid1(VALU_DEP_2)
	v_mul_lo_u32 v21, s0, v20
	v_mul_hi_u32 v22, s0, v16
	v_mul_lo_u32 v23, s38, v16
	s_delay_alu instid0(VALU_DEP_2) | instskip(SKIP_1) | instid1(VALU_DEP_2)
	v_add_nc_u32_e32 v21, v22, v21
	v_mul_lo_u32 v22, s0, v16
	v_add_nc_u32_e32 v21, v21, v23
	s_delay_alu instid0(VALU_DEP_2) | instskip(NEXT) | instid1(VALU_DEP_2)
	v_mul_hi_u32 v23, v16, v22
	v_mul_lo_u32 v24, v16, v21
	v_mul_hi_u32 v25, v16, v21
	v_mul_hi_u32 v26, v20, v22
	v_mul_lo_u32 v22, v20, v22
	v_mul_hi_u32 v27, v20, v21
	v_mul_lo_u32 v21, v20, v21
	v_add_co_u32 v23, vcc_lo, v23, v24
	v_add_co_ci_u32_e32 v24, vcc_lo, 0, v25, vcc_lo
	s_delay_alu instid0(VALU_DEP_2) | instskip(NEXT) | instid1(VALU_DEP_2)
	v_add_co_u32 v22, vcc_lo, v23, v22
	v_add_co_ci_u32_e32 v22, vcc_lo, v24, v26, vcc_lo
	v_add_co_ci_u32_e32 v23, vcc_lo, 0, v27, vcc_lo
	s_delay_alu instid0(VALU_DEP_2) | instskip(NEXT) | instid1(VALU_DEP_2)
	v_add_co_u32 v21, vcc_lo, v22, v21
	v_add_co_ci_u32_e32 v22, vcc_lo, 0, v23, vcc_lo
	s_delay_alu instid0(VALU_DEP_2) | instskip(NEXT) | instid1(VALU_DEP_2)
	v_add_co_u32 v16, vcc_lo, v16, v21
	v_add_co_ci_u32_e32 v20, vcc_lo, v20, v22, vcc_lo
	s_delay_alu instid0(VALU_DEP_2) | instskip(SKIP_1) | instid1(VALU_DEP_3)
	v_mul_hi_u32 v21, s0, v16
	v_mul_lo_u32 v23, s38, v16
	v_mul_lo_u32 v22, s0, v20
	s_delay_alu instid0(VALU_DEP_1) | instskip(SKIP_1) | instid1(VALU_DEP_2)
	v_add_nc_u32_e32 v21, v21, v22
	v_mul_lo_u32 v22, s0, v16
	v_add_nc_u32_e32 v21, v21, v23
	s_delay_alu instid0(VALU_DEP_2) | instskip(NEXT) | instid1(VALU_DEP_2)
	v_mul_hi_u32 v23, v16, v22
	v_mul_lo_u32 v24, v16, v21
	v_mul_hi_u32 v25, v16, v21
	v_mul_hi_u32 v26, v20, v22
	v_mul_lo_u32 v22, v20, v22
	v_mul_hi_u32 v27, v20, v21
	v_mul_lo_u32 v21, v20, v21
	v_add_co_u32 v23, vcc_lo, v23, v24
	v_add_co_ci_u32_e32 v24, vcc_lo, 0, v25, vcc_lo
	s_delay_alu instid0(VALU_DEP_2) | instskip(NEXT) | instid1(VALU_DEP_2)
	v_add_co_u32 v22, vcc_lo, v23, v22
	v_add_co_ci_u32_e32 v22, vcc_lo, v24, v26, vcc_lo
	v_add_co_ci_u32_e32 v23, vcc_lo, 0, v27, vcc_lo
	s_delay_alu instid0(VALU_DEP_2) | instskip(NEXT) | instid1(VALU_DEP_2)
	v_add_co_u32 v21, vcc_lo, v22, v21
	v_add_co_ci_u32_e32 v22, vcc_lo, 0, v23, vcc_lo
	s_delay_alu instid0(VALU_DEP_2) | instskip(NEXT) | instid1(VALU_DEP_2)
	v_add_co_u32 v16, vcc_lo, v16, v21
	v_add_co_ci_u32_e32 v26, vcc_lo, v20, v22, vcc_lo
	s_delay_alu instid0(VALU_DEP_2) | instskip(SKIP_1) | instid1(VALU_DEP_3)
	v_mul_hi_u32 v27, v9, v16
	v_mad_u64_u32 v[22:23], null, v10, v16, 0
	v_mad_u64_u32 v[20:21], null, v9, v26, 0
	;; [unrolled: 1-line block ×3, first 2 shown]
	s_delay_alu instid0(VALU_DEP_2) | instskip(NEXT) | instid1(VALU_DEP_3)
	v_add_co_u32 v16, vcc_lo, v27, v20
	v_add_co_ci_u32_e32 v20, vcc_lo, 0, v21, vcc_lo
	s_delay_alu instid0(VALU_DEP_2) | instskip(NEXT) | instid1(VALU_DEP_2)
	v_add_co_u32 v16, vcc_lo, v16, v22
	v_add_co_ci_u32_e32 v16, vcc_lo, v20, v23, vcc_lo
	v_add_co_ci_u32_e32 v20, vcc_lo, 0, v25, vcc_lo
	s_delay_alu instid0(VALU_DEP_2) | instskip(NEXT) | instid1(VALU_DEP_2)
	v_add_co_u32 v16, vcc_lo, v16, v24
	v_add_co_ci_u32_e32 v22, vcc_lo, 0, v20, vcc_lo
	s_delay_alu instid0(VALU_DEP_2) | instskip(SKIP_1) | instid1(VALU_DEP_3)
	v_mul_lo_u32 v23, s27, v16
	v_mad_u64_u32 v[20:21], null, s26, v16, 0
	v_mul_lo_u32 v24, s26, v22
	s_delay_alu instid0(VALU_DEP_2) | instskip(NEXT) | instid1(VALU_DEP_2)
	v_sub_co_u32 v20, vcc_lo, v9, v20
	v_add3_u32 v21, v21, v24, v23
	s_delay_alu instid0(VALU_DEP_1) | instskip(NEXT) | instid1(VALU_DEP_1)
	v_sub_nc_u32_e32 v23, v10, v21
	v_subrev_co_ci_u32_e64 v23, s0, s27, v23, vcc_lo
	v_add_co_u32 v24, s0, v16, 2
	s_delay_alu instid0(VALU_DEP_1) | instskip(SKIP_3) | instid1(VALU_DEP_3)
	v_add_co_ci_u32_e64 v25, s0, 0, v22, s0
	v_sub_co_u32 v26, s0, v20, s26
	v_sub_co_ci_u32_e32 v21, vcc_lo, v10, v21, vcc_lo
	v_subrev_co_ci_u32_e64 v23, s0, 0, v23, s0
	v_cmp_le_u32_e32 vcc_lo, s26, v26
	s_delay_alu instid0(VALU_DEP_3) | instskip(SKIP_1) | instid1(VALU_DEP_4)
	v_cmp_eq_u32_e64 s0, s27, v21
	v_cndmask_b32_e64 v26, 0, -1, vcc_lo
	v_cmp_le_u32_e32 vcc_lo, s27, v23
	v_cndmask_b32_e64 v27, 0, -1, vcc_lo
	v_cmp_le_u32_e32 vcc_lo, s26, v20
	;; [unrolled: 2-line block ×3, first 2 shown]
	v_cndmask_b32_e64 v53, 0, -1, vcc_lo
	v_cmp_eq_u32_e32 vcc_lo, s27, v23
	s_delay_alu instid0(VALU_DEP_2) | instskip(SKIP_3) | instid1(VALU_DEP_3)
	v_cndmask_b32_e64 v20, v53, v20, s0
	v_cndmask_b32_e32 v23, v27, v26, vcc_lo
	v_add_co_u32 v26, vcc_lo, v16, 1
	v_add_co_ci_u32_e32 v27, vcc_lo, 0, v22, vcc_lo
	v_cmp_ne_u32_e32 vcc_lo, 0, v23
	s_delay_alu instid0(VALU_DEP_3) | instskip(NEXT) | instid1(VALU_DEP_3)
	v_cndmask_b32_e32 v23, v26, v24, vcc_lo
	v_cndmask_b32_e32 v21, v27, v25, vcc_lo
	v_cmp_ne_u32_e32 vcc_lo, 0, v20
	s_delay_alu instid0(VALU_DEP_2)
	v_dual_cndmask_b32 v20, v16, v23 :: v_dual_cndmask_b32 v21, v22, v21
.LBB111_23:                             ;   in Loop: Header=BB111_21 Depth=2
	s_and_not1_saveexec_b32 s0, s4
	s_cbranch_execz .LBB111_25
; %bb.24:                               ;   in Loop: Header=BB111_21 Depth=2
	v_cvt_f32_u32_e32 v16, s26
	s_sub_i32 s4, 0, s26
	s_delay_alu instid0(VALU_DEP_1) | instskip(SKIP_2) | instid1(VALU_DEP_1)
	v_rcp_iflag_f32_e32 v16, v16
	s_waitcnt_depctr 0xfff
	v_mul_f32_e32 v16, 0x4f7ffffe, v16
	v_cvt_u32_f32_e32 v16, v16
	s_delay_alu instid0(VALU_DEP_1) | instskip(NEXT) | instid1(VALU_DEP_1)
	v_mul_lo_u32 v20, s4, v16
	v_mul_hi_u32 v20, v16, v20
	s_delay_alu instid0(VALU_DEP_1) | instskip(NEXT) | instid1(VALU_DEP_1)
	v_add_nc_u32_e32 v16, v16, v20
	v_mul_hi_u32 v16, v9, v16
	s_delay_alu instid0(VALU_DEP_1) | instskip(NEXT) | instid1(VALU_DEP_1)
	v_mul_lo_u32 v20, v16, s26
	v_sub_nc_u32_e32 v20, v9, v20
	s_delay_alu instid0(VALU_DEP_1) | instskip(SKIP_1) | instid1(VALU_DEP_2)
	v_subrev_nc_u32_e32 v22, s26, v20
	v_cmp_le_u32_e32 vcc_lo, s26, v20
	v_dual_cndmask_b32 v20, v20, v22 :: v_dual_add_nc_u32 v21, 1, v16
	s_delay_alu instid0(VALU_DEP_1) | instskip(NEXT) | instid1(VALU_DEP_2)
	v_cndmask_b32_e32 v16, v16, v21, vcc_lo
	v_cmp_le_u32_e32 vcc_lo, s26, v20
	s_delay_alu instid0(VALU_DEP_2) | instskip(NEXT) | instid1(VALU_DEP_1)
	v_add_nc_u32_e32 v21, 1, v16
	v_dual_cndmask_b32 v20, v16, v21 :: v_dual_mov_b32 v21, v15
.LBB111_25:                             ;   in Loop: Header=BB111_21 Depth=2
	s_or_b32 exec_lo, exec_lo, s0
	s_load_b64 s[38:39], s[24:25], 0xc8
	s_delay_alu instid0(VALU_DEP_1) | instskip(NEXT) | instid1(VALU_DEP_2)
	v_mul_lo_u32 v16, v21, s26
	v_mul_lo_u32 v24, v20, s27
	v_mad_u64_u32 v[22:23], null, v20, s26, 0
	s_add_i32 s2, s2, -1
	s_add_u32 s24, s24, -8
	s_addc_u32 s25, s25, -1
	s_cmp_gt_u32 s2, 2
	s_delay_alu instid0(VALU_DEP_1) | instskip(NEXT) | instid1(VALU_DEP_2)
	v_add3_u32 v16, v23, v24, v16
	v_sub_co_u32 v22, vcc_lo, v9, v22
	s_delay_alu instid0(VALU_DEP_2) | instskip(SKIP_1) | instid1(VALU_DEP_2)
	v_sub_co_ci_u32_e32 v9, vcc_lo, v10, v16, vcc_lo
	s_waitcnt lgkmcnt(0)
	v_mul_lo_u32 v23, s39, v22
	s_delay_alu instid0(VALU_DEP_2) | instskip(SKIP_1) | instid1(VALU_DEP_1)
	v_mul_lo_u32 v16, s38, v9
	v_mad_u64_u32 v[9:10], null, s38, v22, v[7:8]
	v_add3_u32 v8, v23, v10, v16
	s_delay_alu instid0(VALU_DEP_2)
	v_mov_b32_e32 v7, v9
	s_cbranch_scc0 .LBB111_27
; %bb.26:                               ;   in Loop: Header=BB111_21 Depth=2
	v_dual_mov_b32 v9, v20 :: v_dual_mov_b32 v10, v21
	s_branch .LBB111_21
.LBB111_27:                             ;   in Loop: Header=BB111_9 Depth=1
	v_mul_lo_u32 v16, s15, v20
	v_mul_lo_u32 v21, s14, v21
	v_mad_u64_u32 v[9:10], null, s14, v20, 0
	v_lshlrev_b64 v[7:8], 1, v[7:8]
	s_delay_alu instid0(VALU_DEP_2) | instskip(NEXT) | instid1(VALU_DEP_1)
	v_add3_u32 v10, v10, v21, v16
	v_lshlrev_b64 v[9:10], 1, v[9:10]
	s_delay_alu instid0(VALU_DEP_1) | instskip(NEXT) | instid1(VALU_DEP_2)
	v_add_co_u32 v9, vcc_lo, s16, v9
	v_add_co_ci_u32_e32 v10, vcc_lo, s17, v10, vcc_lo
	s_delay_alu instid0(VALU_DEP_2) | instskip(NEXT) | instid1(VALU_DEP_2)
	v_add_co_u32 v7, vcc_lo, v9, v7
	v_add_co_ci_u32_e32 v8, vcc_lo, v10, v8, vcc_lo
	global_load_u16 v53, v[7:8], off
.LBB111_28:                             ;   in Loop: Header=BB111_9 Depth=1
	s_or_b32 exec_lo, exec_lo, s1
	v_add_co_u32 v20, vcc_lo, v17, s28
	v_add_co_ci_u32_e32 v21, vcc_lo, 0, v18, vcc_lo
	s_delay_alu instid0(VALU_DEP_1) | instskip(NEXT) | instid1(VALU_DEP_1)
	v_cmp_gt_u64_e64 s2, s[6:7], v[20:21]
	s_and_saveexec_b32 s1, s2
	s_cbranch_execz .LBB111_37
; %bb.29:                               ;   in Loop: Header=BB111_9 Depth=1
	v_mov_b32_e32 v7, 0
	v_dual_mov_b32 v8, 0 :: v_dual_mov_b32 v9, v20
	v_mov_b32_e32 v10, v21
	v_dual_mov_b32 v23, v21 :: v_dual_mov_b32 v22, v20
	s_and_not1_b32 vcc_lo, exec_lo, s31
	s_mov_b64 s[24:25], s[20:21]
	s_mov_b32 s4, s35
	s_cbranch_vccnz .LBB111_36
.LBB111_30:                             ;   Parent Loop BB111_9 Depth=1
                                        ; =>  This Inner Loop Header: Depth=2
	s_load_b64 s[26:27], s[24:25], 0x0
                                        ; implicit-def: $vgpr22_vgpr23
	s_mov_b32 s0, exec_lo
	s_waitcnt lgkmcnt(0)
	v_or_b32_e32 v16, s27, v10
	s_delay_alu instid0(VALU_DEP_1)
	v_cmpx_ne_u64_e32 0, v[15:16]
	s_xor_b32 s38, exec_lo, s0
	s_cbranch_execz .LBB111_32
; %bb.31:                               ;   in Loop: Header=BB111_30 Depth=2
	v_cvt_f32_u32_e32 v16, s26
	v_cvt_f32_u32_e32 v22, s27
	s_sub_u32 s0, 0, s26
	s_subb_u32 s39, 0, s27
	s_delay_alu instid0(VALU_DEP_1) | instskip(NEXT) | instid1(VALU_DEP_1)
	v_fmac_f32_e32 v16, 0x4f800000, v22
	v_rcp_f32_e32 v16, v16
	s_waitcnt_depctr 0xfff
	v_mul_f32_e32 v16, 0x5f7ffffc, v16
	s_delay_alu instid0(VALU_DEP_1) | instskip(NEXT) | instid1(VALU_DEP_1)
	v_mul_f32_e32 v22, 0x2f800000, v16
	v_trunc_f32_e32 v22, v22
	s_delay_alu instid0(VALU_DEP_1) | instskip(SKIP_1) | instid1(VALU_DEP_2)
	v_fmac_f32_e32 v16, 0xcf800000, v22
	v_cvt_u32_f32_e32 v22, v22
	v_cvt_u32_f32_e32 v16, v16
	s_delay_alu instid0(VALU_DEP_2) | instskip(NEXT) | instid1(VALU_DEP_2)
	v_mul_lo_u32 v23, s0, v22
	v_mul_hi_u32 v24, s0, v16
	v_mul_lo_u32 v25, s39, v16
	s_delay_alu instid0(VALU_DEP_2) | instskip(SKIP_1) | instid1(VALU_DEP_2)
	v_add_nc_u32_e32 v23, v24, v23
	v_mul_lo_u32 v24, s0, v16
	v_add_nc_u32_e32 v23, v23, v25
	s_delay_alu instid0(VALU_DEP_2) | instskip(NEXT) | instid1(VALU_DEP_2)
	v_mul_hi_u32 v25, v16, v24
	v_mul_lo_u32 v26, v16, v23
	v_mul_hi_u32 v27, v16, v23
	v_mul_hi_u32 v52, v22, v24
	v_mul_lo_u32 v24, v22, v24
	v_mul_hi_u32 v54, v22, v23
	v_mul_lo_u32 v23, v22, v23
	v_add_co_u32 v25, vcc_lo, v25, v26
	v_add_co_ci_u32_e32 v26, vcc_lo, 0, v27, vcc_lo
	s_delay_alu instid0(VALU_DEP_2) | instskip(NEXT) | instid1(VALU_DEP_2)
	v_add_co_u32 v24, vcc_lo, v25, v24
	v_add_co_ci_u32_e32 v24, vcc_lo, v26, v52, vcc_lo
	v_add_co_ci_u32_e32 v25, vcc_lo, 0, v54, vcc_lo
	s_delay_alu instid0(VALU_DEP_2) | instskip(NEXT) | instid1(VALU_DEP_2)
	v_add_co_u32 v23, vcc_lo, v24, v23
	v_add_co_ci_u32_e32 v24, vcc_lo, 0, v25, vcc_lo
	s_delay_alu instid0(VALU_DEP_2) | instskip(NEXT) | instid1(VALU_DEP_2)
	v_add_co_u32 v16, vcc_lo, v16, v23
	v_add_co_ci_u32_e32 v22, vcc_lo, v22, v24, vcc_lo
	s_delay_alu instid0(VALU_DEP_2) | instskip(SKIP_1) | instid1(VALU_DEP_3)
	v_mul_hi_u32 v23, s0, v16
	v_mul_lo_u32 v25, s39, v16
	v_mul_lo_u32 v24, s0, v22
	s_delay_alu instid0(VALU_DEP_1) | instskip(SKIP_1) | instid1(VALU_DEP_2)
	v_add_nc_u32_e32 v23, v23, v24
	v_mul_lo_u32 v24, s0, v16
	v_add_nc_u32_e32 v23, v23, v25
	s_delay_alu instid0(VALU_DEP_2) | instskip(NEXT) | instid1(VALU_DEP_2)
	v_mul_hi_u32 v25, v16, v24
	v_mul_lo_u32 v26, v16, v23
	v_mul_hi_u32 v27, v16, v23
	v_mul_hi_u32 v52, v22, v24
	v_mul_lo_u32 v24, v22, v24
	v_mul_hi_u32 v54, v22, v23
	v_mul_lo_u32 v23, v22, v23
	v_add_co_u32 v25, vcc_lo, v25, v26
	v_add_co_ci_u32_e32 v26, vcc_lo, 0, v27, vcc_lo
	s_delay_alu instid0(VALU_DEP_2) | instskip(NEXT) | instid1(VALU_DEP_2)
	v_add_co_u32 v24, vcc_lo, v25, v24
	v_add_co_ci_u32_e32 v24, vcc_lo, v26, v52, vcc_lo
	v_add_co_ci_u32_e32 v25, vcc_lo, 0, v54, vcc_lo
	s_delay_alu instid0(VALU_DEP_2) | instskip(NEXT) | instid1(VALU_DEP_2)
	v_add_co_u32 v23, vcc_lo, v24, v23
	v_add_co_ci_u32_e32 v24, vcc_lo, 0, v25, vcc_lo
	s_delay_alu instid0(VALU_DEP_2) | instskip(NEXT) | instid1(VALU_DEP_2)
	v_add_co_u32 v16, vcc_lo, v16, v23
	v_add_co_ci_u32_e32 v52, vcc_lo, v22, v24, vcc_lo
	s_delay_alu instid0(VALU_DEP_2) | instskip(SKIP_1) | instid1(VALU_DEP_3)
	v_mul_hi_u32 v54, v9, v16
	v_mad_u64_u32 v[24:25], null, v10, v16, 0
	v_mad_u64_u32 v[22:23], null, v9, v52, 0
	;; [unrolled: 1-line block ×3, first 2 shown]
	s_delay_alu instid0(VALU_DEP_2) | instskip(NEXT) | instid1(VALU_DEP_3)
	v_add_co_u32 v16, vcc_lo, v54, v22
	v_add_co_ci_u32_e32 v22, vcc_lo, 0, v23, vcc_lo
	s_delay_alu instid0(VALU_DEP_2) | instskip(NEXT) | instid1(VALU_DEP_2)
	v_add_co_u32 v16, vcc_lo, v16, v24
	v_add_co_ci_u32_e32 v16, vcc_lo, v22, v25, vcc_lo
	v_add_co_ci_u32_e32 v22, vcc_lo, 0, v27, vcc_lo
	s_delay_alu instid0(VALU_DEP_2) | instskip(NEXT) | instid1(VALU_DEP_2)
	v_add_co_u32 v16, vcc_lo, v16, v26
	v_add_co_ci_u32_e32 v24, vcc_lo, 0, v22, vcc_lo
	s_delay_alu instid0(VALU_DEP_2) | instskip(SKIP_1) | instid1(VALU_DEP_3)
	v_mul_lo_u32 v25, s27, v16
	v_mad_u64_u32 v[22:23], null, s26, v16, 0
	v_mul_lo_u32 v26, s26, v24
	s_delay_alu instid0(VALU_DEP_2) | instskip(NEXT) | instid1(VALU_DEP_2)
	v_sub_co_u32 v22, vcc_lo, v9, v22
	v_add3_u32 v23, v23, v26, v25
	s_delay_alu instid0(VALU_DEP_1) | instskip(NEXT) | instid1(VALU_DEP_1)
	v_sub_nc_u32_e32 v25, v10, v23
	v_subrev_co_ci_u32_e64 v25, s0, s27, v25, vcc_lo
	v_add_co_u32 v26, s0, v16, 2
	s_delay_alu instid0(VALU_DEP_1) | instskip(SKIP_3) | instid1(VALU_DEP_3)
	v_add_co_ci_u32_e64 v27, s0, 0, v24, s0
	v_sub_co_u32 v52, s0, v22, s26
	v_sub_co_ci_u32_e32 v23, vcc_lo, v10, v23, vcc_lo
	v_subrev_co_ci_u32_e64 v25, s0, 0, v25, s0
	v_cmp_le_u32_e32 vcc_lo, s26, v52
	s_delay_alu instid0(VALU_DEP_3) | instskip(SKIP_1) | instid1(VALU_DEP_4)
	v_cmp_eq_u32_e64 s0, s27, v23
	v_cndmask_b32_e64 v52, 0, -1, vcc_lo
	v_cmp_le_u32_e32 vcc_lo, s27, v25
	v_cndmask_b32_e64 v54, 0, -1, vcc_lo
	v_cmp_le_u32_e32 vcc_lo, s26, v22
	;; [unrolled: 2-line block ×3, first 2 shown]
	v_cndmask_b32_e64 v55, 0, -1, vcc_lo
	v_cmp_eq_u32_e32 vcc_lo, s27, v25
	s_delay_alu instid0(VALU_DEP_2) | instskip(SKIP_3) | instid1(VALU_DEP_3)
	v_cndmask_b32_e64 v22, v55, v22, s0
	v_cndmask_b32_e32 v25, v54, v52, vcc_lo
	v_add_co_u32 v52, vcc_lo, v16, 1
	v_add_co_ci_u32_e32 v54, vcc_lo, 0, v24, vcc_lo
	v_cmp_ne_u32_e32 vcc_lo, 0, v25
	s_delay_alu instid0(VALU_DEP_3) | instskip(NEXT) | instid1(VALU_DEP_3)
	v_cndmask_b32_e32 v25, v52, v26, vcc_lo
	v_cndmask_b32_e32 v23, v54, v27, vcc_lo
	v_cmp_ne_u32_e32 vcc_lo, 0, v22
	s_delay_alu instid0(VALU_DEP_3) | instskip(NEXT) | instid1(VALU_DEP_3)
	v_cndmask_b32_e32 v22, v16, v25, vcc_lo
	v_cndmask_b32_e32 v23, v24, v23, vcc_lo
.LBB111_32:                             ;   in Loop: Header=BB111_30 Depth=2
	s_and_not1_saveexec_b32 s0, s38
	s_cbranch_execz .LBB111_34
; %bb.33:                               ;   in Loop: Header=BB111_30 Depth=2
	v_cvt_f32_u32_e32 v16, s26
	s_sub_i32 s38, 0, s26
	s_delay_alu instid0(VALU_DEP_1) | instskip(SKIP_2) | instid1(VALU_DEP_1)
	v_rcp_iflag_f32_e32 v16, v16
	s_waitcnt_depctr 0xfff
	v_mul_f32_e32 v16, 0x4f7ffffe, v16
	v_cvt_u32_f32_e32 v16, v16
	s_delay_alu instid0(VALU_DEP_1) | instskip(NEXT) | instid1(VALU_DEP_1)
	v_mul_lo_u32 v22, s38, v16
	v_mul_hi_u32 v22, v16, v22
	s_delay_alu instid0(VALU_DEP_1) | instskip(NEXT) | instid1(VALU_DEP_1)
	v_add_nc_u32_e32 v16, v16, v22
	v_mul_hi_u32 v16, v9, v16
	s_delay_alu instid0(VALU_DEP_1) | instskip(SKIP_1) | instid1(VALU_DEP_2)
	v_mul_lo_u32 v22, v16, s26
	v_add_nc_u32_e32 v23, 1, v16
	v_sub_nc_u32_e32 v22, v9, v22
	s_delay_alu instid0(VALU_DEP_1) | instskip(SKIP_1) | instid1(VALU_DEP_2)
	v_subrev_nc_u32_e32 v24, s26, v22
	v_cmp_le_u32_e32 vcc_lo, s26, v22
	v_cndmask_b32_e32 v22, v22, v24, vcc_lo
	v_cndmask_b32_e32 v16, v16, v23, vcc_lo
	s_delay_alu instid0(VALU_DEP_2) | instskip(NEXT) | instid1(VALU_DEP_2)
	v_cmp_le_u32_e32 vcc_lo, s26, v22
	v_add_nc_u32_e32 v23, 1, v16
	s_delay_alu instid0(VALU_DEP_1)
	v_dual_cndmask_b32 v22, v16, v23 :: v_dual_mov_b32 v23, v15
.LBB111_34:                             ;   in Loop: Header=BB111_30 Depth=2
	s_or_b32 exec_lo, exec_lo, s0
	s_load_b64 s[38:39], s[24:25], 0xc8
	s_delay_alu instid0(VALU_DEP_1) | instskip(NEXT) | instid1(VALU_DEP_2)
	v_mul_lo_u32 v16, v23, s26
	v_mul_lo_u32 v26, v22, s27
	v_mad_u64_u32 v[24:25], null, v22, s26, 0
	s_add_i32 s4, s4, -1
	s_add_u32 s24, s24, -8
	s_addc_u32 s25, s25, -1
	s_cmp_gt_u32 s4, 2
	s_delay_alu instid0(VALU_DEP_1) | instskip(NEXT) | instid1(VALU_DEP_2)
	v_add3_u32 v16, v25, v26, v16
	v_sub_co_u32 v24, vcc_lo, v9, v24
	s_delay_alu instid0(VALU_DEP_2) | instskip(SKIP_1) | instid1(VALU_DEP_2)
	v_sub_co_ci_u32_e32 v9, vcc_lo, v10, v16, vcc_lo
	s_waitcnt lgkmcnt(0)
	v_mul_lo_u32 v25, s39, v24
	s_delay_alu instid0(VALU_DEP_2) | instskip(SKIP_1) | instid1(VALU_DEP_1)
	v_mul_lo_u32 v16, s38, v9
	v_mad_u64_u32 v[9:10], null, s38, v24, v[7:8]
	v_add3_u32 v8, v25, v10, v16
	s_delay_alu instid0(VALU_DEP_2)
	v_mov_b32_e32 v7, v9
	s_cbranch_scc0 .LBB111_36
; %bb.35:                               ;   in Loop: Header=BB111_30 Depth=2
	v_dual_mov_b32 v9, v22 :: v_dual_mov_b32 v10, v23
	s_branch .LBB111_30
.LBB111_36:                             ;   in Loop: Header=BB111_9 Depth=1
	v_mul_lo_u32 v16, s15, v22
	v_mul_lo_u32 v23, s14, v23
	v_mad_u64_u32 v[9:10], null, s14, v22, 0
	v_lshlrev_b64 v[7:8], 1, v[7:8]
	s_delay_alu instid0(VALU_DEP_2) | instskip(NEXT) | instid1(VALU_DEP_1)
	v_add3_u32 v10, v10, v23, v16
	v_lshlrev_b64 v[9:10], 1, v[9:10]
	s_delay_alu instid0(VALU_DEP_1) | instskip(NEXT) | instid1(VALU_DEP_2)
	v_add_co_u32 v9, vcc_lo, s16, v9
	v_add_co_ci_u32_e32 v10, vcc_lo, s17, v10, vcc_lo
	s_delay_alu instid0(VALU_DEP_2) | instskip(NEXT) | instid1(VALU_DEP_2)
	v_add_co_u32 v7, vcc_lo, v9, v7
	v_add_co_ci_u32_e32 v8, vcc_lo, v10, v8, vcc_lo
	global_load_u16 v52, v[7:8], off
.LBB111_37:                             ;   in Loop: Header=BB111_9 Depth=1
	s_or_b32 exec_lo, exec_lo, s1
	v_add_co_u32 v9, vcc_lo, v17, s34
	v_add_co_ci_u32_e32 v10, vcc_lo, 0, v18, vcc_lo
	s_delay_alu instid0(VALU_DEP_1) | instskip(NEXT) | instid1(VALU_DEP_1)
	v_cmp_gt_u64_e64 s1, s[6:7], v[9:10]
	s_and_saveexec_b32 s4, s1
	s_cbranch_execz .LBB111_46
; %bb.38:                               ;   in Loop: Header=BB111_9 Depth=1
	v_mov_b32_e32 v7, 0
	v_dual_mov_b32 v8, 0 :: v_dual_mov_b32 v23, v10
	v_dual_mov_b32 v22, v9 :: v_dual_mov_b32 v25, v10
	v_mov_b32_e32 v24, v9
	s_and_not1_b32 vcc_lo, exec_lo, s31
	s_mov_b64 s[24:25], s[20:21]
	s_mov_b32 s38, s35
	s_cbranch_vccnz .LBB111_45
.LBB111_39:                             ;   Parent Loop BB111_9 Depth=1
                                        ; =>  This Inner Loop Header: Depth=2
	s_load_b64 s[26:27], s[24:25], 0x0
                                        ; implicit-def: $vgpr24_vgpr25
	s_mov_b32 s0, exec_lo
	s_waitcnt lgkmcnt(0)
	v_or_b32_e32 v16, s27, v23
	s_delay_alu instid0(VALU_DEP_1)
	v_cmpx_ne_u64_e32 0, v[15:16]
	s_xor_b32 s39, exec_lo, s0
	s_cbranch_execz .LBB111_41
; %bb.40:                               ;   in Loop: Header=BB111_39 Depth=2
	v_cvt_f32_u32_e32 v16, s26
	v_cvt_f32_u32_e32 v24, s27
	s_sub_u32 s0, 0, s26
	s_subb_u32 s40, 0, s27
	s_delay_alu instid0(VALU_DEP_1) | instskip(NEXT) | instid1(VALU_DEP_1)
	v_fmac_f32_e32 v16, 0x4f800000, v24
	v_rcp_f32_e32 v16, v16
	s_waitcnt_depctr 0xfff
	v_mul_f32_e32 v16, 0x5f7ffffc, v16
	s_delay_alu instid0(VALU_DEP_1) | instskip(NEXT) | instid1(VALU_DEP_1)
	v_mul_f32_e32 v24, 0x2f800000, v16
	v_trunc_f32_e32 v24, v24
	s_delay_alu instid0(VALU_DEP_1) | instskip(SKIP_1) | instid1(VALU_DEP_2)
	v_fmac_f32_e32 v16, 0xcf800000, v24
	v_cvt_u32_f32_e32 v24, v24
	v_cvt_u32_f32_e32 v16, v16
	s_delay_alu instid0(VALU_DEP_2) | instskip(NEXT) | instid1(VALU_DEP_2)
	v_mul_lo_u32 v25, s0, v24
	v_mul_hi_u32 v26, s0, v16
	v_mul_lo_u32 v27, s40, v16
	s_delay_alu instid0(VALU_DEP_2) | instskip(SKIP_1) | instid1(VALU_DEP_2)
	v_add_nc_u32_e32 v25, v26, v25
	v_mul_lo_u32 v26, s0, v16
	v_add_nc_u32_e32 v25, v25, v27
	s_delay_alu instid0(VALU_DEP_2) | instskip(NEXT) | instid1(VALU_DEP_2)
	v_mul_hi_u32 v27, v16, v26
	v_mul_lo_u32 v51, v16, v25
	v_mul_hi_u32 v54, v16, v25
	v_mul_hi_u32 v55, v24, v26
	v_mul_lo_u32 v26, v24, v26
	v_mul_hi_u32 v56, v24, v25
	v_mul_lo_u32 v25, v24, v25
	v_add_co_u32 v27, vcc_lo, v27, v51
	v_add_co_ci_u32_e32 v51, vcc_lo, 0, v54, vcc_lo
	s_delay_alu instid0(VALU_DEP_2) | instskip(NEXT) | instid1(VALU_DEP_2)
	v_add_co_u32 v26, vcc_lo, v27, v26
	v_add_co_ci_u32_e32 v26, vcc_lo, v51, v55, vcc_lo
	v_add_co_ci_u32_e32 v27, vcc_lo, 0, v56, vcc_lo
	s_delay_alu instid0(VALU_DEP_2) | instskip(NEXT) | instid1(VALU_DEP_2)
	v_add_co_u32 v25, vcc_lo, v26, v25
	v_add_co_ci_u32_e32 v26, vcc_lo, 0, v27, vcc_lo
	s_delay_alu instid0(VALU_DEP_2) | instskip(NEXT) | instid1(VALU_DEP_2)
	v_add_co_u32 v16, vcc_lo, v16, v25
	v_add_co_ci_u32_e32 v24, vcc_lo, v24, v26, vcc_lo
	s_delay_alu instid0(VALU_DEP_2) | instskip(SKIP_1) | instid1(VALU_DEP_3)
	v_mul_hi_u32 v25, s0, v16
	v_mul_lo_u32 v27, s40, v16
	v_mul_lo_u32 v26, s0, v24
	s_delay_alu instid0(VALU_DEP_1) | instskip(SKIP_1) | instid1(VALU_DEP_2)
	v_add_nc_u32_e32 v25, v25, v26
	v_mul_lo_u32 v26, s0, v16
	v_add_nc_u32_e32 v25, v25, v27
	s_delay_alu instid0(VALU_DEP_2) | instskip(NEXT) | instid1(VALU_DEP_2)
	v_mul_hi_u32 v27, v16, v26
	v_mul_lo_u32 v51, v16, v25
	v_mul_hi_u32 v54, v16, v25
	v_mul_hi_u32 v55, v24, v26
	v_mul_lo_u32 v26, v24, v26
	v_mul_hi_u32 v56, v24, v25
	v_mul_lo_u32 v25, v24, v25
	v_add_co_u32 v27, vcc_lo, v27, v51
	v_add_co_ci_u32_e32 v51, vcc_lo, 0, v54, vcc_lo
	s_delay_alu instid0(VALU_DEP_2) | instskip(NEXT) | instid1(VALU_DEP_2)
	v_add_co_u32 v26, vcc_lo, v27, v26
	v_add_co_ci_u32_e32 v26, vcc_lo, v51, v55, vcc_lo
	v_add_co_ci_u32_e32 v27, vcc_lo, 0, v56, vcc_lo
	s_delay_alu instid0(VALU_DEP_2) | instskip(NEXT) | instid1(VALU_DEP_2)
	v_add_co_u32 v25, vcc_lo, v26, v25
	v_add_co_ci_u32_e32 v26, vcc_lo, 0, v27, vcc_lo
	s_delay_alu instid0(VALU_DEP_2) | instskip(NEXT) | instid1(VALU_DEP_2)
	v_add_co_u32 v16, vcc_lo, v16, v25
	v_add_co_ci_u32_e32 v51, vcc_lo, v24, v26, vcc_lo
	s_delay_alu instid0(VALU_DEP_2) | instskip(SKIP_1) | instid1(VALU_DEP_3)
	v_mul_hi_u32 v56, v22, v16
	v_mad_u64_u32 v[26:27], null, v23, v16, 0
	v_mad_u64_u32 v[24:25], null, v22, v51, 0
	;; [unrolled: 1-line block ×3, first 2 shown]
	s_delay_alu instid0(VALU_DEP_2) | instskip(NEXT) | instid1(VALU_DEP_3)
	v_add_co_u32 v16, vcc_lo, v56, v24
	v_add_co_ci_u32_e32 v24, vcc_lo, 0, v25, vcc_lo
	s_delay_alu instid0(VALU_DEP_2) | instskip(NEXT) | instid1(VALU_DEP_2)
	v_add_co_u32 v16, vcc_lo, v16, v26
	v_add_co_ci_u32_e32 v16, vcc_lo, v24, v27, vcc_lo
	v_add_co_ci_u32_e32 v24, vcc_lo, 0, v55, vcc_lo
	s_delay_alu instid0(VALU_DEP_2) | instskip(NEXT) | instid1(VALU_DEP_2)
	v_add_co_u32 v16, vcc_lo, v16, v54
	v_add_co_ci_u32_e32 v26, vcc_lo, 0, v24, vcc_lo
	s_delay_alu instid0(VALU_DEP_2) | instskip(SKIP_1) | instid1(VALU_DEP_3)
	v_mul_lo_u32 v27, s27, v16
	v_mad_u64_u32 v[24:25], null, s26, v16, 0
	v_mul_lo_u32 v51, s26, v26
	s_delay_alu instid0(VALU_DEP_2) | instskip(NEXT) | instid1(VALU_DEP_2)
	v_sub_co_u32 v24, vcc_lo, v22, v24
	v_add3_u32 v25, v25, v51, v27
	s_delay_alu instid0(VALU_DEP_1) | instskip(NEXT) | instid1(VALU_DEP_1)
	v_sub_nc_u32_e32 v27, v23, v25
	v_subrev_co_ci_u32_e64 v27, s0, s27, v27, vcc_lo
	v_add_co_u32 v51, s0, v16, 2
	s_delay_alu instid0(VALU_DEP_1) | instskip(SKIP_3) | instid1(VALU_DEP_3)
	v_add_co_ci_u32_e64 v54, s0, 0, v26, s0
	v_sub_co_u32 v55, s0, v24, s26
	v_sub_co_ci_u32_e32 v25, vcc_lo, v23, v25, vcc_lo
	v_subrev_co_ci_u32_e64 v27, s0, 0, v27, s0
	v_cmp_le_u32_e32 vcc_lo, s26, v55
	s_delay_alu instid0(VALU_DEP_3) | instskip(SKIP_1) | instid1(VALU_DEP_4)
	v_cmp_eq_u32_e64 s0, s27, v25
	v_cndmask_b32_e64 v55, 0, -1, vcc_lo
	v_cmp_le_u32_e32 vcc_lo, s27, v27
	v_cndmask_b32_e64 v56, 0, -1, vcc_lo
	v_cmp_le_u32_e32 vcc_lo, s26, v24
	;; [unrolled: 2-line block ×3, first 2 shown]
	v_cndmask_b32_e64 v57, 0, -1, vcc_lo
	v_cmp_eq_u32_e32 vcc_lo, s27, v27
	s_delay_alu instid0(VALU_DEP_2) | instskip(SKIP_3) | instid1(VALU_DEP_3)
	v_cndmask_b32_e64 v24, v57, v24, s0
	v_cndmask_b32_e32 v27, v56, v55, vcc_lo
	v_add_co_u32 v55, vcc_lo, v16, 1
	v_add_co_ci_u32_e32 v56, vcc_lo, 0, v26, vcc_lo
	v_cmp_ne_u32_e32 vcc_lo, 0, v27
	s_delay_alu instid0(VALU_DEP_2) | instskip(NEXT) | instid1(VALU_DEP_4)
	v_cndmask_b32_e32 v25, v56, v54, vcc_lo
	v_cndmask_b32_e32 v27, v55, v51, vcc_lo
	v_cmp_ne_u32_e32 vcc_lo, 0, v24
	s_delay_alu instid0(VALU_DEP_2)
	v_dual_cndmask_b32 v25, v26, v25 :: v_dual_cndmask_b32 v24, v16, v27
.LBB111_41:                             ;   in Loop: Header=BB111_39 Depth=2
	s_and_not1_saveexec_b32 s0, s39
	s_cbranch_execz .LBB111_43
; %bb.42:                               ;   in Loop: Header=BB111_39 Depth=2
	v_cvt_f32_u32_e32 v16, s26
	s_sub_i32 s39, 0, s26
	s_delay_alu instid0(VALU_DEP_1) | instskip(SKIP_2) | instid1(VALU_DEP_1)
	v_rcp_iflag_f32_e32 v16, v16
	s_waitcnt_depctr 0xfff
	v_mul_f32_e32 v16, 0x4f7ffffe, v16
	v_cvt_u32_f32_e32 v16, v16
	s_delay_alu instid0(VALU_DEP_1) | instskip(NEXT) | instid1(VALU_DEP_1)
	v_mul_lo_u32 v24, s39, v16
	v_mul_hi_u32 v24, v16, v24
	s_delay_alu instid0(VALU_DEP_1) | instskip(NEXT) | instid1(VALU_DEP_1)
	v_add_nc_u32_e32 v16, v16, v24
	v_mul_hi_u32 v16, v22, v16
	s_delay_alu instid0(VALU_DEP_1) | instskip(NEXT) | instid1(VALU_DEP_1)
	v_mul_lo_u32 v24, v16, s26
	v_sub_nc_u32_e32 v24, v22, v24
	s_delay_alu instid0(VALU_DEP_1) | instskip(SKIP_1) | instid1(VALU_DEP_2)
	v_subrev_nc_u32_e32 v26, s26, v24
	v_cmp_le_u32_e32 vcc_lo, s26, v24
	v_dual_cndmask_b32 v24, v24, v26 :: v_dual_add_nc_u32 v25, 1, v16
	s_delay_alu instid0(VALU_DEP_1) | instskip(NEXT) | instid1(VALU_DEP_2)
	v_cndmask_b32_e32 v16, v16, v25, vcc_lo
	v_cmp_le_u32_e32 vcc_lo, s26, v24
	s_delay_alu instid0(VALU_DEP_2) | instskip(NEXT) | instid1(VALU_DEP_1)
	v_add_nc_u32_e32 v25, 1, v16
	v_dual_cndmask_b32 v24, v16, v25 :: v_dual_mov_b32 v25, v15
.LBB111_43:                             ;   in Loop: Header=BB111_39 Depth=2
	s_or_b32 exec_lo, exec_lo, s0
	s_load_b64 s[40:41], s[24:25], 0xc8
	s_delay_alu instid0(VALU_DEP_1) | instskip(NEXT) | instid1(VALU_DEP_2)
	v_mul_lo_u32 v16, v25, s26
	v_mul_lo_u32 v51, v24, s27
	v_mad_u64_u32 v[26:27], null, v24, s26, 0
	s_add_i32 s38, s38, -1
	s_add_u32 s24, s24, -8
	s_addc_u32 s25, s25, -1
	s_cmp_gt_u32 s38, 2
	s_delay_alu instid0(VALU_DEP_1) | instskip(NEXT) | instid1(VALU_DEP_2)
	v_add3_u32 v16, v27, v51, v16
	v_sub_co_u32 v26, vcc_lo, v22, v26
	s_delay_alu instid0(VALU_DEP_2) | instskip(SKIP_1) | instid1(VALU_DEP_2)
	v_sub_co_ci_u32_e32 v16, vcc_lo, v23, v16, vcc_lo
	s_waitcnt lgkmcnt(0)
	v_mul_lo_u32 v27, s41, v26
	s_delay_alu instid0(VALU_DEP_2) | instskip(SKIP_1) | instid1(VALU_DEP_1)
	v_mul_lo_u32 v16, s40, v16
	v_mad_u64_u32 v[22:23], null, s40, v26, v[7:8]
	v_add3_u32 v8, v27, v23, v16
	s_delay_alu instid0(VALU_DEP_2)
	v_mov_b32_e32 v7, v22
	s_cbranch_scc0 .LBB111_45
; %bb.44:                               ;   in Loop: Header=BB111_39 Depth=2
	v_dual_mov_b32 v22, v24 :: v_dual_mov_b32 v23, v25
	s_branch .LBB111_39
.LBB111_45:                             ;   in Loop: Header=BB111_9 Depth=1
	v_mul_lo_u32 v16, s15, v24
	v_mul_lo_u32 v25, s14, v25
	v_mad_u64_u32 v[22:23], null, s14, v24, 0
	v_lshlrev_b64 v[7:8], 1, v[7:8]
	s_delay_alu instid0(VALU_DEP_2) | instskip(NEXT) | instid1(VALU_DEP_1)
	v_add3_u32 v23, v23, v25, v16
	v_lshlrev_b64 v[22:23], 1, v[22:23]
	s_delay_alu instid0(VALU_DEP_1) | instskip(NEXT) | instid1(VALU_DEP_2)
	v_add_co_u32 v16, vcc_lo, s16, v22
	v_add_co_ci_u32_e32 v22, vcc_lo, s17, v23, vcc_lo
	s_delay_alu instid0(VALU_DEP_2) | instskip(NEXT) | instid1(VALU_DEP_2)
	v_add_co_u32 v7, vcc_lo, v16, v7
	v_add_co_ci_u32_e32 v8, vcc_lo, v22, v8, vcc_lo
	global_load_u16 v51, v[7:8], off
.LBB111_46:                             ;   in Loop: Header=BB111_9 Depth=1
	s_or_b32 exec_lo, exec_lo, s4
	v_add_co_u32 v7, vcc_lo, v17, s36
	v_add_co_ci_u32_e32 v8, vcc_lo, 0, v18, vcc_lo
	s_delay_alu instid0(VALU_DEP_1) | instskip(NEXT) | instid1(VALU_DEP_1)
	v_cmp_gt_u64_e64 s0, s[6:7], v[7:8]
	s_and_saveexec_b32 s38, s0
	s_cbranch_execnz .LBB111_51
; %bb.47:                               ;   in Loop: Header=BB111_9 Depth=1
	s_or_b32 exec_lo, exec_lo, s38
	s_and_saveexec_b32 s4, s3
	s_cbranch_execnz .LBB111_59
.LBB111_48:                             ;   in Loop: Header=BB111_9 Depth=1
	s_or_b32 exec_lo, exec_lo, s4
	s_and_saveexec_b32 s3, s2
	s_cbranch_execnz .LBB111_67
.LBB111_49:                             ;   in Loop: Header=BB111_9 Depth=1
	s_or_b32 exec_lo, exec_lo, s3
	s_and_saveexec_b32 s4, s1
	s_cbranch_execnz .LBB111_69
.LBB111_50:                             ;   in Loop: Header=BB111_9 Depth=1
	s_or_b32 exec_lo, exec_lo, s4
	s_and_saveexec_b32 s1, s0
	s_cbranch_execz .LBB111_8
	s_branch .LBB111_71
.LBB111_51:                             ;   in Loop: Header=BB111_9 Depth=1
	v_dual_mov_b32 v22, 0 :: v_dual_mov_b32 v25, v8
	v_dual_mov_b32 v23, 0 :: v_dual_mov_b32 v24, v7
	;; [unrolled: 1-line block ×3, first 2 shown]
	s_and_not1_b32 vcc_lo, exec_lo, s31
	s_mov_b64 s[24:25], s[20:21]
	s_mov_b32 s39, s35
	s_cbranch_vccnz .LBB111_58
.LBB111_52:                             ;   Parent Loop BB111_9 Depth=1
                                        ; =>  This Inner Loop Header: Depth=2
	s_load_b64 s[26:27], s[24:25], 0x0
                                        ; implicit-def: $vgpr26_vgpr27
	s_mov_b32 s4, exec_lo
	s_waitcnt lgkmcnt(0)
	v_or_b32_e32 v16, s27, v25
	s_delay_alu instid0(VALU_DEP_1)
	v_cmpx_ne_u64_e32 0, v[15:16]
	s_xor_b32 s40, exec_lo, s4
	s_cbranch_execz .LBB111_54
; %bb.53:                               ;   in Loop: Header=BB111_52 Depth=2
	v_cvt_f32_u32_e32 v16, s26
	v_cvt_f32_u32_e32 v26, s27
	s_sub_u32 s4, 0, s26
	s_subb_u32 s41, 0, s27
	s_delay_alu instid0(VALU_DEP_1) | instskip(NEXT) | instid1(VALU_DEP_1)
	v_fmac_f32_e32 v16, 0x4f800000, v26
	v_rcp_f32_e32 v16, v16
	s_waitcnt_depctr 0xfff
	v_mul_f32_e32 v16, 0x5f7ffffc, v16
	s_delay_alu instid0(VALU_DEP_1) | instskip(NEXT) | instid1(VALU_DEP_1)
	v_mul_f32_e32 v26, 0x2f800000, v16
	v_trunc_f32_e32 v26, v26
	s_delay_alu instid0(VALU_DEP_1) | instskip(SKIP_1) | instid1(VALU_DEP_2)
	v_fmac_f32_e32 v16, 0xcf800000, v26
	v_cvt_u32_f32_e32 v26, v26
	v_cvt_u32_f32_e32 v16, v16
	s_delay_alu instid0(VALU_DEP_2) | instskip(NEXT) | instid1(VALU_DEP_2)
	v_mul_lo_u32 v27, s4, v26
	v_mul_hi_u32 v50, s4, v16
	v_mul_lo_u32 v54, s41, v16
	s_delay_alu instid0(VALU_DEP_2) | instskip(SKIP_1) | instid1(VALU_DEP_2)
	v_add_nc_u32_e32 v27, v50, v27
	v_mul_lo_u32 v50, s4, v16
	v_add_nc_u32_e32 v27, v27, v54
	s_delay_alu instid0(VALU_DEP_2) | instskip(NEXT) | instid1(VALU_DEP_2)
	v_mul_hi_u32 v54, v16, v50
	v_mul_lo_u32 v55, v16, v27
	v_mul_hi_u32 v56, v16, v27
	v_mul_hi_u32 v57, v26, v50
	v_mul_lo_u32 v50, v26, v50
	v_mul_hi_u32 v58, v26, v27
	v_mul_lo_u32 v27, v26, v27
	v_add_co_u32 v54, vcc_lo, v54, v55
	v_add_co_ci_u32_e32 v55, vcc_lo, 0, v56, vcc_lo
	s_delay_alu instid0(VALU_DEP_2) | instskip(NEXT) | instid1(VALU_DEP_2)
	v_add_co_u32 v50, vcc_lo, v54, v50
	v_add_co_ci_u32_e32 v50, vcc_lo, v55, v57, vcc_lo
	v_add_co_ci_u32_e32 v54, vcc_lo, 0, v58, vcc_lo
	s_delay_alu instid0(VALU_DEP_2) | instskip(NEXT) | instid1(VALU_DEP_2)
	v_add_co_u32 v27, vcc_lo, v50, v27
	v_add_co_ci_u32_e32 v50, vcc_lo, 0, v54, vcc_lo
	s_delay_alu instid0(VALU_DEP_2) | instskip(NEXT) | instid1(VALU_DEP_2)
	v_add_co_u32 v16, vcc_lo, v16, v27
	v_add_co_ci_u32_e32 v26, vcc_lo, v26, v50, vcc_lo
	s_delay_alu instid0(VALU_DEP_2) | instskip(SKIP_1) | instid1(VALU_DEP_3)
	v_mul_hi_u32 v27, s4, v16
	v_mul_lo_u32 v54, s41, v16
	v_mul_lo_u32 v50, s4, v26
	s_delay_alu instid0(VALU_DEP_1) | instskip(SKIP_1) | instid1(VALU_DEP_2)
	v_add_nc_u32_e32 v27, v27, v50
	v_mul_lo_u32 v50, s4, v16
	v_add_nc_u32_e32 v27, v27, v54
	s_delay_alu instid0(VALU_DEP_2) | instskip(NEXT) | instid1(VALU_DEP_2)
	v_mul_hi_u32 v54, v16, v50
	v_mul_lo_u32 v55, v16, v27
	v_mul_hi_u32 v56, v16, v27
	v_mul_hi_u32 v57, v26, v50
	v_mul_lo_u32 v50, v26, v50
	v_mul_hi_u32 v58, v26, v27
	v_mul_lo_u32 v27, v26, v27
	v_add_co_u32 v54, vcc_lo, v54, v55
	v_add_co_ci_u32_e32 v55, vcc_lo, 0, v56, vcc_lo
	s_delay_alu instid0(VALU_DEP_2) | instskip(NEXT) | instid1(VALU_DEP_2)
	v_add_co_u32 v50, vcc_lo, v54, v50
	v_add_co_ci_u32_e32 v50, vcc_lo, v55, v57, vcc_lo
	v_add_co_ci_u32_e32 v54, vcc_lo, 0, v58, vcc_lo
	s_delay_alu instid0(VALU_DEP_2) | instskip(NEXT) | instid1(VALU_DEP_2)
	v_add_co_u32 v27, vcc_lo, v50, v27
	v_add_co_ci_u32_e32 v50, vcc_lo, 0, v54, vcc_lo
	s_delay_alu instid0(VALU_DEP_2) | instskip(NEXT) | instid1(VALU_DEP_2)
	v_add_co_u32 v16, vcc_lo, v16, v27
	v_add_co_ci_u32_e32 v50, vcc_lo, v26, v50, vcc_lo
	s_delay_alu instid0(VALU_DEP_2) | instskip(SKIP_1) | instid1(VALU_DEP_3)
	v_mul_hi_u32 v58, v24, v16
	v_mad_u64_u32 v[54:55], null, v25, v16, 0
	v_mad_u64_u32 v[26:27], null, v24, v50, 0
	;; [unrolled: 1-line block ×3, first 2 shown]
	s_delay_alu instid0(VALU_DEP_2) | instskip(NEXT) | instid1(VALU_DEP_3)
	v_add_co_u32 v16, vcc_lo, v58, v26
	v_add_co_ci_u32_e32 v26, vcc_lo, 0, v27, vcc_lo
	s_delay_alu instid0(VALU_DEP_2) | instskip(NEXT) | instid1(VALU_DEP_2)
	v_add_co_u32 v16, vcc_lo, v16, v54
	v_add_co_ci_u32_e32 v16, vcc_lo, v26, v55, vcc_lo
	v_add_co_ci_u32_e32 v26, vcc_lo, 0, v57, vcc_lo
	s_delay_alu instid0(VALU_DEP_2) | instskip(NEXT) | instid1(VALU_DEP_2)
	v_add_co_u32 v16, vcc_lo, v16, v56
	v_add_co_ci_u32_e32 v50, vcc_lo, 0, v26, vcc_lo
	s_delay_alu instid0(VALU_DEP_2) | instskip(SKIP_1) | instid1(VALU_DEP_3)
	v_mul_lo_u32 v54, s27, v16
	v_mad_u64_u32 v[26:27], null, s26, v16, 0
	v_mul_lo_u32 v55, s26, v50
	s_delay_alu instid0(VALU_DEP_2) | instskip(NEXT) | instid1(VALU_DEP_2)
	v_sub_co_u32 v26, vcc_lo, v24, v26
	v_add3_u32 v27, v27, v55, v54
	s_delay_alu instid0(VALU_DEP_1) | instskip(NEXT) | instid1(VALU_DEP_1)
	v_sub_nc_u32_e32 v54, v25, v27
	v_subrev_co_ci_u32_e64 v54, s4, s27, v54, vcc_lo
	v_add_co_u32 v55, s4, v16, 2
	s_delay_alu instid0(VALU_DEP_1) | instskip(SKIP_3) | instid1(VALU_DEP_3)
	v_add_co_ci_u32_e64 v56, s4, 0, v50, s4
	v_sub_co_u32 v57, s4, v26, s26
	v_sub_co_ci_u32_e32 v27, vcc_lo, v25, v27, vcc_lo
	v_subrev_co_ci_u32_e64 v54, s4, 0, v54, s4
	v_cmp_le_u32_e32 vcc_lo, s26, v57
	s_delay_alu instid0(VALU_DEP_3) | instskip(SKIP_1) | instid1(VALU_DEP_4)
	v_cmp_eq_u32_e64 s4, s27, v27
	v_cndmask_b32_e64 v57, 0, -1, vcc_lo
	v_cmp_le_u32_e32 vcc_lo, s27, v54
	v_cndmask_b32_e64 v58, 0, -1, vcc_lo
	v_cmp_le_u32_e32 vcc_lo, s26, v26
	;; [unrolled: 2-line block ×3, first 2 shown]
	v_cndmask_b32_e64 v59, 0, -1, vcc_lo
	v_cmp_eq_u32_e32 vcc_lo, s27, v54
	s_delay_alu instid0(VALU_DEP_2) | instskip(SKIP_3) | instid1(VALU_DEP_3)
	v_cndmask_b32_e64 v26, v59, v26, s4
	v_cndmask_b32_e32 v54, v58, v57, vcc_lo
	v_add_co_u32 v57, vcc_lo, v16, 1
	v_add_co_ci_u32_e32 v58, vcc_lo, 0, v50, vcc_lo
	v_cmp_ne_u32_e32 vcc_lo, 0, v54
	s_delay_alu instid0(VALU_DEP_2) | instskip(SKIP_1) | instid1(VALU_DEP_2)
	v_dual_cndmask_b32 v27, v58, v56 :: v_dual_cndmask_b32 v54, v57, v55
	v_cmp_ne_u32_e32 vcc_lo, 0, v26
	v_dual_cndmask_b32 v27, v50, v27 :: v_dual_cndmask_b32 v26, v16, v54
.LBB111_54:                             ;   in Loop: Header=BB111_52 Depth=2
	s_and_not1_saveexec_b32 s4, s40
	s_cbranch_execz .LBB111_56
; %bb.55:                               ;   in Loop: Header=BB111_52 Depth=2
	v_cvt_f32_u32_e32 v16, s26
	s_sub_i32 s40, 0, s26
	s_delay_alu instid0(VALU_DEP_1) | instskip(SKIP_2) | instid1(VALU_DEP_1)
	v_rcp_iflag_f32_e32 v16, v16
	s_waitcnt_depctr 0xfff
	v_mul_f32_e32 v16, 0x4f7ffffe, v16
	v_cvt_u32_f32_e32 v16, v16
	s_delay_alu instid0(VALU_DEP_1) | instskip(NEXT) | instid1(VALU_DEP_1)
	v_mul_lo_u32 v26, s40, v16
	v_mul_hi_u32 v26, v16, v26
	s_delay_alu instid0(VALU_DEP_1) | instskip(NEXT) | instid1(VALU_DEP_1)
	v_add_nc_u32_e32 v16, v16, v26
	v_mul_hi_u32 v16, v24, v16
	s_delay_alu instid0(VALU_DEP_1) | instskip(NEXT) | instid1(VALU_DEP_1)
	v_mul_lo_u32 v26, v16, s26
	v_sub_nc_u32_e32 v26, v24, v26
	s_delay_alu instid0(VALU_DEP_1) | instskip(SKIP_1) | instid1(VALU_DEP_2)
	v_subrev_nc_u32_e32 v50, s26, v26
	v_cmp_le_u32_e32 vcc_lo, s26, v26
	v_dual_cndmask_b32 v26, v26, v50 :: v_dual_add_nc_u32 v27, 1, v16
	s_delay_alu instid0(VALU_DEP_1) | instskip(NEXT) | instid1(VALU_DEP_2)
	v_cndmask_b32_e32 v16, v16, v27, vcc_lo
	v_cmp_le_u32_e32 vcc_lo, s26, v26
	s_delay_alu instid0(VALU_DEP_2) | instskip(NEXT) | instid1(VALU_DEP_1)
	v_add_nc_u32_e32 v27, 1, v16
	v_dual_cndmask_b32 v26, v16, v27 :: v_dual_mov_b32 v27, v15
.LBB111_56:                             ;   in Loop: Header=BB111_52 Depth=2
	s_or_b32 exec_lo, exec_lo, s4
	s_load_b64 s[40:41], s[24:25], 0xc8
	s_delay_alu instid0(VALU_DEP_1) | instskip(NEXT) | instid1(VALU_DEP_2)
	v_mul_lo_u32 v16, v27, s26
	v_mul_lo_u32 v50, v26, s27
	v_mad_u64_u32 v[54:55], null, v26, s26, 0
	s_add_i32 s39, s39, -1
	s_add_u32 s24, s24, -8
	s_addc_u32 s25, s25, -1
	s_cmp_gt_u32 s39, 2
	s_delay_alu instid0(VALU_DEP_1) | instskip(NEXT) | instid1(VALU_DEP_2)
	v_add3_u32 v16, v55, v50, v16
	v_sub_co_u32 v50, vcc_lo, v24, v54
	s_delay_alu instid0(VALU_DEP_2) | instskip(SKIP_1) | instid1(VALU_DEP_2)
	v_sub_co_ci_u32_e32 v16, vcc_lo, v25, v16, vcc_lo
	s_waitcnt lgkmcnt(0)
	v_mul_lo_u32 v54, s41, v50
	s_delay_alu instid0(VALU_DEP_2) | instskip(SKIP_1) | instid1(VALU_DEP_1)
	v_mul_lo_u32 v16, s40, v16
	v_mad_u64_u32 v[24:25], null, s40, v50, v[22:23]
	v_add3_u32 v23, v54, v25, v16
	s_delay_alu instid0(VALU_DEP_2)
	v_mov_b32_e32 v22, v24
	s_cbranch_scc0 .LBB111_58
; %bb.57:                               ;   in Loop: Header=BB111_52 Depth=2
	v_dual_mov_b32 v24, v26 :: v_dual_mov_b32 v25, v27
	s_branch .LBB111_52
.LBB111_58:                             ;   in Loop: Header=BB111_9 Depth=1
	v_mul_lo_u32 v16, s15, v26
	v_mul_lo_u32 v27, s14, v27
	v_mad_u64_u32 v[24:25], null, s14, v26, 0
	v_lshlrev_b64 v[22:23], 1, v[22:23]
	s_delay_alu instid0(VALU_DEP_2) | instskip(NEXT) | instid1(VALU_DEP_1)
	v_add3_u32 v25, v25, v27, v16
	v_lshlrev_b64 v[24:25], 1, v[24:25]
	s_delay_alu instid0(VALU_DEP_1) | instskip(NEXT) | instid1(VALU_DEP_2)
	v_add_co_u32 v16, vcc_lo, s16, v24
	v_add_co_ci_u32_e32 v24, vcc_lo, s17, v25, vcc_lo
	s_delay_alu instid0(VALU_DEP_2) | instskip(NEXT) | instid1(VALU_DEP_2)
	v_add_co_u32 v22, vcc_lo, v16, v22
	v_add_co_ci_u32_e32 v23, vcc_lo, v24, v23, vcc_lo
	global_load_u16 v50, v[22:23], off
	s_or_b32 exec_lo, exec_lo, s38
	s_and_saveexec_b32 s4, s3
	s_cbranch_execz .LBB111_48
.LBB111_59:                             ;   in Loop: Header=BB111_9 Depth=1
	v_dual_mov_b32 v22, 0 :: v_dual_mov_b32 v25, v18
	v_dual_mov_b32 v23, 0 :: v_dual_mov_b32 v24, v17
	;; [unrolled: 1-line block ×3, first 2 shown]
	s_and_not1_b32 vcc_lo, exec_lo, s33
	s_mov_b64 s[24:25], s[22:23]
	s_mov_b32 s38, s37
	s_cbranch_vccnz .LBB111_66
.LBB111_60:                             ;   Parent Loop BB111_9 Depth=1
                                        ; =>  This Inner Loop Header: Depth=2
	s_load_b64 s[26:27], s[24:25], 0x0
                                        ; implicit-def: $vgpr26_vgpr27
	s_mov_b32 s3, exec_lo
	s_waitcnt lgkmcnt(0)
	v_or_b32_e32 v16, s27, v25
	s_delay_alu instid0(VALU_DEP_1)
	v_cmpx_ne_u64_e32 0, v[15:16]
	s_xor_b32 s39, exec_lo, s3
	s_cbranch_execz .LBB111_62
; %bb.61:                               ;   in Loop: Header=BB111_60 Depth=2
	v_cvt_f32_u32_e32 v16, s26
	v_cvt_f32_u32_e32 v26, s27
	s_sub_u32 s3, 0, s26
	s_subb_u32 s40, 0, s27
	s_delay_alu instid0(VALU_DEP_1) | instskip(NEXT) | instid1(VALU_DEP_1)
	v_fmac_f32_e32 v16, 0x4f800000, v26
	v_rcp_f32_e32 v16, v16
	s_waitcnt_depctr 0xfff
	v_mul_f32_e32 v16, 0x5f7ffffc, v16
	s_delay_alu instid0(VALU_DEP_1) | instskip(NEXT) | instid1(VALU_DEP_1)
	v_mul_f32_e32 v26, 0x2f800000, v16
	v_trunc_f32_e32 v26, v26
	s_delay_alu instid0(VALU_DEP_1) | instskip(SKIP_1) | instid1(VALU_DEP_2)
	v_fmac_f32_e32 v16, 0xcf800000, v26
	v_cvt_u32_f32_e32 v26, v26
	v_cvt_u32_f32_e32 v16, v16
	s_delay_alu instid0(VALU_DEP_2) | instskip(NEXT) | instid1(VALU_DEP_2)
	v_mul_lo_u32 v27, s3, v26
	v_mul_hi_u32 v54, s3, v16
	v_mul_lo_u32 v55, s40, v16
	s_delay_alu instid0(VALU_DEP_2) | instskip(SKIP_1) | instid1(VALU_DEP_2)
	v_add_nc_u32_e32 v27, v54, v27
	v_mul_lo_u32 v54, s3, v16
	v_add_nc_u32_e32 v27, v27, v55
	s_delay_alu instid0(VALU_DEP_2) | instskip(NEXT) | instid1(VALU_DEP_2)
	v_mul_hi_u32 v55, v16, v54
	v_mul_lo_u32 v56, v16, v27
	v_mul_hi_u32 v57, v16, v27
	v_mul_hi_u32 v58, v26, v54
	v_mul_lo_u32 v54, v26, v54
	v_mul_hi_u32 v59, v26, v27
	v_mul_lo_u32 v27, v26, v27
	v_add_co_u32 v55, vcc_lo, v55, v56
	v_add_co_ci_u32_e32 v56, vcc_lo, 0, v57, vcc_lo
	s_delay_alu instid0(VALU_DEP_2) | instskip(NEXT) | instid1(VALU_DEP_2)
	v_add_co_u32 v54, vcc_lo, v55, v54
	v_add_co_ci_u32_e32 v54, vcc_lo, v56, v58, vcc_lo
	v_add_co_ci_u32_e32 v55, vcc_lo, 0, v59, vcc_lo
	s_delay_alu instid0(VALU_DEP_2) | instskip(NEXT) | instid1(VALU_DEP_2)
	v_add_co_u32 v27, vcc_lo, v54, v27
	v_add_co_ci_u32_e32 v54, vcc_lo, 0, v55, vcc_lo
	s_delay_alu instid0(VALU_DEP_2) | instskip(NEXT) | instid1(VALU_DEP_2)
	v_add_co_u32 v16, vcc_lo, v16, v27
	v_add_co_ci_u32_e32 v26, vcc_lo, v26, v54, vcc_lo
	s_delay_alu instid0(VALU_DEP_2) | instskip(SKIP_1) | instid1(VALU_DEP_3)
	v_mul_hi_u32 v27, s3, v16
	v_mul_lo_u32 v55, s40, v16
	v_mul_lo_u32 v54, s3, v26
	s_delay_alu instid0(VALU_DEP_1) | instskip(SKIP_1) | instid1(VALU_DEP_2)
	v_add_nc_u32_e32 v27, v27, v54
	v_mul_lo_u32 v54, s3, v16
	v_add_nc_u32_e32 v27, v27, v55
	s_delay_alu instid0(VALU_DEP_2) | instskip(NEXT) | instid1(VALU_DEP_2)
	v_mul_hi_u32 v55, v16, v54
	v_mul_lo_u32 v56, v16, v27
	v_mul_hi_u32 v57, v16, v27
	v_mul_hi_u32 v58, v26, v54
	v_mul_lo_u32 v54, v26, v54
	v_mul_hi_u32 v59, v26, v27
	v_mul_lo_u32 v27, v26, v27
	v_add_co_u32 v55, vcc_lo, v55, v56
	v_add_co_ci_u32_e32 v56, vcc_lo, 0, v57, vcc_lo
	s_delay_alu instid0(VALU_DEP_2) | instskip(NEXT) | instid1(VALU_DEP_2)
	v_add_co_u32 v54, vcc_lo, v55, v54
	v_add_co_ci_u32_e32 v54, vcc_lo, v56, v58, vcc_lo
	v_add_co_ci_u32_e32 v55, vcc_lo, 0, v59, vcc_lo
	s_delay_alu instid0(VALU_DEP_2) | instskip(NEXT) | instid1(VALU_DEP_2)
	v_add_co_u32 v27, vcc_lo, v54, v27
	v_add_co_ci_u32_e32 v54, vcc_lo, 0, v55, vcc_lo
	s_delay_alu instid0(VALU_DEP_2) | instskip(NEXT) | instid1(VALU_DEP_2)
	v_add_co_u32 v16, vcc_lo, v16, v27
	v_add_co_ci_u32_e32 v58, vcc_lo, v26, v54, vcc_lo
	s_delay_alu instid0(VALU_DEP_2) | instskip(SKIP_1) | instid1(VALU_DEP_3)
	v_mul_hi_u32 v59, v24, v16
	v_mad_u64_u32 v[54:55], null, v25, v16, 0
	v_mad_u64_u32 v[26:27], null, v24, v58, 0
	;; [unrolled: 1-line block ×3, first 2 shown]
	s_delay_alu instid0(VALU_DEP_2) | instskip(NEXT) | instid1(VALU_DEP_3)
	v_add_co_u32 v16, vcc_lo, v59, v26
	v_add_co_ci_u32_e32 v26, vcc_lo, 0, v27, vcc_lo
	s_delay_alu instid0(VALU_DEP_2) | instskip(NEXT) | instid1(VALU_DEP_2)
	v_add_co_u32 v16, vcc_lo, v16, v54
	v_add_co_ci_u32_e32 v16, vcc_lo, v26, v55, vcc_lo
	v_add_co_ci_u32_e32 v26, vcc_lo, 0, v57, vcc_lo
	s_delay_alu instid0(VALU_DEP_2) | instskip(NEXT) | instid1(VALU_DEP_2)
	v_add_co_u32 v16, vcc_lo, v16, v56
	v_add_co_ci_u32_e32 v54, vcc_lo, 0, v26, vcc_lo
	s_delay_alu instid0(VALU_DEP_2) | instskip(SKIP_1) | instid1(VALU_DEP_3)
	v_mul_lo_u32 v55, s27, v16
	v_mad_u64_u32 v[26:27], null, s26, v16, 0
	v_mul_lo_u32 v56, s26, v54
	s_delay_alu instid0(VALU_DEP_2) | instskip(NEXT) | instid1(VALU_DEP_2)
	v_sub_co_u32 v26, vcc_lo, v24, v26
	v_add3_u32 v27, v27, v56, v55
	s_delay_alu instid0(VALU_DEP_1) | instskip(NEXT) | instid1(VALU_DEP_1)
	v_sub_nc_u32_e32 v55, v25, v27
	v_subrev_co_ci_u32_e64 v55, s3, s27, v55, vcc_lo
	v_add_co_u32 v56, s3, v16, 2
	s_delay_alu instid0(VALU_DEP_1) | instskip(SKIP_3) | instid1(VALU_DEP_3)
	v_add_co_ci_u32_e64 v57, s3, 0, v54, s3
	v_sub_co_u32 v58, s3, v26, s26
	v_sub_co_ci_u32_e32 v27, vcc_lo, v25, v27, vcc_lo
	v_subrev_co_ci_u32_e64 v55, s3, 0, v55, s3
	v_cmp_le_u32_e32 vcc_lo, s26, v58
	s_delay_alu instid0(VALU_DEP_3) | instskip(SKIP_1) | instid1(VALU_DEP_4)
	v_cmp_eq_u32_e64 s3, s27, v27
	v_cndmask_b32_e64 v58, 0, -1, vcc_lo
	v_cmp_le_u32_e32 vcc_lo, s27, v55
	v_cndmask_b32_e64 v59, 0, -1, vcc_lo
	v_cmp_le_u32_e32 vcc_lo, s26, v26
	;; [unrolled: 2-line block ×3, first 2 shown]
	v_cndmask_b32_e64 v60, 0, -1, vcc_lo
	v_cmp_eq_u32_e32 vcc_lo, s27, v55
	s_delay_alu instid0(VALU_DEP_2) | instskip(SKIP_3) | instid1(VALU_DEP_3)
	v_cndmask_b32_e64 v26, v60, v26, s3
	v_cndmask_b32_e32 v55, v59, v58, vcc_lo
	v_add_co_u32 v58, vcc_lo, v16, 1
	v_add_co_ci_u32_e32 v59, vcc_lo, 0, v54, vcc_lo
	v_cmp_ne_u32_e32 vcc_lo, 0, v55
	s_delay_alu instid0(VALU_DEP_3) | instskip(NEXT) | instid1(VALU_DEP_3)
	v_cndmask_b32_e32 v55, v58, v56, vcc_lo
	v_cndmask_b32_e32 v27, v59, v57, vcc_lo
	v_cmp_ne_u32_e32 vcc_lo, 0, v26
	s_delay_alu instid0(VALU_DEP_3) | instskip(NEXT) | instid1(VALU_DEP_3)
	v_cndmask_b32_e32 v26, v16, v55, vcc_lo
	v_cndmask_b32_e32 v27, v54, v27, vcc_lo
.LBB111_62:                             ;   in Loop: Header=BB111_60 Depth=2
	s_and_not1_saveexec_b32 s3, s39
	s_cbranch_execz .LBB111_64
; %bb.63:                               ;   in Loop: Header=BB111_60 Depth=2
	v_cvt_f32_u32_e32 v16, s26
	s_sub_i32 s39, 0, s26
	s_delay_alu instid0(VALU_DEP_1) | instskip(SKIP_2) | instid1(VALU_DEP_1)
	v_rcp_iflag_f32_e32 v16, v16
	s_waitcnt_depctr 0xfff
	v_mul_f32_e32 v16, 0x4f7ffffe, v16
	v_cvt_u32_f32_e32 v16, v16
	s_delay_alu instid0(VALU_DEP_1) | instskip(NEXT) | instid1(VALU_DEP_1)
	v_mul_lo_u32 v26, s39, v16
	v_mul_hi_u32 v26, v16, v26
	s_delay_alu instid0(VALU_DEP_1) | instskip(NEXT) | instid1(VALU_DEP_1)
	v_add_nc_u32_e32 v16, v16, v26
	v_mul_hi_u32 v16, v24, v16
	s_delay_alu instid0(VALU_DEP_1) | instskip(NEXT) | instid1(VALU_DEP_1)
	v_mul_lo_u32 v26, v16, s26
	v_sub_nc_u32_e32 v26, v24, v26
	s_delay_alu instid0(VALU_DEP_1) | instskip(SKIP_1) | instid1(VALU_DEP_2)
	v_subrev_nc_u32_e32 v54, s26, v26
	v_cmp_le_u32_e32 vcc_lo, s26, v26
	v_dual_cndmask_b32 v26, v26, v54 :: v_dual_add_nc_u32 v27, 1, v16
	s_delay_alu instid0(VALU_DEP_1) | instskip(NEXT) | instid1(VALU_DEP_2)
	v_cndmask_b32_e32 v16, v16, v27, vcc_lo
	v_cmp_le_u32_e32 vcc_lo, s26, v26
	s_delay_alu instid0(VALU_DEP_2) | instskip(NEXT) | instid1(VALU_DEP_1)
	v_add_nc_u32_e32 v27, 1, v16
	v_dual_cndmask_b32 v26, v16, v27 :: v_dual_mov_b32 v27, v15
.LBB111_64:                             ;   in Loop: Header=BB111_60 Depth=2
	s_or_b32 exec_lo, exec_lo, s3
	s_load_b64 s[40:41], s[24:25], 0xc8
	s_delay_alu instid0(VALU_DEP_1) | instskip(NEXT) | instid1(VALU_DEP_2)
	v_mul_lo_u32 v16, v27, s26
	v_mul_lo_u32 v56, v26, s27
	v_mad_u64_u32 v[54:55], null, v26, s26, 0
	s_add_i32 s38, s38, -1
	s_add_u32 s24, s24, -8
	s_addc_u32 s25, s25, -1
	s_cmp_gt_u32 s38, 2
	s_delay_alu instid0(VALU_DEP_1) | instskip(NEXT) | instid1(VALU_DEP_2)
	v_add3_u32 v16, v55, v56, v16
	v_sub_co_u32 v54, vcc_lo, v24, v54
	s_delay_alu instid0(VALU_DEP_2) | instskip(SKIP_1) | instid1(VALU_DEP_2)
	v_sub_co_ci_u32_e32 v16, vcc_lo, v25, v16, vcc_lo
	s_waitcnt lgkmcnt(0)
	v_mul_lo_u32 v55, s41, v54
	s_delay_alu instid0(VALU_DEP_2) | instskip(SKIP_1) | instid1(VALU_DEP_1)
	v_mul_lo_u32 v16, s40, v16
	v_mad_u64_u32 v[24:25], null, s40, v54, v[22:23]
	v_add3_u32 v23, v55, v25, v16
	s_delay_alu instid0(VALU_DEP_2)
	v_mov_b32_e32 v22, v24
	s_cbranch_scc0 .LBB111_66
; %bb.65:                               ;   in Loop: Header=BB111_60 Depth=2
	v_dual_mov_b32 v24, v26 :: v_dual_mov_b32 v25, v27
	s_branch .LBB111_60
.LBB111_66:                             ;   in Loop: Header=BB111_9 Depth=1
	v_cvt_f32_u32_e32 v0, v0
	s_waitcnt vmcnt(0)
	v_lshlrev_b32_e32 v16, 16, v53
	v_mad_u64_u32 v[24:25], null, s18, v26, v[22:23]
	v_mul_lo_u32 v22, s18, v27
	v_fmaak_f32 v0, 0x2f800000, v0, 0x2f800000
	s_delay_alu instid0(VALU_DEP_1) | instskip(SKIP_1) | instid1(VALU_DEP_1)
	v_cmp_gt_f32_e32 vcc_lo, s30, v0
	v_cndmask_b32_e64 v0, 0, 1.0, vcc_lo
	v_mul_f32_e32 v0, v0, v16
	v_mul_lo_u32 v16, s19, v26
	s_delay_alu instid0(VALU_DEP_2) | instskip(NEXT) | instid1(VALU_DEP_2)
	v_mul_f32_e32 v0, v49, v0
	v_add3_u32 v25, v16, v25, v22
	s_delay_alu instid0(VALU_DEP_2) | instskip(NEXT) | instid1(VALU_DEP_2)
	v_bfe_u32 v16, v0, 16, 1
	v_lshlrev_b64 v[22:23], 1, v[24:25]
	v_add_co_u32 v24, s3, s10, v24
	s_delay_alu instid0(VALU_DEP_3) | instskip(SKIP_1) | instid1(VALU_DEP_4)
	v_add3_u32 v16, v0, v16, 0x7fff
	v_add_co_ci_u32_e64 v25, s3, s11, v25, s3
	v_add_co_u32 v22, s3, s12, v22
	s_delay_alu instid0(VALU_DEP_1) | instskip(NEXT) | instid1(VALU_DEP_4)
	v_add_co_ci_u32_e64 v23, s3, s13, v23, s3
	v_lshrrev_b32_e32 v16, 16, v16
	v_cmp_o_f32_e64 s3, v0, v0
	s_delay_alu instid0(VALU_DEP_1)
	v_cndmask_b32_e64 v0, 0x7fc0, v16, s3
	v_cndmask_b32_e64 v16, 0, 1, vcc_lo
	global_store_b16 v[22:23], v0, off
	global_store_b8 v[24:25], v16, off
	s_or_b32 exec_lo, exec_lo, s4
	s_and_saveexec_b32 s3, s2
	s_cbranch_execz .LBB111_49
.LBB111_67:                             ;   in Loop: Header=BB111_9 Depth=1
	v_mov_b32_e32 v22, 0
	v_mov_b32_e32 v23, 0
	s_and_not1_b32 vcc_lo, exec_lo, s33
	s_mov_b64 s[24:25], s[22:23]
	s_mov_b32 s4, s37
	s_cbranch_vccz .LBB111_73
.LBB111_68:                             ;   in Loop: Header=BB111_9 Depth=1
	v_cvt_f32_u32_e32 v0, v1
	s_waitcnt vmcnt(0)
	v_lshlrev_b32_e32 v16, 16, v52
	v_mul_lo_u32 v21, s18, v21
	s_delay_alu instid0(VALU_DEP_3) | instskip(NEXT) | instid1(VALU_DEP_1)
	v_fmaak_f32 v0, 0x2f800000, v0, 0x2f800000
	v_cmp_gt_f32_e32 vcc_lo, s30, v0
	v_mad_u64_u32 v[0:1], null, s18, v20, v[22:23]
	v_mul_lo_u32 v20, s19, v20
	v_cndmask_b32_e64 v24, 0, 1.0, vcc_lo
	s_delay_alu instid0(VALU_DEP_1) | instskip(NEXT) | instid1(VALU_DEP_3)
	v_mul_f32_e32 v16, v24, v16
	v_add3_u32 v1, v20, v1, v21
	s_delay_alu instid0(VALU_DEP_2) | instskip(NEXT) | instid1(VALU_DEP_2)
	v_mul_f32_e32 v16, v49, v16
	v_lshlrev_b64 v[20:21], 1, v[0:1]
	v_add_co_u32 v0, s2, s10, v0
	s_delay_alu instid0(VALU_DEP_1) | instskip(NEXT) | instid1(VALU_DEP_4)
	v_add_co_ci_u32_e64 v1, s2, s11, v1, s2
	v_bfe_u32 v22, v16, 16, 1
	s_delay_alu instid0(VALU_DEP_4) | instskip(NEXT) | instid1(VALU_DEP_1)
	v_add_co_u32 v20, s2, s12, v20
	v_add_co_ci_u32_e64 v21, s2, s13, v21, s2
	s_delay_alu instid0(VALU_DEP_3) | instskip(SKIP_1) | instid1(VALU_DEP_2)
	v_add3_u32 v22, v16, v22, 0x7fff
	v_cmp_o_f32_e64 s2, v16, v16
	v_lshrrev_b32_e32 v22, 16, v22
	s_delay_alu instid0(VALU_DEP_1)
	v_cndmask_b32_e64 v16, 0x7fc0, v22, s2
	v_cndmask_b32_e64 v22, 0, 1, vcc_lo
	global_store_b16 v[20:21], v16, off
	global_store_b8 v[0:1], v22, off
	s_or_b32 exec_lo, exec_lo, s3
	s_and_saveexec_b32 s4, s1
	s_cbranch_execz .LBB111_50
.LBB111_69:                             ;   in Loop: Header=BB111_9 Depth=1
	v_mov_b32_e32 v0, 0
	v_mov_b32_e32 v1, 0
	s_and_not1_b32 vcc_lo, exec_lo, s33
	s_mov_b64 s[2:3], s[22:23]
	s_mov_b32 s26, s37
	s_cbranch_vccz .LBB111_78
.LBB111_70:                             ;   in Loop: Header=BB111_9 Depth=1
	v_cvt_f32_u32_e32 v2, v2
	s_waitcnt vmcnt(0)
	v_lshlrev_b32_e32 v16, 16, v51
	v_mad_u64_u32 v[20:21], null, s18, v9, v[0:1]
	v_mul_lo_u32 v0, s18, v10
	v_fmaak_f32 v2, 0x2f800000, v2, 0x2f800000
	s_delay_alu instid0(VALU_DEP_1) | instskip(SKIP_1) | instid1(VALU_DEP_1)
	v_cmp_gt_f32_e32 vcc_lo, s30, v2
	v_cndmask_b32_e64 v2, 0, 1.0, vcc_lo
	v_mul_f32_e32 v1, v2, v16
	v_mul_lo_u32 v2, s19, v9
	v_add_co_u32 v9, s1, s10, v20
	s_delay_alu instid0(VALU_DEP_3) | instskip(NEXT) | instid1(VALU_DEP_3)
	v_mul_f32_e32 v16, v49, v1
	v_add3_u32 v21, v2, v21, v0
	s_delay_alu instid0(VALU_DEP_2) | instskip(NEXT) | instid1(VALU_DEP_2)
	v_bfe_u32 v2, v16, 16, 1
	v_lshlrev_b64 v[0:1], 1, v[20:21]
	s_delay_alu instid0(VALU_DEP_2) | instskip(SKIP_1) | instid1(VALU_DEP_3)
	v_add3_u32 v2, v16, v2, 0x7fff
	v_add_co_ci_u32_e64 v10, s1, s11, v21, s1
	v_add_co_u32 v0, s1, s12, v0
	s_delay_alu instid0(VALU_DEP_1) | instskip(NEXT) | instid1(VALU_DEP_4)
	v_add_co_ci_u32_e64 v1, s1, s13, v1, s1
	v_lshrrev_b32_e32 v2, 16, v2
	v_cmp_o_f32_e64 s1, v16, v16
	v_cndmask_b32_e64 v16, 0, 1, vcc_lo
	s_delay_alu instid0(VALU_DEP_2)
	v_cndmask_b32_e64 v2, 0x7fc0, v2, s1
	global_store_b16 v[0:1], v2, off
	global_store_b8 v[9:10], v16, off
	s_or_b32 exec_lo, exec_lo, s4
	s_and_saveexec_b32 s1, s0
	s_cbranch_execz .LBB111_8
.LBB111_71:                             ;   in Loop: Header=BB111_9 Depth=1
	v_mov_b32_e32 v0, 0
	v_mov_b32_e32 v1, 0
	s_and_not1_b32 vcc_lo, exec_lo, s33
	s_mov_b64 s[2:3], s[22:23]
	s_mov_b32 s4, s37
	s_cbranch_vccz .LBB111_83
	s_branch .LBB111_7
.LBB111_72:                             ;   in Loop: Header=BB111_73 Depth=2
	s_or_b32 exec_lo, exec_lo, s2
	s_load_b64 s[38:39], s[24:25], 0xc8
	v_mul_lo_u32 v0, v25, s26
	v_mul_lo_u32 v16, v24, s27
	v_mad_u64_u32 v[26:27], null, v24, s26, 0
	s_add_i32 s4, s4, -1
	s_add_u32 s24, s24, -8
	s_addc_u32 s25, s25, -1
	s_cmp_gt_u32 s4, 2
	s_delay_alu instid0(VALU_DEP_1) | instskip(NEXT) | instid1(VALU_DEP_2)
	v_add3_u32 v0, v27, v16, v0
	v_sub_co_u32 v16, vcc_lo, v20, v26
	s_delay_alu instid0(VALU_DEP_2) | instskip(SKIP_1) | instid1(VALU_DEP_2)
	v_sub_co_ci_u32_e32 v0, vcc_lo, v21, v0, vcc_lo
	s_waitcnt lgkmcnt(0)
	v_mul_lo_u32 v26, s39, v16
	s_delay_alu instid0(VALU_DEP_2) | instskip(SKIP_1) | instid1(VALU_DEP_1)
	v_mul_lo_u32 v0, s38, v0
	v_mad_u64_u32 v[20:21], null, s38, v16, v[22:23]
	v_add3_u32 v23, v26, v21, v0
	s_delay_alu instid0(VALU_DEP_2)
	v_mov_b32_e32 v22, v20
	v_dual_mov_b32 v20, v24 :: v_dual_mov_b32 v21, v25
	s_cbranch_scc0 .LBB111_68
.LBB111_73:                             ;   Parent Loop BB111_9 Depth=1
                                        ; =>  This Inner Loop Header: Depth=2
	s_load_b64 s[26:27], s[24:25], 0x0
                                        ; implicit-def: $vgpr24_vgpr25
	s_mov_b32 s2, exec_lo
	s_waitcnt lgkmcnt(0)
	v_or_b32_e32 v16, s27, v21
	s_delay_alu instid0(VALU_DEP_1)
	v_cmpx_ne_u64_e32 0, v[15:16]
	s_xor_b32 s38, exec_lo, s2
	s_cbranch_execz .LBB111_75
; %bb.74:                               ;   in Loop: Header=BB111_73 Depth=2
	v_cvt_f32_u32_e32 v0, s26
	v_cvt_f32_u32_e32 v16, s27
	s_sub_u32 s2, 0, s26
	s_subb_u32 s39, 0, s27
	s_delay_alu instid0(VALU_DEP_1) | instskip(NEXT) | instid1(VALU_DEP_1)
	v_fmac_f32_e32 v0, 0x4f800000, v16
	v_rcp_f32_e32 v0, v0
	s_waitcnt_depctr 0xfff
	v_mul_f32_e32 v0, 0x5f7ffffc, v0
	s_delay_alu instid0(VALU_DEP_1) | instskip(NEXT) | instid1(VALU_DEP_1)
	v_mul_f32_e32 v16, 0x2f800000, v0
	v_trunc_f32_e32 v16, v16
	s_delay_alu instid0(VALU_DEP_1) | instskip(SKIP_1) | instid1(VALU_DEP_2)
	v_fmac_f32_e32 v0, 0xcf800000, v16
	v_cvt_u32_f32_e32 v16, v16
	v_cvt_u32_f32_e32 v0, v0
	s_delay_alu instid0(VALU_DEP_2) | instskip(NEXT) | instid1(VALU_DEP_2)
	v_mul_lo_u32 v24, s2, v16
	v_mul_hi_u32 v25, s2, v0
	v_mul_lo_u32 v26, s39, v0
	s_delay_alu instid0(VALU_DEP_2) | instskip(SKIP_1) | instid1(VALU_DEP_2)
	v_add_nc_u32_e32 v24, v25, v24
	v_mul_lo_u32 v25, s2, v0
	v_add_nc_u32_e32 v24, v24, v26
	s_delay_alu instid0(VALU_DEP_2) | instskip(NEXT) | instid1(VALU_DEP_2)
	v_mul_hi_u32 v26, v0, v25
	v_mul_lo_u32 v27, v0, v24
	v_mul_hi_u32 v54, v0, v24
	v_mul_hi_u32 v55, v16, v25
	v_mul_lo_u32 v25, v16, v25
	v_mul_hi_u32 v56, v16, v24
	v_mul_lo_u32 v24, v16, v24
	v_add_co_u32 v26, vcc_lo, v26, v27
	v_add_co_ci_u32_e32 v27, vcc_lo, 0, v54, vcc_lo
	s_delay_alu instid0(VALU_DEP_2) | instskip(NEXT) | instid1(VALU_DEP_2)
	v_add_co_u32 v25, vcc_lo, v26, v25
	v_add_co_ci_u32_e32 v25, vcc_lo, v27, v55, vcc_lo
	v_add_co_ci_u32_e32 v26, vcc_lo, 0, v56, vcc_lo
	s_delay_alu instid0(VALU_DEP_2) | instskip(NEXT) | instid1(VALU_DEP_2)
	v_add_co_u32 v24, vcc_lo, v25, v24
	v_add_co_ci_u32_e32 v25, vcc_lo, 0, v26, vcc_lo
	s_delay_alu instid0(VALU_DEP_2) | instskip(NEXT) | instid1(VALU_DEP_2)
	v_add_co_u32 v0, vcc_lo, v0, v24
	v_add_co_ci_u32_e32 v16, vcc_lo, v16, v25, vcc_lo
	s_delay_alu instid0(VALU_DEP_2) | instskip(SKIP_1) | instid1(VALU_DEP_3)
	v_mul_hi_u32 v24, s2, v0
	v_mul_lo_u32 v26, s39, v0
	v_mul_lo_u32 v25, s2, v16
	s_delay_alu instid0(VALU_DEP_1) | instskip(SKIP_1) | instid1(VALU_DEP_2)
	v_add_nc_u32_e32 v24, v24, v25
	v_mul_lo_u32 v25, s2, v0
	v_add_nc_u32_e32 v24, v24, v26
	s_delay_alu instid0(VALU_DEP_2) | instskip(NEXT) | instid1(VALU_DEP_2)
	v_mul_hi_u32 v26, v0, v25
	v_mul_lo_u32 v27, v0, v24
	v_mul_hi_u32 v54, v0, v24
	v_mul_hi_u32 v55, v16, v25
	v_mul_lo_u32 v25, v16, v25
	v_mul_hi_u32 v56, v16, v24
	v_mul_lo_u32 v24, v16, v24
	v_add_co_u32 v26, vcc_lo, v26, v27
	v_add_co_ci_u32_e32 v27, vcc_lo, 0, v54, vcc_lo
	s_delay_alu instid0(VALU_DEP_2) | instskip(NEXT) | instid1(VALU_DEP_2)
	v_add_co_u32 v25, vcc_lo, v26, v25
	v_add_co_ci_u32_e32 v25, vcc_lo, v27, v55, vcc_lo
	v_add_co_ci_u32_e32 v26, vcc_lo, 0, v56, vcc_lo
	s_delay_alu instid0(VALU_DEP_2) | instskip(NEXT) | instid1(VALU_DEP_2)
	v_add_co_u32 v24, vcc_lo, v25, v24
	v_add_co_ci_u32_e32 v25, vcc_lo, 0, v26, vcc_lo
	s_delay_alu instid0(VALU_DEP_2) | instskip(NEXT) | instid1(VALU_DEP_2)
	v_add_co_u32 v0, vcc_lo, v0, v24
	v_add_co_ci_u32_e32 v16, vcc_lo, v16, v25, vcc_lo
	s_delay_alu instid0(VALU_DEP_2) | instskip(SKIP_1) | instid1(VALU_DEP_3)
	v_mul_hi_u32 v56, v20, v0
	v_mad_u64_u32 v[26:27], null, v21, v0, 0
	v_mad_u64_u32 v[24:25], null, v20, v16, 0
	;; [unrolled: 1-line block ×3, first 2 shown]
	s_delay_alu instid0(VALU_DEP_2) | instskip(NEXT) | instid1(VALU_DEP_3)
	v_add_co_u32 v0, vcc_lo, v56, v24
	v_add_co_ci_u32_e32 v16, vcc_lo, 0, v25, vcc_lo
	s_delay_alu instid0(VALU_DEP_2) | instskip(NEXT) | instid1(VALU_DEP_2)
	v_add_co_u32 v0, vcc_lo, v0, v26
	v_add_co_ci_u32_e32 v0, vcc_lo, v16, v27, vcc_lo
	v_add_co_ci_u32_e32 v16, vcc_lo, 0, v55, vcc_lo
	s_delay_alu instid0(VALU_DEP_2) | instskip(NEXT) | instid1(VALU_DEP_2)
	v_add_co_u32 v0, vcc_lo, v0, v54
	v_add_co_ci_u32_e32 v16, vcc_lo, 0, v16, vcc_lo
	s_delay_alu instid0(VALU_DEP_2) | instskip(SKIP_1) | instid1(VALU_DEP_3)
	v_mul_lo_u32 v26, s27, v0
	v_mad_u64_u32 v[24:25], null, s26, v0, 0
	v_mul_lo_u32 v27, s26, v16
	s_delay_alu instid0(VALU_DEP_2) | instskip(NEXT) | instid1(VALU_DEP_2)
	v_sub_co_u32 v24, vcc_lo, v20, v24
	v_add3_u32 v25, v25, v27, v26
	s_delay_alu instid0(VALU_DEP_1) | instskip(NEXT) | instid1(VALU_DEP_1)
	v_sub_nc_u32_e32 v26, v21, v25
	v_subrev_co_ci_u32_e64 v26, s2, s27, v26, vcc_lo
	v_add_co_u32 v27, s2, v0, 2
	s_delay_alu instid0(VALU_DEP_1) | instskip(SKIP_3) | instid1(VALU_DEP_3)
	v_add_co_ci_u32_e64 v54, s2, 0, v16, s2
	v_sub_co_u32 v55, s2, v24, s26
	v_sub_co_ci_u32_e32 v25, vcc_lo, v21, v25, vcc_lo
	v_subrev_co_ci_u32_e64 v26, s2, 0, v26, s2
	v_cmp_le_u32_e32 vcc_lo, s26, v55
	s_delay_alu instid0(VALU_DEP_3) | instskip(SKIP_1) | instid1(VALU_DEP_4)
	v_cmp_eq_u32_e64 s2, s27, v25
	v_cndmask_b32_e64 v55, 0, -1, vcc_lo
	v_cmp_le_u32_e32 vcc_lo, s27, v26
	v_cndmask_b32_e64 v56, 0, -1, vcc_lo
	v_cmp_le_u32_e32 vcc_lo, s26, v24
	v_cndmask_b32_e64 v24, 0, -1, vcc_lo
	v_cmp_le_u32_e32 vcc_lo, s27, v25
	v_cndmask_b32_e64 v57, 0, -1, vcc_lo
	v_cmp_eq_u32_e32 vcc_lo, s27, v26
	s_delay_alu instid0(VALU_DEP_2) | instskip(SKIP_3) | instid1(VALU_DEP_3)
	v_cndmask_b32_e64 v24, v57, v24, s2
	v_cndmask_b32_e32 v26, v56, v55, vcc_lo
	v_add_co_u32 v55, vcc_lo, v0, 1
	v_add_co_ci_u32_e32 v56, vcc_lo, 0, v16, vcc_lo
	v_cmp_ne_u32_e32 vcc_lo, 0, v26
	s_delay_alu instid0(VALU_DEP_2) | instskip(SKIP_1) | instid1(VALU_DEP_2)
	v_dual_cndmask_b32 v25, v56, v54 :: v_dual_cndmask_b32 v26, v55, v27
	v_cmp_ne_u32_e32 vcc_lo, 0, v24
	v_cndmask_b32_e32 v25, v16, v25, vcc_lo
	s_delay_alu instid0(VALU_DEP_3)
	v_cndmask_b32_e32 v24, v0, v26, vcc_lo
.LBB111_75:                             ;   in Loop: Header=BB111_73 Depth=2
	s_and_not1_saveexec_b32 s2, s38
	s_cbranch_execz .LBB111_72
; %bb.76:                               ;   in Loop: Header=BB111_73 Depth=2
	v_cvt_f32_u32_e32 v0, s26
	s_sub_i32 s38, 0, s26
	s_delay_alu instid0(VALU_DEP_1) | instskip(SKIP_2) | instid1(VALU_DEP_1)
	v_rcp_iflag_f32_e32 v0, v0
	s_waitcnt_depctr 0xfff
	v_mul_f32_e32 v0, 0x4f7ffffe, v0
	v_cvt_u32_f32_e32 v0, v0
	s_delay_alu instid0(VALU_DEP_1) | instskip(NEXT) | instid1(VALU_DEP_1)
	v_mul_lo_u32 v16, s38, v0
	v_mul_hi_u32 v16, v0, v16
	s_delay_alu instid0(VALU_DEP_1) | instskip(NEXT) | instid1(VALU_DEP_1)
	v_add_nc_u32_e32 v0, v0, v16
	v_mul_hi_u32 v0, v20, v0
	s_delay_alu instid0(VALU_DEP_1) | instskip(SKIP_1) | instid1(VALU_DEP_2)
	v_mul_lo_u32 v16, v0, s26
	v_add_nc_u32_e32 v24, 1, v0
	v_sub_nc_u32_e32 v16, v20, v16
	s_delay_alu instid0(VALU_DEP_1) | instskip(SKIP_1) | instid1(VALU_DEP_2)
	v_subrev_nc_u32_e32 v25, s26, v16
	v_cmp_le_u32_e32 vcc_lo, s26, v16
	v_dual_cndmask_b32 v16, v16, v25 :: v_dual_mov_b32 v25, v15
	v_cndmask_b32_e32 v0, v0, v24, vcc_lo
	s_delay_alu instid0(VALU_DEP_2) | instskip(NEXT) | instid1(VALU_DEP_2)
	v_cmp_le_u32_e32 vcc_lo, s26, v16
	v_add_nc_u32_e32 v24, 1, v0
	s_delay_alu instid0(VALU_DEP_1)
	v_cndmask_b32_e32 v24, v0, v24, vcc_lo
	s_branch .LBB111_72
.LBB111_77:                             ;   in Loop: Header=BB111_78 Depth=2
	s_or_b32 exec_lo, exec_lo, s1
	s_load_b64 s[38:39], s[2:3], 0xc8
	s_delay_alu instid0(VALU_DEP_1)
	v_mul_lo_u32 v16, v21, s24
	v_mul_lo_u32 v24, v20, s25
	v_mad_u64_u32 v[22:23], null, v20, s24, 0
	s_add_i32 s26, s26, -1
	s_add_u32 s2, s2, -8
	s_addc_u32 s3, s3, -1
	s_cmp_gt_u32 s26, 2
	s_delay_alu instid0(VALU_DEP_1) | instskip(NEXT) | instid1(VALU_DEP_2)
	v_add3_u32 v16, v23, v24, v16
	v_sub_co_u32 v22, vcc_lo, v9, v22
	s_delay_alu instid0(VALU_DEP_2) | instskip(SKIP_1) | instid1(VALU_DEP_2)
	v_sub_co_ci_u32_e32 v9, vcc_lo, v10, v16, vcc_lo
	s_waitcnt lgkmcnt(0)
	v_mul_lo_u32 v23, s39, v22
	s_delay_alu instid0(VALU_DEP_2) | instskip(SKIP_1) | instid1(VALU_DEP_1)
	v_mul_lo_u32 v16, s38, v9
	v_mad_u64_u32 v[9:10], null, s38, v22, v[0:1]
	v_add3_u32 v1, v23, v10, v16
	s_delay_alu instid0(VALU_DEP_2)
	v_dual_mov_b32 v0, v9 :: v_dual_mov_b32 v9, v20
	v_mov_b32_e32 v10, v21
	s_cbranch_scc0 .LBB111_70
.LBB111_78:                             ;   Parent Loop BB111_9 Depth=1
                                        ; =>  This Inner Loop Header: Depth=2
	s_load_b64 s[24:25], s[2:3], 0x0
                                        ; implicit-def: $vgpr20_vgpr21
	s_mov_b32 s1, exec_lo
	s_waitcnt lgkmcnt(0)
	v_or_b32_e32 v16, s25, v10
	s_delay_alu instid0(VALU_DEP_1)
	v_cmpx_ne_u64_e32 0, v[15:16]
	s_xor_b32 s27, exec_lo, s1
	s_cbranch_execz .LBB111_80
; %bb.79:                               ;   in Loop: Header=BB111_78 Depth=2
	v_cvt_f32_u32_e32 v16, s24
	v_cvt_f32_u32_e32 v20, s25
	s_sub_u32 s1, 0, s24
	s_subb_u32 s38, 0, s25
	s_delay_alu instid0(VALU_DEP_1) | instskip(NEXT) | instid1(VALU_DEP_1)
	v_fmac_f32_e32 v16, 0x4f800000, v20
	v_rcp_f32_e32 v16, v16
	s_waitcnt_depctr 0xfff
	v_mul_f32_e32 v16, 0x5f7ffffc, v16
	s_delay_alu instid0(VALU_DEP_1) | instskip(NEXT) | instid1(VALU_DEP_1)
	v_mul_f32_e32 v20, 0x2f800000, v16
	v_trunc_f32_e32 v20, v20
	s_delay_alu instid0(VALU_DEP_1) | instskip(SKIP_1) | instid1(VALU_DEP_2)
	v_fmac_f32_e32 v16, 0xcf800000, v20
	v_cvt_u32_f32_e32 v20, v20
	v_cvt_u32_f32_e32 v16, v16
	s_delay_alu instid0(VALU_DEP_2) | instskip(NEXT) | instid1(VALU_DEP_2)
	v_mul_lo_u32 v21, s1, v20
	v_mul_hi_u32 v22, s1, v16
	v_mul_lo_u32 v23, s38, v16
	s_delay_alu instid0(VALU_DEP_2) | instskip(SKIP_1) | instid1(VALU_DEP_2)
	v_add_nc_u32_e32 v21, v22, v21
	v_mul_lo_u32 v22, s1, v16
	v_add_nc_u32_e32 v21, v21, v23
	s_delay_alu instid0(VALU_DEP_2) | instskip(NEXT) | instid1(VALU_DEP_2)
	v_mul_hi_u32 v23, v16, v22
	v_mul_lo_u32 v24, v16, v21
	v_mul_hi_u32 v25, v16, v21
	v_mul_hi_u32 v26, v20, v22
	v_mul_lo_u32 v22, v20, v22
	v_mul_hi_u32 v27, v20, v21
	v_mul_lo_u32 v21, v20, v21
	v_add_co_u32 v23, vcc_lo, v23, v24
	v_add_co_ci_u32_e32 v24, vcc_lo, 0, v25, vcc_lo
	s_delay_alu instid0(VALU_DEP_2) | instskip(NEXT) | instid1(VALU_DEP_2)
	v_add_co_u32 v22, vcc_lo, v23, v22
	v_add_co_ci_u32_e32 v22, vcc_lo, v24, v26, vcc_lo
	v_add_co_ci_u32_e32 v23, vcc_lo, 0, v27, vcc_lo
	s_delay_alu instid0(VALU_DEP_2) | instskip(NEXT) | instid1(VALU_DEP_2)
	v_add_co_u32 v21, vcc_lo, v22, v21
	v_add_co_ci_u32_e32 v22, vcc_lo, 0, v23, vcc_lo
	s_delay_alu instid0(VALU_DEP_2) | instskip(NEXT) | instid1(VALU_DEP_2)
	v_add_co_u32 v16, vcc_lo, v16, v21
	v_add_co_ci_u32_e32 v20, vcc_lo, v20, v22, vcc_lo
	s_delay_alu instid0(VALU_DEP_2) | instskip(SKIP_1) | instid1(VALU_DEP_3)
	v_mul_hi_u32 v21, s1, v16
	v_mul_lo_u32 v23, s38, v16
	v_mul_lo_u32 v22, s1, v20
	s_delay_alu instid0(VALU_DEP_1) | instskip(SKIP_1) | instid1(VALU_DEP_2)
	v_add_nc_u32_e32 v21, v21, v22
	v_mul_lo_u32 v22, s1, v16
	v_add_nc_u32_e32 v21, v21, v23
	s_delay_alu instid0(VALU_DEP_2) | instskip(NEXT) | instid1(VALU_DEP_2)
	v_mul_hi_u32 v23, v16, v22
	v_mul_lo_u32 v24, v16, v21
	v_mul_hi_u32 v25, v16, v21
	v_mul_hi_u32 v26, v20, v22
	v_mul_lo_u32 v22, v20, v22
	v_mul_hi_u32 v27, v20, v21
	v_mul_lo_u32 v21, v20, v21
	v_add_co_u32 v23, vcc_lo, v23, v24
	v_add_co_ci_u32_e32 v24, vcc_lo, 0, v25, vcc_lo
	s_delay_alu instid0(VALU_DEP_2) | instskip(NEXT) | instid1(VALU_DEP_2)
	v_add_co_u32 v22, vcc_lo, v23, v22
	v_add_co_ci_u32_e32 v22, vcc_lo, v24, v26, vcc_lo
	v_add_co_ci_u32_e32 v23, vcc_lo, 0, v27, vcc_lo
	s_delay_alu instid0(VALU_DEP_2) | instskip(NEXT) | instid1(VALU_DEP_2)
	v_add_co_u32 v21, vcc_lo, v22, v21
	v_add_co_ci_u32_e32 v22, vcc_lo, 0, v23, vcc_lo
	s_delay_alu instid0(VALU_DEP_2) | instskip(NEXT) | instid1(VALU_DEP_2)
	v_add_co_u32 v16, vcc_lo, v16, v21
	v_add_co_ci_u32_e32 v26, vcc_lo, v20, v22, vcc_lo
	s_delay_alu instid0(VALU_DEP_2) | instskip(SKIP_1) | instid1(VALU_DEP_3)
	v_mul_hi_u32 v27, v9, v16
	v_mad_u64_u32 v[22:23], null, v10, v16, 0
	v_mad_u64_u32 v[20:21], null, v9, v26, 0
	;; [unrolled: 1-line block ×3, first 2 shown]
	s_delay_alu instid0(VALU_DEP_2) | instskip(NEXT) | instid1(VALU_DEP_3)
	v_add_co_u32 v16, vcc_lo, v27, v20
	v_add_co_ci_u32_e32 v20, vcc_lo, 0, v21, vcc_lo
	s_delay_alu instid0(VALU_DEP_2) | instskip(NEXT) | instid1(VALU_DEP_2)
	v_add_co_u32 v16, vcc_lo, v16, v22
	v_add_co_ci_u32_e32 v16, vcc_lo, v20, v23, vcc_lo
	v_add_co_ci_u32_e32 v20, vcc_lo, 0, v25, vcc_lo
	s_delay_alu instid0(VALU_DEP_2) | instskip(NEXT) | instid1(VALU_DEP_2)
	v_add_co_u32 v16, vcc_lo, v16, v24
	v_add_co_ci_u32_e32 v22, vcc_lo, 0, v20, vcc_lo
	s_delay_alu instid0(VALU_DEP_2) | instskip(SKIP_1) | instid1(VALU_DEP_3)
	v_mul_lo_u32 v23, s25, v16
	v_mad_u64_u32 v[20:21], null, s24, v16, 0
	v_mul_lo_u32 v24, s24, v22
	s_delay_alu instid0(VALU_DEP_2) | instskip(NEXT) | instid1(VALU_DEP_2)
	v_sub_co_u32 v20, vcc_lo, v9, v20
	v_add3_u32 v21, v21, v24, v23
	s_delay_alu instid0(VALU_DEP_1) | instskip(NEXT) | instid1(VALU_DEP_1)
	v_sub_nc_u32_e32 v23, v10, v21
	v_subrev_co_ci_u32_e64 v23, s1, s25, v23, vcc_lo
	v_add_co_u32 v24, s1, v16, 2
	s_delay_alu instid0(VALU_DEP_1) | instskip(SKIP_3) | instid1(VALU_DEP_3)
	v_add_co_ci_u32_e64 v25, s1, 0, v22, s1
	v_sub_co_u32 v26, s1, v20, s24
	v_sub_co_ci_u32_e32 v21, vcc_lo, v10, v21, vcc_lo
	v_subrev_co_ci_u32_e64 v23, s1, 0, v23, s1
	v_cmp_le_u32_e32 vcc_lo, s24, v26
	s_delay_alu instid0(VALU_DEP_3) | instskip(SKIP_1) | instid1(VALU_DEP_4)
	v_cmp_eq_u32_e64 s1, s25, v21
	v_cndmask_b32_e64 v26, 0, -1, vcc_lo
	v_cmp_le_u32_e32 vcc_lo, s25, v23
	v_cndmask_b32_e64 v27, 0, -1, vcc_lo
	v_cmp_le_u32_e32 vcc_lo, s24, v20
	;; [unrolled: 2-line block ×3, first 2 shown]
	v_cndmask_b32_e64 v54, 0, -1, vcc_lo
	v_cmp_eq_u32_e32 vcc_lo, s25, v23
	s_delay_alu instid0(VALU_DEP_2) | instskip(SKIP_3) | instid1(VALU_DEP_3)
	v_cndmask_b32_e64 v20, v54, v20, s1
	v_cndmask_b32_e32 v23, v27, v26, vcc_lo
	v_add_co_u32 v26, vcc_lo, v16, 1
	v_add_co_ci_u32_e32 v27, vcc_lo, 0, v22, vcc_lo
	v_cmp_ne_u32_e32 vcc_lo, 0, v23
	s_delay_alu instid0(VALU_DEP_3) | instskip(NEXT) | instid1(VALU_DEP_3)
	v_cndmask_b32_e32 v23, v26, v24, vcc_lo
	v_cndmask_b32_e32 v21, v27, v25, vcc_lo
	v_cmp_ne_u32_e32 vcc_lo, 0, v20
	s_delay_alu instid0(VALU_DEP_2)
	v_dual_cndmask_b32 v20, v16, v23 :: v_dual_cndmask_b32 v21, v22, v21
.LBB111_80:                             ;   in Loop: Header=BB111_78 Depth=2
	s_and_not1_saveexec_b32 s1, s27
	s_cbranch_execz .LBB111_77
; %bb.81:                               ;   in Loop: Header=BB111_78 Depth=2
	v_cvt_f32_u32_e32 v16, s24
	s_sub_i32 s27, 0, s24
	s_delay_alu instid0(VALU_DEP_1) | instskip(SKIP_2) | instid1(VALU_DEP_1)
	v_rcp_iflag_f32_e32 v16, v16
	s_waitcnt_depctr 0xfff
	v_mul_f32_e32 v16, 0x4f7ffffe, v16
	v_cvt_u32_f32_e32 v16, v16
	s_delay_alu instid0(VALU_DEP_1) | instskip(NEXT) | instid1(VALU_DEP_1)
	v_mul_lo_u32 v20, s27, v16
	v_mul_hi_u32 v20, v16, v20
	s_delay_alu instid0(VALU_DEP_1) | instskip(NEXT) | instid1(VALU_DEP_1)
	v_add_nc_u32_e32 v16, v16, v20
	v_mul_hi_u32 v16, v9, v16
	s_delay_alu instid0(VALU_DEP_1) | instskip(NEXT) | instid1(VALU_DEP_1)
	v_mul_lo_u32 v20, v16, s24
	v_sub_nc_u32_e32 v20, v9, v20
	s_delay_alu instid0(VALU_DEP_1) | instskip(SKIP_1) | instid1(VALU_DEP_2)
	v_subrev_nc_u32_e32 v22, s24, v20
	v_cmp_le_u32_e32 vcc_lo, s24, v20
	v_dual_cndmask_b32 v20, v20, v22 :: v_dual_add_nc_u32 v21, 1, v16
	s_delay_alu instid0(VALU_DEP_1) | instskip(NEXT) | instid1(VALU_DEP_2)
	v_cndmask_b32_e32 v16, v16, v21, vcc_lo
	v_cmp_le_u32_e32 vcc_lo, s24, v20
	s_delay_alu instid0(VALU_DEP_2) | instskip(NEXT) | instid1(VALU_DEP_1)
	v_add_nc_u32_e32 v21, 1, v16
	v_dual_cndmask_b32 v20, v16, v21 :: v_dual_mov_b32 v21, v15
	s_branch .LBB111_77
.LBB111_82:                             ;   in Loop: Header=BB111_83 Depth=2
	s_or_b32 exec_lo, exec_lo, s0
	s_load_b64 s[26:27], s[2:3], 0xc8
	s_delay_alu instid0(VALU_DEP_1)
	v_mul_lo_u32 v2, v10, s24
	v_mul_lo_u32 v16, v9, s25
	v_mad_u64_u32 v[20:21], null, v9, s24, 0
	s_add_i32 s4, s4, -1
	s_add_u32 s2, s2, -8
	s_addc_u32 s3, s3, -1
	s_cmp_gt_u32 s4, 2
	s_delay_alu instid0(VALU_DEP_1) | instskip(NEXT) | instid1(VALU_DEP_2)
	v_add3_u32 v2, v21, v16, v2
	v_sub_co_u32 v16, vcc_lo, v7, v20
	s_delay_alu instid0(VALU_DEP_2) | instskip(SKIP_1) | instid1(VALU_DEP_2)
	v_sub_co_ci_u32_e32 v2, vcc_lo, v8, v2, vcc_lo
	s_waitcnt lgkmcnt(0)
	v_mul_lo_u32 v20, s27, v16
	s_delay_alu instid0(VALU_DEP_2) | instskip(SKIP_1) | instid1(VALU_DEP_1)
	v_mul_lo_u32 v2, s26, v2
	v_mad_u64_u32 v[7:8], null, s26, v16, v[0:1]
	v_add3_u32 v1, v20, v8, v2
	s_delay_alu instid0(VALU_DEP_2)
	v_dual_mov_b32 v0, v7 :: v_dual_mov_b32 v7, v9
	v_mov_b32_e32 v8, v10
	s_cbranch_scc0 .LBB111_7
.LBB111_83:                             ;   Parent Loop BB111_9 Depth=1
                                        ; =>  This Inner Loop Header: Depth=2
	s_load_b64 s[24:25], s[2:3], 0x0
                                        ; implicit-def: $vgpr9_vgpr10
	s_mov_b32 s0, exec_lo
	s_waitcnt lgkmcnt(0)
	v_or_b32_e32 v16, s25, v8
	s_delay_alu instid0(VALU_DEP_1)
	v_cmpx_ne_u64_e32 0, v[15:16]
	s_xor_b32 s26, exec_lo, s0
	s_cbranch_execz .LBB111_85
; %bb.84:                               ;   in Loop: Header=BB111_83 Depth=2
	v_cvt_f32_u32_e32 v2, s24
	v_cvt_f32_u32_e32 v9, s25
	s_sub_u32 s0, 0, s24
	s_subb_u32 s27, 0, s25
	s_delay_alu instid0(VALU_DEP_1) | instskip(NEXT) | instid1(VALU_DEP_1)
	v_fmac_f32_e32 v2, 0x4f800000, v9
	v_rcp_f32_e32 v2, v2
	s_waitcnt_depctr 0xfff
	v_mul_f32_e32 v2, 0x5f7ffffc, v2
	s_delay_alu instid0(VALU_DEP_1) | instskip(NEXT) | instid1(VALU_DEP_1)
	v_mul_f32_e32 v9, 0x2f800000, v2
	v_trunc_f32_e32 v9, v9
	s_delay_alu instid0(VALU_DEP_1) | instskip(SKIP_1) | instid1(VALU_DEP_2)
	v_fmac_f32_e32 v2, 0xcf800000, v9
	v_cvt_u32_f32_e32 v9, v9
	v_cvt_u32_f32_e32 v2, v2
	s_delay_alu instid0(VALU_DEP_2) | instskip(NEXT) | instid1(VALU_DEP_2)
	v_mul_lo_u32 v10, s0, v9
	v_mul_hi_u32 v16, s0, v2
	v_mul_lo_u32 v20, s27, v2
	s_delay_alu instid0(VALU_DEP_2) | instskip(SKIP_1) | instid1(VALU_DEP_2)
	v_add_nc_u32_e32 v10, v16, v10
	v_mul_lo_u32 v16, s0, v2
	v_add_nc_u32_e32 v10, v10, v20
	s_delay_alu instid0(VALU_DEP_2) | instskip(NEXT) | instid1(VALU_DEP_2)
	v_mul_hi_u32 v20, v2, v16
	v_mul_lo_u32 v21, v2, v10
	v_mul_hi_u32 v22, v2, v10
	v_mul_hi_u32 v23, v9, v16
	v_mul_lo_u32 v16, v9, v16
	v_mul_hi_u32 v24, v9, v10
	v_mul_lo_u32 v10, v9, v10
	v_add_co_u32 v20, vcc_lo, v20, v21
	v_add_co_ci_u32_e32 v21, vcc_lo, 0, v22, vcc_lo
	s_delay_alu instid0(VALU_DEP_2) | instskip(NEXT) | instid1(VALU_DEP_2)
	v_add_co_u32 v16, vcc_lo, v20, v16
	v_add_co_ci_u32_e32 v16, vcc_lo, v21, v23, vcc_lo
	v_add_co_ci_u32_e32 v20, vcc_lo, 0, v24, vcc_lo
	s_delay_alu instid0(VALU_DEP_2) | instskip(NEXT) | instid1(VALU_DEP_2)
	v_add_co_u32 v10, vcc_lo, v16, v10
	v_add_co_ci_u32_e32 v16, vcc_lo, 0, v20, vcc_lo
	s_delay_alu instid0(VALU_DEP_2) | instskip(NEXT) | instid1(VALU_DEP_2)
	v_add_co_u32 v2, vcc_lo, v2, v10
	v_add_co_ci_u32_e32 v9, vcc_lo, v9, v16, vcc_lo
	s_delay_alu instid0(VALU_DEP_2) | instskip(SKIP_1) | instid1(VALU_DEP_3)
	v_mul_hi_u32 v10, s0, v2
	v_mul_lo_u32 v20, s27, v2
	v_mul_lo_u32 v16, s0, v9
	s_delay_alu instid0(VALU_DEP_1) | instskip(SKIP_1) | instid1(VALU_DEP_2)
	v_add_nc_u32_e32 v10, v10, v16
	v_mul_lo_u32 v16, s0, v2
	v_add_nc_u32_e32 v10, v10, v20
	s_delay_alu instid0(VALU_DEP_2) | instskip(NEXT) | instid1(VALU_DEP_2)
	v_mul_hi_u32 v20, v2, v16
	v_mul_lo_u32 v21, v2, v10
	v_mul_hi_u32 v22, v2, v10
	v_mul_hi_u32 v23, v9, v16
	v_mul_lo_u32 v16, v9, v16
	v_mul_hi_u32 v24, v9, v10
	v_mul_lo_u32 v10, v9, v10
	v_add_co_u32 v20, vcc_lo, v20, v21
	v_add_co_ci_u32_e32 v21, vcc_lo, 0, v22, vcc_lo
	s_delay_alu instid0(VALU_DEP_2) | instskip(NEXT) | instid1(VALU_DEP_2)
	v_add_co_u32 v16, vcc_lo, v20, v16
	v_add_co_ci_u32_e32 v16, vcc_lo, v21, v23, vcc_lo
	v_add_co_ci_u32_e32 v20, vcc_lo, 0, v24, vcc_lo
	s_delay_alu instid0(VALU_DEP_2) | instskip(NEXT) | instid1(VALU_DEP_2)
	v_add_co_u32 v10, vcc_lo, v16, v10
	v_add_co_ci_u32_e32 v16, vcc_lo, 0, v20, vcc_lo
	s_delay_alu instid0(VALU_DEP_2) | instskip(NEXT) | instid1(VALU_DEP_2)
	v_add_co_u32 v2, vcc_lo, v2, v10
	v_add_co_ci_u32_e32 v16, vcc_lo, v9, v16, vcc_lo
	s_delay_alu instid0(VALU_DEP_2) | instskip(SKIP_1) | instid1(VALU_DEP_3)
	v_mul_hi_u32 v24, v7, v2
	v_mad_u64_u32 v[20:21], null, v8, v2, 0
	v_mad_u64_u32 v[9:10], null, v7, v16, 0
	v_mad_u64_u32 v[22:23], null, v8, v16, 0
	s_delay_alu instid0(VALU_DEP_2) | instskip(NEXT) | instid1(VALU_DEP_3)
	v_add_co_u32 v2, vcc_lo, v24, v9
	v_add_co_ci_u32_e32 v9, vcc_lo, 0, v10, vcc_lo
	s_delay_alu instid0(VALU_DEP_2) | instskip(NEXT) | instid1(VALU_DEP_2)
	v_add_co_u32 v2, vcc_lo, v2, v20
	v_add_co_ci_u32_e32 v2, vcc_lo, v9, v21, vcc_lo
	v_add_co_ci_u32_e32 v9, vcc_lo, 0, v23, vcc_lo
	s_delay_alu instid0(VALU_DEP_2) | instskip(NEXT) | instid1(VALU_DEP_2)
	v_add_co_u32 v2, vcc_lo, v2, v22
	v_add_co_ci_u32_e32 v16, vcc_lo, 0, v9, vcc_lo
	s_delay_alu instid0(VALU_DEP_2) | instskip(SKIP_1) | instid1(VALU_DEP_3)
	v_mul_lo_u32 v20, s25, v2
	v_mad_u64_u32 v[9:10], null, s24, v2, 0
	v_mul_lo_u32 v21, s24, v16
	s_delay_alu instid0(VALU_DEP_2) | instskip(NEXT) | instid1(VALU_DEP_2)
	v_sub_co_u32 v9, vcc_lo, v7, v9
	v_add3_u32 v10, v10, v21, v20
	s_delay_alu instid0(VALU_DEP_1) | instskip(NEXT) | instid1(VALU_DEP_1)
	v_sub_nc_u32_e32 v20, v8, v10
	v_subrev_co_ci_u32_e64 v20, s0, s25, v20, vcc_lo
	v_add_co_u32 v21, s0, v2, 2
	s_delay_alu instid0(VALU_DEP_1) | instskip(SKIP_3) | instid1(VALU_DEP_3)
	v_add_co_ci_u32_e64 v22, s0, 0, v16, s0
	v_sub_co_u32 v23, s0, v9, s24
	v_sub_co_ci_u32_e32 v10, vcc_lo, v8, v10, vcc_lo
	v_subrev_co_ci_u32_e64 v20, s0, 0, v20, s0
	v_cmp_le_u32_e32 vcc_lo, s24, v23
	s_delay_alu instid0(VALU_DEP_3) | instskip(SKIP_1) | instid1(VALU_DEP_4)
	v_cmp_eq_u32_e64 s0, s25, v10
	v_cndmask_b32_e64 v23, 0, -1, vcc_lo
	v_cmp_le_u32_e32 vcc_lo, s25, v20
	v_cndmask_b32_e64 v24, 0, -1, vcc_lo
	v_cmp_le_u32_e32 vcc_lo, s24, v9
	;; [unrolled: 2-line block ×3, first 2 shown]
	v_cndmask_b32_e64 v25, 0, -1, vcc_lo
	v_cmp_eq_u32_e32 vcc_lo, s25, v20
	s_delay_alu instid0(VALU_DEP_2) | instskip(SKIP_3) | instid1(VALU_DEP_3)
	v_cndmask_b32_e64 v9, v25, v9, s0
	v_cndmask_b32_e32 v20, v24, v23, vcc_lo
	v_add_co_u32 v23, vcc_lo, v2, 1
	v_add_co_ci_u32_e32 v24, vcc_lo, 0, v16, vcc_lo
	v_cmp_ne_u32_e32 vcc_lo, 0, v20
	s_delay_alu instid0(VALU_DEP_2) | instskip(NEXT) | instid1(VALU_DEP_4)
	v_cndmask_b32_e32 v10, v24, v22, vcc_lo
	v_cndmask_b32_e32 v20, v23, v21, vcc_lo
	v_cmp_ne_u32_e32 vcc_lo, 0, v9
	s_delay_alu instid0(VALU_DEP_2)
	v_dual_cndmask_b32 v9, v2, v20 :: v_dual_cndmask_b32 v10, v16, v10
.LBB111_85:                             ;   in Loop: Header=BB111_83 Depth=2
	s_and_not1_saveexec_b32 s0, s26
	s_cbranch_execz .LBB111_82
; %bb.86:                               ;   in Loop: Header=BB111_83 Depth=2
	v_cvt_f32_u32_e32 v2, s24
	s_sub_i32 s26, 0, s24
	s_delay_alu instid0(VALU_DEP_1) | instskip(SKIP_2) | instid1(VALU_DEP_1)
	v_rcp_iflag_f32_e32 v2, v2
	s_waitcnt_depctr 0xfff
	v_mul_f32_e32 v2, 0x4f7ffffe, v2
	v_cvt_u32_f32_e32 v2, v2
	s_delay_alu instid0(VALU_DEP_1) | instskip(NEXT) | instid1(VALU_DEP_1)
	v_mul_lo_u32 v9, s26, v2
	v_mul_hi_u32 v9, v2, v9
	s_delay_alu instid0(VALU_DEP_1) | instskip(NEXT) | instid1(VALU_DEP_1)
	v_add_nc_u32_e32 v2, v2, v9
	v_mul_hi_u32 v2, v7, v2
	s_delay_alu instid0(VALU_DEP_1) | instskip(SKIP_1) | instid1(VALU_DEP_2)
	v_mul_lo_u32 v9, v2, s24
	v_add_nc_u32_e32 v10, 1, v2
	v_sub_nc_u32_e32 v9, v7, v9
	s_delay_alu instid0(VALU_DEP_1) | instskip(SKIP_1) | instid1(VALU_DEP_2)
	v_subrev_nc_u32_e32 v16, s24, v9
	v_cmp_le_u32_e32 vcc_lo, s24, v9
	v_dual_cndmask_b32 v9, v9, v16 :: v_dual_cndmask_b32 v2, v2, v10
	s_delay_alu instid0(VALU_DEP_1) | instskip(NEXT) | instid1(VALU_DEP_2)
	v_cmp_le_u32_e32 vcc_lo, s24, v9
	v_add_nc_u32_e32 v10, 1, v2
	s_delay_alu instid0(VALU_DEP_1)
	v_dual_cndmask_b32 v9, v2, v10 :: v_dual_mov_b32 v10, v15
	s_branch .LBB111_82
.LBB111_87:
	s_endpgm
.LBB111_88:
                                        ; implicit-def: $sgpr2_sgpr3
	s_branch .LBB111_4
	.section	.rodata,"a",@progbits
	.p2align	6, 0x0
	.amdhsa_kernel _ZN2at6native12_GLOBAL__N_120fused_dropout_kernelIN3c108BFloat16EfmLin1ELin1EhEEvNS_4cuda6detail10TensorInfoIKT_T1_EENS7_IS8_SA_EENS7_IT4_SA_EESA_T0_NS_15PhiloxCudaStateE
		.amdhsa_group_segment_fixed_size 0
		.amdhsa_private_segment_fixed_size 0
		.amdhsa_kernarg_size 1552
		.amdhsa_user_sgpr_count 15
		.amdhsa_user_sgpr_dispatch_ptr 0
		.amdhsa_user_sgpr_queue_ptr 0
		.amdhsa_user_sgpr_kernarg_segment_ptr 1
		.amdhsa_user_sgpr_dispatch_id 0
		.amdhsa_user_sgpr_private_segment_size 0
		.amdhsa_wavefront_size32 1
		.amdhsa_uses_dynamic_stack 0
		.amdhsa_enable_private_segment 0
		.amdhsa_system_sgpr_workgroup_id_x 1
		.amdhsa_system_sgpr_workgroup_id_y 0
		.amdhsa_system_sgpr_workgroup_id_z 0
		.amdhsa_system_sgpr_workgroup_info 0
		.amdhsa_system_vgpr_workitem_id 0
		.amdhsa_next_free_vgpr 61
		.amdhsa_next_free_sgpr 42
		.amdhsa_reserve_vcc 1
		.amdhsa_float_round_mode_32 0
		.amdhsa_float_round_mode_16_64 0
		.amdhsa_float_denorm_mode_32 3
		.amdhsa_float_denorm_mode_16_64 3
		.amdhsa_dx10_clamp 1
		.amdhsa_ieee_mode 1
		.amdhsa_fp16_overflow 0
		.amdhsa_workgroup_processor_mode 1
		.amdhsa_memory_ordered 1
		.amdhsa_forward_progress 0
		.amdhsa_shared_vgpr_count 0
		.amdhsa_exception_fp_ieee_invalid_op 0
		.amdhsa_exception_fp_denorm_src 0
		.amdhsa_exception_fp_ieee_div_zero 0
		.amdhsa_exception_fp_ieee_overflow 0
		.amdhsa_exception_fp_ieee_underflow 0
		.amdhsa_exception_fp_ieee_inexact 0
		.amdhsa_exception_int_div_zero 0
	.end_amdhsa_kernel
	.section	.text._ZN2at6native12_GLOBAL__N_120fused_dropout_kernelIN3c108BFloat16EfmLin1ELin1EhEEvNS_4cuda6detail10TensorInfoIKT_T1_EENS7_IS8_SA_EENS7_IT4_SA_EESA_T0_NS_15PhiloxCudaStateE,"axG",@progbits,_ZN2at6native12_GLOBAL__N_120fused_dropout_kernelIN3c108BFloat16EfmLin1ELin1EhEEvNS_4cuda6detail10TensorInfoIKT_T1_EENS7_IS8_SA_EENS7_IT4_SA_EESA_T0_NS_15PhiloxCudaStateE,comdat
.Lfunc_end111:
	.size	_ZN2at6native12_GLOBAL__N_120fused_dropout_kernelIN3c108BFloat16EfmLin1ELin1EhEEvNS_4cuda6detail10TensorInfoIKT_T1_EENS7_IS8_SA_EENS7_IT4_SA_EESA_T0_NS_15PhiloxCudaStateE, .Lfunc_end111-_ZN2at6native12_GLOBAL__N_120fused_dropout_kernelIN3c108BFloat16EfmLin1ELin1EhEEvNS_4cuda6detail10TensorInfoIKT_T1_EENS7_IS8_SA_EENS7_IT4_SA_EESA_T0_NS_15PhiloxCudaStateE
                                        ; -- End function
	.section	.AMDGPU.csdata,"",@progbits
; Kernel info:
; codeLenInByte = 12812
; NumSgprs: 44
; NumVgprs: 61
; ScratchSize: 0
; MemoryBound: 0
; FloatMode: 240
; IeeeMode: 1
; LDSByteSize: 0 bytes/workgroup (compile time only)
; SGPRBlocks: 5
; VGPRBlocks: 7
; NumSGPRsForWavesPerEU: 44
; NumVGPRsForWavesPerEU: 61
; Occupancy: 16
; WaveLimiterHint : 1
; COMPUTE_PGM_RSRC2:SCRATCH_EN: 0
; COMPUTE_PGM_RSRC2:USER_SGPR: 15
; COMPUTE_PGM_RSRC2:TRAP_HANDLER: 0
; COMPUTE_PGM_RSRC2:TGID_X_EN: 1
; COMPUTE_PGM_RSRC2:TGID_Y_EN: 0
; COMPUTE_PGM_RSRC2:TGID_Z_EN: 0
; COMPUTE_PGM_RSRC2:TIDIG_COMP_CNT: 0
	.section	.text._ZN2at6native29vectorized_elementwise_kernelILi16EZNS0_12_GLOBAL__N_119masked_scale_kernelIbddEEvRNS_6TensorERKS4_S7_T1_EUldbE_St5arrayIPcLm3EEEEviT0_S8_,"axG",@progbits,_ZN2at6native29vectorized_elementwise_kernelILi16EZNS0_12_GLOBAL__N_119masked_scale_kernelIbddEEvRNS_6TensorERKS4_S7_T1_EUldbE_St5arrayIPcLm3EEEEviT0_S8_,comdat
	.globl	_ZN2at6native29vectorized_elementwise_kernelILi16EZNS0_12_GLOBAL__N_119masked_scale_kernelIbddEEvRNS_6TensorERKS4_S7_T1_EUldbE_St5arrayIPcLm3EEEEviT0_S8_ ; -- Begin function _ZN2at6native29vectorized_elementwise_kernelILi16EZNS0_12_GLOBAL__N_119masked_scale_kernelIbddEEvRNS_6TensorERKS4_S7_T1_EUldbE_St5arrayIPcLm3EEEEviT0_S8_
	.p2align	8
	.type	_ZN2at6native29vectorized_elementwise_kernelILi16EZNS0_12_GLOBAL__N_119masked_scale_kernelIbddEEvRNS_6TensorERKS4_S7_T1_EUldbE_St5arrayIPcLm3EEEEviT0_S8_,@function
_ZN2at6native29vectorized_elementwise_kernelILi16EZNS0_12_GLOBAL__N_119masked_scale_kernelIbddEEvRNS_6TensorERKS4_S7_T1_EUldbE_St5arrayIPcLm3EEEEviT0_S8_: ; @_ZN2at6native29vectorized_elementwise_kernelILi16EZNS0_12_GLOBAL__N_119masked_scale_kernelIbddEEvRNS_6TensorERKS4_S7_T1_EUldbE_St5arrayIPcLm3EEEEviT0_S8_
; %bb.0:
	s_clause 0x1
	s_load_b32 s3, s[0:1], 0x0
	s_load_b256 s[4:11], s[0:1], 0x8
	s_lshl_b32 s2, s15, 10
	s_mov_b32 s0, -1
	s_waitcnt lgkmcnt(0)
	s_sub_i32 s1, s3, s2
	s_delay_alu instid0(SALU_CYCLE_1)
	s_cmpk_gt_i32 s1, 0x3ff
	s_cbranch_scc0 .LBB112_2
; %bb.1:
	s_ashr_i32 s3, s2, 31
	v_lshlrev_b32_e32 v1, 2, v0
	s_lshl_b64 s[12:13], s[2:3], 3
	v_dual_mov_b32 v9, 0 :: v_dual_lshlrev_b32 v12, 5, v0
	s_add_u32 s14, s8, s12
	s_addc_u32 s15, s9, s13
	s_add_u32 s16, s10, s2
	s_addc_u32 s17, s11, s3
	s_add_u32 s12, s6, s12
	global_load_b32 v11, v1, s[16:17]
	s_clause 0x1
	global_load_b128 v[1:4], v12, s[14:15]
	global_load_b128 v[5:8], v12, s[14:15] offset:16
	s_addc_u32 s13, s7, s13
	s_mov_b32 s0, 0
	s_waitcnt vmcnt(2)
	v_and_b32_e32 v10, 0xff, v11
	v_and_b32_e32 v13, 0xff00, v11
	s_delay_alu instid0(VALU_DEP_2) | instskip(SKIP_1) | instid1(VALU_DEP_3)
	v_cmp_ne_u32_e32 vcc_lo, 0, v10
	v_cndmask_b32_e64 v10, 0, 0x3ff00000, vcc_lo
	v_cmp_ne_u32_e32 vcc_lo, 0, v13
	v_and_b32_e32 v13, 0xff0000, v11
	s_waitcnt vmcnt(1)
	s_delay_alu instid0(VALU_DEP_3) | instskip(SKIP_1) | instid1(VALU_DEP_3)
	v_mul_f64 v[1:2], v[1:2], v[9:10]
	v_cndmask_b32_e64 v10, 0, 0x3ff00000, vcc_lo
	v_cmp_ne_u32_e32 vcc_lo, 0, v13
	s_delay_alu instid0(VALU_DEP_2) | instskip(SKIP_3) | instid1(VALU_DEP_2)
	v_mul_f64 v[3:4], v[3:4], v[9:10]
	v_cndmask_b32_e64 v10, 0, 0x3ff00000, vcc_lo
	v_cmp_lt_u32_e32 vcc_lo, 0xffffff, v11
	s_waitcnt vmcnt(0)
	v_mul_f64 v[5:6], v[5:6], v[9:10]
	v_cndmask_b32_e64 v10, 0, 0x3ff00000, vcc_lo
	s_delay_alu instid0(VALU_DEP_1) | instskip(SKIP_3) | instid1(VALU_DEP_4)
	v_mul_f64 v[7:8], v[7:8], v[9:10]
	v_mul_f64 v[1:2], v[1:2], s[4:5]
	;; [unrolled: 1-line block ×5, first 2 shown]
	s_clause 0x1
	global_store_b128 v12, v[1:4], s[12:13]
	global_store_b128 v12, v[5:8], s[12:13] offset:16
.LBB112_2:
	s_and_not1_b32 vcc_lo, exec_lo, s0
	s_cbranch_vccnz .LBB112_21
; %bb.3:
	v_mov_b32_e32 v11, 0
	v_dual_mov_b32 v12, 0 :: v_dual_mov_b32 v1, v0
	v_cmp_gt_i32_e32 vcc_lo, s1, v0
	v_or_b32_e32 v9, s2, v0
	v_or_b32_e32 v27, 0x100, v0
	s_delay_alu instid0(VALU_DEP_4)
	v_dual_mov_b32 v14, v12 :: v_dual_mov_b32 v13, v11
	v_dual_mov_b32 v16, v12 :: v_dual_mov_b32 v15, v11
	s_and_saveexec_b32 s3, vcc_lo
	s_cbranch_execz .LBB112_5
; %bb.4:
	v_mov_b32_e32 v10, 0
	global_load_u8 v3, v9, s[10:11]
	v_lshlrev_b64 v[1:2], 3, v[9:10]
	v_mov_b32_e32 v15, v10
	s_delay_alu instid0(VALU_DEP_2) | instskip(NEXT) | instid1(VALU_DEP_1)
	v_add_co_u32 v1, s0, s8, v1
	v_add_co_ci_u32_e64 v2, s0, s9, v2, s0
	global_load_b64 v[13:14], v[1:2], off
	v_or_b32_e32 v1, 0x100, v0
	s_waitcnt vmcnt(1)
	v_cmp_ne_u16_e64 s0, 0, v3
	s_delay_alu instid0(VALU_DEP_1)
	v_cndmask_b32_e64 v16, 0, 0x3ff00000, s0
.LBB112_5:
	s_or_b32 exec_lo, exec_lo, s3
	v_dual_mov_b32 v20, v12 :: v_dual_mov_b32 v19, v11
	s_mov_b32 s3, exec_lo
	v_cmpx_gt_i32_e64 s1, v1
	s_cbranch_execz .LBB112_7
; %bb.6:
	v_dual_mov_b32 v3, 0 :: v_dual_add_nc_u32 v2, s2, v1
	v_add_nc_u32_e32 v1, 0x100, v1
	s_delay_alu instid0(VALU_DEP_2) | instskip(SKIP_3) | instid1(VALU_DEP_1)
	v_lshlrev_b64 v[4:5], 3, v[2:3]
	global_load_u8 v2, v2, s[10:11]
	v_mov_b32_e32 v19, v3
	v_add_co_u32 v4, s0, s8, v4
	v_add_co_ci_u32_e64 v5, s0, s9, v5, s0
	global_load_b64 v[11:12], v[4:5], off
	s_waitcnt vmcnt(1)
	v_cmp_ne_u16_e64 s0, 0, v2
	s_delay_alu instid0(VALU_DEP_1)
	v_cndmask_b32_e64 v20, 0, 0x3ff00000, s0
.LBB112_7:
	s_or_b32 exec_lo, exec_lo, s3
	v_mov_b32_e32 v17, 0
	v_mov_b32_e32 v18, 0
	s_mov_b32 s3, exec_lo
	s_delay_alu instid0(VALU_DEP_1)
	v_dual_mov_b32 v22, v18 :: v_dual_mov_b32 v21, v17
	v_dual_mov_b32 v24, v18 :: v_dual_mov_b32 v23, v17
	v_cmpx_gt_i32_e64 s1, v1
	s_cbranch_execz .LBB112_9
; %bb.8:
	v_dual_mov_b32 v3, 0 :: v_dual_add_nc_u32 v2, s2, v1
	v_add_nc_u32_e32 v1, 0x100, v1
	s_delay_alu instid0(VALU_DEP_2) | instskip(SKIP_3) | instid1(VALU_DEP_1)
	v_lshlrev_b64 v[4:5], 3, v[2:3]
	global_load_u8 v2, v2, s[10:11]
	v_mov_b32_e32 v23, v3
	v_add_co_u32 v4, s0, s8, v4
	v_add_co_ci_u32_e64 v5, s0, s9, v5, s0
	global_load_b64 v[21:22], v[4:5], off
	s_waitcnt vmcnt(1)
	v_cmp_ne_u16_e64 s0, 0, v2
	s_delay_alu instid0(VALU_DEP_1)
	v_cndmask_b32_e64 v24, 0, 0x3ff00000, s0
.LBB112_9:
	s_or_b32 exec_lo, exec_lo, s3
	v_dual_mov_b32 v26, v18 :: v_dual_mov_b32 v25, v17
	s_mov_b32 s3, exec_lo
	v_cmpx_gt_i32_e64 s1, v1
	s_cbranch_execnz .LBB112_22
; %bb.10:
	s_or_b32 exec_lo, exec_lo, s3
                                        ; implicit-def: $vgpr1_vgpr2_vgpr3_vgpr4_vgpr5_vgpr6_vgpr7_vgpr8
	s_and_saveexec_b32 s0, vcc_lo
	s_cbranch_execnz .LBB112_23
.LBB112_11:
	s_or_b32 exec_lo, exec_lo, s0
	s_delay_alu instid0(SALU_CYCLE_1)
	s_mov_b32 s3, exec_lo
	v_cmpx_gt_i32_e64 s1, v27
	s_cbranch_execz .LBB112_13
.LBB112_12:
	s_waitcnt vmcnt(0)
	v_mul_f64 v[3:4], v[11:12], v[19:20]
	s_delay_alu instid0(VALU_DEP_1)
	v_mul_f64 v[3:4], v[3:4], s[4:5]
.LBB112_13:
	s_or_b32 exec_lo, exec_lo, s3
	v_or_b32_e32 v10, 0x200, v0
	s_mov_b32 s3, exec_lo
	s_delay_alu instid0(VALU_DEP_1)
	v_cmpx_gt_i32_e64 s1, v10
	s_cbranch_execz .LBB112_15
; %bb.14:
	s_waitcnt vmcnt(0)
	v_mul_f64 v[5:6], v[21:22], v[23:24]
	s_delay_alu instid0(VALU_DEP_1)
	v_mul_f64 v[5:6], v[5:6], s[4:5]
.LBB112_15:
	s_or_b32 exec_lo, exec_lo, s3
	v_or_b32_e32 v10, 0x300, v0
	s_mov_b32 s3, exec_lo
	s_delay_alu instid0(VALU_DEP_1)
	v_cmpx_gt_i32_e64 s1, v10
	s_cbranch_execnz .LBB112_24
; %bb.16:
	s_or_b32 exec_lo, exec_lo, s3
	s_and_saveexec_b32 s0, vcc_lo
	s_delay_alu instid0(SALU_CYCLE_1)
	s_xor_b32 s0, exec_lo, s0
	s_cbranch_execnz .LBB112_25
.LBB112_17:
	s_or_b32 exec_lo, exec_lo, s0
	s_delay_alu instid0(SALU_CYCLE_1)
	s_mov_b32 s0, exec_lo
	v_cmpx_gt_i32_e64 s1, v0
	s_cbranch_execnz .LBB112_26
.LBB112_18:
	s_or_b32 exec_lo, exec_lo, s0
	s_delay_alu instid0(SALU_CYCLE_1)
	s_mov_b32 s0, exec_lo
	v_cmpx_gt_i32_e64 s1, v0
	s_cbranch_execnz .LBB112_27
.LBB112_19:
	s_or_b32 exec_lo, exec_lo, s0
	s_delay_alu instid0(SALU_CYCLE_1)
	s_mov_b32 s0, exec_lo
	v_cmpx_gt_i32_e64 s1, v0
	s_cbranch_execz .LBB112_21
.LBB112_20:
	v_dual_mov_b32 v1, 0 :: v_dual_add_nc_u32 v0, s2, v0
	s_delay_alu instid0(VALU_DEP_1) | instskip(NEXT) | instid1(VALU_DEP_1)
	v_lshlrev_b64 v[0:1], 3, v[0:1]
	v_add_co_u32 v0, vcc_lo, s6, v0
	s_delay_alu instid0(VALU_DEP_2)
	v_add_co_ci_u32_e32 v1, vcc_lo, s7, v1, vcc_lo
	global_store_b64 v[0:1], v[7:8], off
.LBB112_21:
	s_nop 0
	s_sendmsg sendmsg(MSG_DEALLOC_VGPRS)
	s_endpgm
.LBB112_22:
	v_dual_mov_b32 v2, 0 :: v_dual_add_nc_u32 v1, s2, v1
	s_delay_alu instid0(VALU_DEP_1) | instskip(SKIP_3) | instid1(VALU_DEP_1)
	v_lshlrev_b64 v[3:4], 3, v[1:2]
	global_load_u8 v1, v1, s[10:11]
	v_mov_b32_e32 v17, v2
	v_add_co_u32 v3, s0, s8, v3
	v_add_co_ci_u32_e64 v4, s0, s9, v4, s0
	global_load_b64 v[25:26], v[3:4], off
	s_waitcnt vmcnt(1)
	v_cmp_ne_u16_e64 s0, 0, v1
	s_delay_alu instid0(VALU_DEP_1)
	v_cndmask_b32_e64 v18, 0, 0x3ff00000, s0
	s_or_b32 exec_lo, exec_lo, s3
                                        ; implicit-def: $vgpr1_vgpr2_vgpr3_vgpr4_vgpr5_vgpr6_vgpr7_vgpr8
	s_and_saveexec_b32 s0, vcc_lo
	s_cbranch_execz .LBB112_11
.LBB112_23:
	s_waitcnt vmcnt(0)
	v_mul_f64 v[1:2], v[13:14], v[15:16]
	s_delay_alu instid0(VALU_DEP_1) | instskip(SKIP_1) | instid1(SALU_CYCLE_1)
	v_mul_f64 v[1:2], v[1:2], s[4:5]
	s_or_b32 exec_lo, exec_lo, s0
	s_mov_b32 s3, exec_lo
	v_cmpx_gt_i32_e64 s1, v27
	s_cbranch_execnz .LBB112_12
	s_branch .LBB112_13
.LBB112_24:
	s_waitcnt vmcnt(0)
	v_mul_f64 v[7:8], v[17:18], v[25:26]
	s_delay_alu instid0(VALU_DEP_1) | instskip(SKIP_2) | instid1(SALU_CYCLE_1)
	v_mul_f64 v[7:8], v[7:8], s[4:5]
	s_or_b32 exec_lo, exec_lo, s3
	s_and_saveexec_b32 s0, vcc_lo
	s_xor_b32 s0, exec_lo, s0
	s_cbranch_execz .LBB112_17
.LBB112_25:
	v_mov_b32_e32 v10, 0
	v_mov_b32_e32 v0, v27
	s_delay_alu instid0(VALU_DEP_2) | instskip(NEXT) | instid1(VALU_DEP_1)
	v_lshlrev_b64 v[9:10], 3, v[9:10]
	v_add_co_u32 v9, vcc_lo, s6, v9
	s_delay_alu instid0(VALU_DEP_2) | instskip(SKIP_2) | instid1(SALU_CYCLE_1)
	v_add_co_ci_u32_e32 v10, vcc_lo, s7, v10, vcc_lo
	global_store_b64 v[9:10], v[1:2], off
	s_or_b32 exec_lo, exec_lo, s0
	s_mov_b32 s0, exec_lo
	v_cmpx_gt_i32_e64 s1, v0
	s_cbranch_execz .LBB112_18
.LBB112_26:
	v_dual_mov_b32 v2, 0 :: v_dual_add_nc_u32 v1, s2, v0
	v_add_nc_u32_e32 v0, 0x100, v0
	s_delay_alu instid0(VALU_DEP_2) | instskip(NEXT) | instid1(VALU_DEP_1)
	v_lshlrev_b64 v[1:2], 3, v[1:2]
	v_add_co_u32 v1, vcc_lo, s6, v1
	s_delay_alu instid0(VALU_DEP_2) | instskip(SKIP_2) | instid1(SALU_CYCLE_1)
	v_add_co_ci_u32_e32 v2, vcc_lo, s7, v2, vcc_lo
	global_store_b64 v[1:2], v[3:4], off
	s_or_b32 exec_lo, exec_lo, s0
	s_mov_b32 s0, exec_lo
	v_cmpx_gt_i32_e64 s1, v0
	s_cbranch_execz .LBB112_19
.LBB112_27:
	v_dual_mov_b32 v2, 0 :: v_dual_add_nc_u32 v1, s2, v0
	v_add_nc_u32_e32 v0, 0x100, v0
	s_delay_alu instid0(VALU_DEP_2) | instskip(NEXT) | instid1(VALU_DEP_1)
	v_lshlrev_b64 v[1:2], 3, v[1:2]
	v_add_co_u32 v1, vcc_lo, s6, v1
	s_delay_alu instid0(VALU_DEP_2) | instskip(SKIP_2) | instid1(SALU_CYCLE_1)
	v_add_co_ci_u32_e32 v2, vcc_lo, s7, v2, vcc_lo
	global_store_b64 v[1:2], v[5:6], off
	s_or_b32 exec_lo, exec_lo, s0
	s_mov_b32 s0, exec_lo
	v_cmpx_gt_i32_e64 s1, v0
	s_cbranch_execnz .LBB112_20
	s_branch .LBB112_21
	.section	.rodata,"a",@progbits
	.p2align	6, 0x0
	.amdhsa_kernel _ZN2at6native29vectorized_elementwise_kernelILi16EZNS0_12_GLOBAL__N_119masked_scale_kernelIbddEEvRNS_6TensorERKS4_S7_T1_EUldbE_St5arrayIPcLm3EEEEviT0_S8_
		.amdhsa_group_segment_fixed_size 0
		.amdhsa_private_segment_fixed_size 0
		.amdhsa_kernarg_size 40
		.amdhsa_user_sgpr_count 15
		.amdhsa_user_sgpr_dispatch_ptr 0
		.amdhsa_user_sgpr_queue_ptr 0
		.amdhsa_user_sgpr_kernarg_segment_ptr 1
		.amdhsa_user_sgpr_dispatch_id 0
		.amdhsa_user_sgpr_private_segment_size 0
		.amdhsa_wavefront_size32 1
		.amdhsa_uses_dynamic_stack 0
		.amdhsa_enable_private_segment 0
		.amdhsa_system_sgpr_workgroup_id_x 1
		.amdhsa_system_sgpr_workgroup_id_y 0
		.amdhsa_system_sgpr_workgroup_id_z 0
		.amdhsa_system_sgpr_workgroup_info 0
		.amdhsa_system_vgpr_workitem_id 0
		.amdhsa_next_free_vgpr 28
		.amdhsa_next_free_sgpr 18
		.amdhsa_reserve_vcc 1
		.amdhsa_float_round_mode_32 0
		.amdhsa_float_round_mode_16_64 0
		.amdhsa_float_denorm_mode_32 3
		.amdhsa_float_denorm_mode_16_64 3
		.amdhsa_dx10_clamp 1
		.amdhsa_ieee_mode 1
		.amdhsa_fp16_overflow 0
		.amdhsa_workgroup_processor_mode 1
		.amdhsa_memory_ordered 1
		.amdhsa_forward_progress 0
		.amdhsa_shared_vgpr_count 0
		.amdhsa_exception_fp_ieee_invalid_op 0
		.amdhsa_exception_fp_denorm_src 0
		.amdhsa_exception_fp_ieee_div_zero 0
		.amdhsa_exception_fp_ieee_overflow 0
		.amdhsa_exception_fp_ieee_underflow 0
		.amdhsa_exception_fp_ieee_inexact 0
		.amdhsa_exception_int_div_zero 0
	.end_amdhsa_kernel
	.section	.text._ZN2at6native29vectorized_elementwise_kernelILi16EZNS0_12_GLOBAL__N_119masked_scale_kernelIbddEEvRNS_6TensorERKS4_S7_T1_EUldbE_St5arrayIPcLm3EEEEviT0_S8_,"axG",@progbits,_ZN2at6native29vectorized_elementwise_kernelILi16EZNS0_12_GLOBAL__N_119masked_scale_kernelIbddEEvRNS_6TensorERKS4_S7_T1_EUldbE_St5arrayIPcLm3EEEEviT0_S8_,comdat
.Lfunc_end112:
	.size	_ZN2at6native29vectorized_elementwise_kernelILi16EZNS0_12_GLOBAL__N_119masked_scale_kernelIbddEEvRNS_6TensorERKS4_S7_T1_EUldbE_St5arrayIPcLm3EEEEviT0_S8_, .Lfunc_end112-_ZN2at6native29vectorized_elementwise_kernelILi16EZNS0_12_GLOBAL__N_119masked_scale_kernelIbddEEvRNS_6TensorERKS4_S7_T1_EUldbE_St5arrayIPcLm3EEEEviT0_S8_
                                        ; -- End function
	.section	.AMDGPU.csdata,"",@progbits
; Kernel info:
; codeLenInByte = 1460
; NumSgprs: 20
; NumVgprs: 28
; ScratchSize: 0
; MemoryBound: 0
; FloatMode: 240
; IeeeMode: 1
; LDSByteSize: 0 bytes/workgroup (compile time only)
; SGPRBlocks: 2
; VGPRBlocks: 3
; NumSGPRsForWavesPerEU: 20
; NumVGPRsForWavesPerEU: 28
; Occupancy: 16
; WaveLimiterHint : 0
; COMPUTE_PGM_RSRC2:SCRATCH_EN: 0
; COMPUTE_PGM_RSRC2:USER_SGPR: 15
; COMPUTE_PGM_RSRC2:TRAP_HANDLER: 0
; COMPUTE_PGM_RSRC2:TGID_X_EN: 1
; COMPUTE_PGM_RSRC2:TGID_Y_EN: 0
; COMPUTE_PGM_RSRC2:TGID_Z_EN: 0
; COMPUTE_PGM_RSRC2:TIDIG_COMP_CNT: 0
	.section	.text._ZN2at6native29vectorized_elementwise_kernelILi8EZNS0_12_GLOBAL__N_119masked_scale_kernelIbddEEvRNS_6TensorERKS4_S7_T1_EUldbE_St5arrayIPcLm3EEEEviT0_S8_,"axG",@progbits,_ZN2at6native29vectorized_elementwise_kernelILi8EZNS0_12_GLOBAL__N_119masked_scale_kernelIbddEEvRNS_6TensorERKS4_S7_T1_EUldbE_St5arrayIPcLm3EEEEviT0_S8_,comdat
	.globl	_ZN2at6native29vectorized_elementwise_kernelILi8EZNS0_12_GLOBAL__N_119masked_scale_kernelIbddEEvRNS_6TensorERKS4_S7_T1_EUldbE_St5arrayIPcLm3EEEEviT0_S8_ ; -- Begin function _ZN2at6native29vectorized_elementwise_kernelILi8EZNS0_12_GLOBAL__N_119masked_scale_kernelIbddEEvRNS_6TensorERKS4_S7_T1_EUldbE_St5arrayIPcLm3EEEEviT0_S8_
	.p2align	8
	.type	_ZN2at6native29vectorized_elementwise_kernelILi8EZNS0_12_GLOBAL__N_119masked_scale_kernelIbddEEvRNS_6TensorERKS4_S7_T1_EUldbE_St5arrayIPcLm3EEEEviT0_S8_,@function
_ZN2at6native29vectorized_elementwise_kernelILi8EZNS0_12_GLOBAL__N_119masked_scale_kernelIbddEEvRNS_6TensorERKS4_S7_T1_EUldbE_St5arrayIPcLm3EEEEviT0_S8_: ; @_ZN2at6native29vectorized_elementwise_kernelILi8EZNS0_12_GLOBAL__N_119masked_scale_kernelIbddEEvRNS_6TensorERKS4_S7_T1_EUldbE_St5arrayIPcLm3EEEEviT0_S8_
; %bb.0:
	s_clause 0x1
	s_load_b32 s3, s[0:1], 0x0
	s_load_b256 s[4:11], s[0:1], 0x8
	s_lshl_b32 s2, s15, 10
	s_mov_b32 s0, -1
	s_waitcnt lgkmcnt(0)
	s_sub_i32 s1, s3, s2
	s_delay_alu instid0(SALU_CYCLE_1)
	s_cmpk_gt_i32 s1, 0x3ff
	s_cbranch_scc0 .LBB113_2
; %bb.1:
	s_ashr_i32 s3, s2, 31
	v_lshlrev_b32_e32 v1, 2, v0
	s_lshl_b64 s[12:13], s[2:3], 3
	v_dual_mov_b32 v9, 0 :: v_dual_lshlrev_b32 v12, 5, v0
	s_add_u32 s14, s8, s12
	s_addc_u32 s15, s9, s13
	s_add_u32 s16, s10, s2
	s_addc_u32 s17, s11, s3
	s_add_u32 s12, s6, s12
	global_load_b32 v11, v1, s[16:17]
	s_clause 0x1
	global_load_b128 v[1:4], v12, s[14:15]
	global_load_b128 v[5:8], v12, s[14:15] offset:16
	s_addc_u32 s13, s7, s13
	s_mov_b32 s0, 0
	s_waitcnt vmcnt(2)
	v_and_b32_e32 v10, 0xff, v11
	v_and_b32_e32 v13, 0xff00, v11
	s_delay_alu instid0(VALU_DEP_2) | instskip(SKIP_1) | instid1(VALU_DEP_3)
	v_cmp_ne_u32_e32 vcc_lo, 0, v10
	v_cndmask_b32_e64 v10, 0, 0x3ff00000, vcc_lo
	v_cmp_ne_u32_e32 vcc_lo, 0, v13
	v_and_b32_e32 v13, 0xff0000, v11
	s_waitcnt vmcnt(1)
	s_delay_alu instid0(VALU_DEP_3) | instskip(SKIP_1) | instid1(VALU_DEP_3)
	v_mul_f64 v[1:2], v[1:2], v[9:10]
	v_cndmask_b32_e64 v10, 0, 0x3ff00000, vcc_lo
	v_cmp_ne_u32_e32 vcc_lo, 0, v13
	s_delay_alu instid0(VALU_DEP_2) | instskip(SKIP_3) | instid1(VALU_DEP_2)
	v_mul_f64 v[3:4], v[3:4], v[9:10]
	v_cndmask_b32_e64 v10, 0, 0x3ff00000, vcc_lo
	v_cmp_lt_u32_e32 vcc_lo, 0xffffff, v11
	s_waitcnt vmcnt(0)
	v_mul_f64 v[5:6], v[5:6], v[9:10]
	v_cndmask_b32_e64 v10, 0, 0x3ff00000, vcc_lo
	s_delay_alu instid0(VALU_DEP_1) | instskip(SKIP_3) | instid1(VALU_DEP_4)
	v_mul_f64 v[7:8], v[7:8], v[9:10]
	v_mul_f64 v[1:2], v[1:2], s[4:5]
	;; [unrolled: 1-line block ×5, first 2 shown]
	s_clause 0x1
	global_store_b128 v12, v[1:4], s[12:13]
	global_store_b128 v12, v[5:8], s[12:13] offset:16
.LBB113_2:
	s_and_not1_b32 vcc_lo, exec_lo, s0
	s_cbranch_vccnz .LBB113_21
; %bb.3:
	v_mov_b32_e32 v11, 0
	v_dual_mov_b32 v12, 0 :: v_dual_mov_b32 v1, v0
	v_cmp_gt_i32_e32 vcc_lo, s1, v0
	v_or_b32_e32 v9, s2, v0
	v_or_b32_e32 v27, 0x100, v0
	s_delay_alu instid0(VALU_DEP_4)
	v_dual_mov_b32 v14, v12 :: v_dual_mov_b32 v13, v11
	v_dual_mov_b32 v16, v12 :: v_dual_mov_b32 v15, v11
	s_and_saveexec_b32 s3, vcc_lo
	s_cbranch_execz .LBB113_5
; %bb.4:
	v_mov_b32_e32 v10, 0
	global_load_u8 v3, v9, s[10:11]
	v_lshlrev_b64 v[1:2], 3, v[9:10]
	v_mov_b32_e32 v15, v10
	s_delay_alu instid0(VALU_DEP_2) | instskip(NEXT) | instid1(VALU_DEP_1)
	v_add_co_u32 v1, s0, s8, v1
	v_add_co_ci_u32_e64 v2, s0, s9, v2, s0
	global_load_b64 v[13:14], v[1:2], off
	v_or_b32_e32 v1, 0x100, v0
	s_waitcnt vmcnt(1)
	v_cmp_ne_u16_e64 s0, 0, v3
	s_delay_alu instid0(VALU_DEP_1)
	v_cndmask_b32_e64 v16, 0, 0x3ff00000, s0
.LBB113_5:
	s_or_b32 exec_lo, exec_lo, s3
	v_dual_mov_b32 v20, v12 :: v_dual_mov_b32 v19, v11
	s_mov_b32 s3, exec_lo
	v_cmpx_gt_i32_e64 s1, v1
	s_cbranch_execz .LBB113_7
; %bb.6:
	v_dual_mov_b32 v3, 0 :: v_dual_add_nc_u32 v2, s2, v1
	v_add_nc_u32_e32 v1, 0x100, v1
	s_delay_alu instid0(VALU_DEP_2) | instskip(SKIP_3) | instid1(VALU_DEP_1)
	v_lshlrev_b64 v[4:5], 3, v[2:3]
	global_load_u8 v2, v2, s[10:11]
	v_mov_b32_e32 v19, v3
	v_add_co_u32 v4, s0, s8, v4
	v_add_co_ci_u32_e64 v5, s0, s9, v5, s0
	global_load_b64 v[11:12], v[4:5], off
	s_waitcnt vmcnt(1)
	v_cmp_ne_u16_e64 s0, 0, v2
	s_delay_alu instid0(VALU_DEP_1)
	v_cndmask_b32_e64 v20, 0, 0x3ff00000, s0
.LBB113_7:
	s_or_b32 exec_lo, exec_lo, s3
	v_mov_b32_e32 v17, 0
	v_mov_b32_e32 v18, 0
	s_mov_b32 s3, exec_lo
	s_delay_alu instid0(VALU_DEP_1)
	v_dual_mov_b32 v22, v18 :: v_dual_mov_b32 v21, v17
	v_dual_mov_b32 v24, v18 :: v_dual_mov_b32 v23, v17
	v_cmpx_gt_i32_e64 s1, v1
	s_cbranch_execz .LBB113_9
; %bb.8:
	v_dual_mov_b32 v3, 0 :: v_dual_add_nc_u32 v2, s2, v1
	v_add_nc_u32_e32 v1, 0x100, v1
	s_delay_alu instid0(VALU_DEP_2) | instskip(SKIP_3) | instid1(VALU_DEP_1)
	v_lshlrev_b64 v[4:5], 3, v[2:3]
	global_load_u8 v2, v2, s[10:11]
	v_mov_b32_e32 v23, v3
	v_add_co_u32 v4, s0, s8, v4
	v_add_co_ci_u32_e64 v5, s0, s9, v5, s0
	global_load_b64 v[21:22], v[4:5], off
	s_waitcnt vmcnt(1)
	v_cmp_ne_u16_e64 s0, 0, v2
	s_delay_alu instid0(VALU_DEP_1)
	v_cndmask_b32_e64 v24, 0, 0x3ff00000, s0
.LBB113_9:
	s_or_b32 exec_lo, exec_lo, s3
	v_dual_mov_b32 v26, v18 :: v_dual_mov_b32 v25, v17
	s_mov_b32 s3, exec_lo
	v_cmpx_gt_i32_e64 s1, v1
	s_cbranch_execnz .LBB113_22
; %bb.10:
	s_or_b32 exec_lo, exec_lo, s3
                                        ; implicit-def: $vgpr1_vgpr2_vgpr3_vgpr4_vgpr5_vgpr6_vgpr7_vgpr8
	s_and_saveexec_b32 s0, vcc_lo
	s_cbranch_execnz .LBB113_23
.LBB113_11:
	s_or_b32 exec_lo, exec_lo, s0
	s_delay_alu instid0(SALU_CYCLE_1)
	s_mov_b32 s3, exec_lo
	v_cmpx_gt_i32_e64 s1, v27
	s_cbranch_execz .LBB113_13
.LBB113_12:
	s_waitcnt vmcnt(0)
	v_mul_f64 v[3:4], v[11:12], v[19:20]
	s_delay_alu instid0(VALU_DEP_1)
	v_mul_f64 v[3:4], v[3:4], s[4:5]
.LBB113_13:
	s_or_b32 exec_lo, exec_lo, s3
	v_or_b32_e32 v10, 0x200, v0
	s_mov_b32 s3, exec_lo
	s_delay_alu instid0(VALU_DEP_1)
	v_cmpx_gt_i32_e64 s1, v10
	s_cbranch_execz .LBB113_15
; %bb.14:
	s_waitcnt vmcnt(0)
	v_mul_f64 v[5:6], v[21:22], v[23:24]
	s_delay_alu instid0(VALU_DEP_1)
	v_mul_f64 v[5:6], v[5:6], s[4:5]
.LBB113_15:
	s_or_b32 exec_lo, exec_lo, s3
	v_or_b32_e32 v10, 0x300, v0
	s_mov_b32 s3, exec_lo
	s_delay_alu instid0(VALU_DEP_1)
	v_cmpx_gt_i32_e64 s1, v10
	s_cbranch_execnz .LBB113_24
; %bb.16:
	s_or_b32 exec_lo, exec_lo, s3
	s_and_saveexec_b32 s0, vcc_lo
	s_delay_alu instid0(SALU_CYCLE_1)
	s_xor_b32 s0, exec_lo, s0
	s_cbranch_execnz .LBB113_25
.LBB113_17:
	s_or_b32 exec_lo, exec_lo, s0
	s_delay_alu instid0(SALU_CYCLE_1)
	s_mov_b32 s0, exec_lo
	v_cmpx_gt_i32_e64 s1, v0
	s_cbranch_execnz .LBB113_26
.LBB113_18:
	s_or_b32 exec_lo, exec_lo, s0
	s_delay_alu instid0(SALU_CYCLE_1)
	s_mov_b32 s0, exec_lo
	v_cmpx_gt_i32_e64 s1, v0
	s_cbranch_execnz .LBB113_27
.LBB113_19:
	s_or_b32 exec_lo, exec_lo, s0
	s_delay_alu instid0(SALU_CYCLE_1)
	s_mov_b32 s0, exec_lo
	v_cmpx_gt_i32_e64 s1, v0
	s_cbranch_execz .LBB113_21
.LBB113_20:
	v_dual_mov_b32 v1, 0 :: v_dual_add_nc_u32 v0, s2, v0
	s_delay_alu instid0(VALU_DEP_1) | instskip(NEXT) | instid1(VALU_DEP_1)
	v_lshlrev_b64 v[0:1], 3, v[0:1]
	v_add_co_u32 v0, vcc_lo, s6, v0
	s_delay_alu instid0(VALU_DEP_2)
	v_add_co_ci_u32_e32 v1, vcc_lo, s7, v1, vcc_lo
	global_store_b64 v[0:1], v[7:8], off
.LBB113_21:
	s_nop 0
	s_sendmsg sendmsg(MSG_DEALLOC_VGPRS)
	s_endpgm
.LBB113_22:
	v_dual_mov_b32 v2, 0 :: v_dual_add_nc_u32 v1, s2, v1
	s_delay_alu instid0(VALU_DEP_1) | instskip(SKIP_3) | instid1(VALU_DEP_1)
	v_lshlrev_b64 v[3:4], 3, v[1:2]
	global_load_u8 v1, v1, s[10:11]
	v_mov_b32_e32 v17, v2
	v_add_co_u32 v3, s0, s8, v3
	v_add_co_ci_u32_e64 v4, s0, s9, v4, s0
	global_load_b64 v[25:26], v[3:4], off
	s_waitcnt vmcnt(1)
	v_cmp_ne_u16_e64 s0, 0, v1
	s_delay_alu instid0(VALU_DEP_1)
	v_cndmask_b32_e64 v18, 0, 0x3ff00000, s0
	s_or_b32 exec_lo, exec_lo, s3
                                        ; implicit-def: $vgpr1_vgpr2_vgpr3_vgpr4_vgpr5_vgpr6_vgpr7_vgpr8
	s_and_saveexec_b32 s0, vcc_lo
	s_cbranch_execz .LBB113_11
.LBB113_23:
	s_waitcnt vmcnt(0)
	v_mul_f64 v[1:2], v[13:14], v[15:16]
	s_delay_alu instid0(VALU_DEP_1) | instskip(SKIP_1) | instid1(SALU_CYCLE_1)
	v_mul_f64 v[1:2], v[1:2], s[4:5]
	s_or_b32 exec_lo, exec_lo, s0
	s_mov_b32 s3, exec_lo
	v_cmpx_gt_i32_e64 s1, v27
	s_cbranch_execnz .LBB113_12
	s_branch .LBB113_13
.LBB113_24:
	s_waitcnt vmcnt(0)
	v_mul_f64 v[7:8], v[17:18], v[25:26]
	s_delay_alu instid0(VALU_DEP_1) | instskip(SKIP_2) | instid1(SALU_CYCLE_1)
	v_mul_f64 v[7:8], v[7:8], s[4:5]
	s_or_b32 exec_lo, exec_lo, s3
	s_and_saveexec_b32 s0, vcc_lo
	s_xor_b32 s0, exec_lo, s0
	s_cbranch_execz .LBB113_17
.LBB113_25:
	v_mov_b32_e32 v10, 0
	v_mov_b32_e32 v0, v27
	s_delay_alu instid0(VALU_DEP_2) | instskip(NEXT) | instid1(VALU_DEP_1)
	v_lshlrev_b64 v[9:10], 3, v[9:10]
	v_add_co_u32 v9, vcc_lo, s6, v9
	s_delay_alu instid0(VALU_DEP_2) | instskip(SKIP_2) | instid1(SALU_CYCLE_1)
	v_add_co_ci_u32_e32 v10, vcc_lo, s7, v10, vcc_lo
	global_store_b64 v[9:10], v[1:2], off
	s_or_b32 exec_lo, exec_lo, s0
	s_mov_b32 s0, exec_lo
	v_cmpx_gt_i32_e64 s1, v0
	s_cbranch_execz .LBB113_18
.LBB113_26:
	v_dual_mov_b32 v2, 0 :: v_dual_add_nc_u32 v1, s2, v0
	v_add_nc_u32_e32 v0, 0x100, v0
	s_delay_alu instid0(VALU_DEP_2) | instskip(NEXT) | instid1(VALU_DEP_1)
	v_lshlrev_b64 v[1:2], 3, v[1:2]
	v_add_co_u32 v1, vcc_lo, s6, v1
	s_delay_alu instid0(VALU_DEP_2) | instskip(SKIP_2) | instid1(SALU_CYCLE_1)
	v_add_co_ci_u32_e32 v2, vcc_lo, s7, v2, vcc_lo
	global_store_b64 v[1:2], v[3:4], off
	s_or_b32 exec_lo, exec_lo, s0
	s_mov_b32 s0, exec_lo
	v_cmpx_gt_i32_e64 s1, v0
	s_cbranch_execz .LBB113_19
.LBB113_27:
	v_dual_mov_b32 v2, 0 :: v_dual_add_nc_u32 v1, s2, v0
	v_add_nc_u32_e32 v0, 0x100, v0
	s_delay_alu instid0(VALU_DEP_2) | instskip(NEXT) | instid1(VALU_DEP_1)
	v_lshlrev_b64 v[1:2], 3, v[1:2]
	v_add_co_u32 v1, vcc_lo, s6, v1
	s_delay_alu instid0(VALU_DEP_2) | instskip(SKIP_2) | instid1(SALU_CYCLE_1)
	v_add_co_ci_u32_e32 v2, vcc_lo, s7, v2, vcc_lo
	global_store_b64 v[1:2], v[5:6], off
	s_or_b32 exec_lo, exec_lo, s0
	s_mov_b32 s0, exec_lo
	v_cmpx_gt_i32_e64 s1, v0
	s_cbranch_execnz .LBB113_20
	s_branch .LBB113_21
	.section	.rodata,"a",@progbits
	.p2align	6, 0x0
	.amdhsa_kernel _ZN2at6native29vectorized_elementwise_kernelILi8EZNS0_12_GLOBAL__N_119masked_scale_kernelIbddEEvRNS_6TensorERKS4_S7_T1_EUldbE_St5arrayIPcLm3EEEEviT0_S8_
		.amdhsa_group_segment_fixed_size 0
		.amdhsa_private_segment_fixed_size 0
		.amdhsa_kernarg_size 40
		.amdhsa_user_sgpr_count 15
		.amdhsa_user_sgpr_dispatch_ptr 0
		.amdhsa_user_sgpr_queue_ptr 0
		.amdhsa_user_sgpr_kernarg_segment_ptr 1
		.amdhsa_user_sgpr_dispatch_id 0
		.amdhsa_user_sgpr_private_segment_size 0
		.amdhsa_wavefront_size32 1
		.amdhsa_uses_dynamic_stack 0
		.amdhsa_enable_private_segment 0
		.amdhsa_system_sgpr_workgroup_id_x 1
		.amdhsa_system_sgpr_workgroup_id_y 0
		.amdhsa_system_sgpr_workgroup_id_z 0
		.amdhsa_system_sgpr_workgroup_info 0
		.amdhsa_system_vgpr_workitem_id 0
		.amdhsa_next_free_vgpr 28
		.amdhsa_next_free_sgpr 18
		.amdhsa_reserve_vcc 1
		.amdhsa_float_round_mode_32 0
		.amdhsa_float_round_mode_16_64 0
		.amdhsa_float_denorm_mode_32 3
		.amdhsa_float_denorm_mode_16_64 3
		.amdhsa_dx10_clamp 1
		.amdhsa_ieee_mode 1
		.amdhsa_fp16_overflow 0
		.amdhsa_workgroup_processor_mode 1
		.amdhsa_memory_ordered 1
		.amdhsa_forward_progress 0
		.amdhsa_shared_vgpr_count 0
		.amdhsa_exception_fp_ieee_invalid_op 0
		.amdhsa_exception_fp_denorm_src 0
		.amdhsa_exception_fp_ieee_div_zero 0
		.amdhsa_exception_fp_ieee_overflow 0
		.amdhsa_exception_fp_ieee_underflow 0
		.amdhsa_exception_fp_ieee_inexact 0
		.amdhsa_exception_int_div_zero 0
	.end_amdhsa_kernel
	.section	.text._ZN2at6native29vectorized_elementwise_kernelILi8EZNS0_12_GLOBAL__N_119masked_scale_kernelIbddEEvRNS_6TensorERKS4_S7_T1_EUldbE_St5arrayIPcLm3EEEEviT0_S8_,"axG",@progbits,_ZN2at6native29vectorized_elementwise_kernelILi8EZNS0_12_GLOBAL__N_119masked_scale_kernelIbddEEvRNS_6TensorERKS4_S7_T1_EUldbE_St5arrayIPcLm3EEEEviT0_S8_,comdat
.Lfunc_end113:
	.size	_ZN2at6native29vectorized_elementwise_kernelILi8EZNS0_12_GLOBAL__N_119masked_scale_kernelIbddEEvRNS_6TensorERKS4_S7_T1_EUldbE_St5arrayIPcLm3EEEEviT0_S8_, .Lfunc_end113-_ZN2at6native29vectorized_elementwise_kernelILi8EZNS0_12_GLOBAL__N_119masked_scale_kernelIbddEEvRNS_6TensorERKS4_S7_T1_EUldbE_St5arrayIPcLm3EEEEviT0_S8_
                                        ; -- End function
	.section	.AMDGPU.csdata,"",@progbits
; Kernel info:
; codeLenInByte = 1460
; NumSgprs: 20
; NumVgprs: 28
; ScratchSize: 0
; MemoryBound: 0
; FloatMode: 240
; IeeeMode: 1
; LDSByteSize: 0 bytes/workgroup (compile time only)
; SGPRBlocks: 2
; VGPRBlocks: 3
; NumSGPRsForWavesPerEU: 20
; NumVGPRsForWavesPerEU: 28
; Occupancy: 16
; WaveLimiterHint : 0
; COMPUTE_PGM_RSRC2:SCRATCH_EN: 0
; COMPUTE_PGM_RSRC2:USER_SGPR: 15
; COMPUTE_PGM_RSRC2:TRAP_HANDLER: 0
; COMPUTE_PGM_RSRC2:TGID_X_EN: 1
; COMPUTE_PGM_RSRC2:TGID_Y_EN: 0
; COMPUTE_PGM_RSRC2:TGID_Z_EN: 0
; COMPUTE_PGM_RSRC2:TIDIG_COMP_CNT: 0
	.section	.text._ZN2at6native29vectorized_elementwise_kernelILi4EZNS0_12_GLOBAL__N_119masked_scale_kernelIbddEEvRNS_6TensorERKS4_S7_T1_EUldbE_St5arrayIPcLm3EEEEviT0_S8_,"axG",@progbits,_ZN2at6native29vectorized_elementwise_kernelILi4EZNS0_12_GLOBAL__N_119masked_scale_kernelIbddEEvRNS_6TensorERKS4_S7_T1_EUldbE_St5arrayIPcLm3EEEEviT0_S8_,comdat
	.globl	_ZN2at6native29vectorized_elementwise_kernelILi4EZNS0_12_GLOBAL__N_119masked_scale_kernelIbddEEvRNS_6TensorERKS4_S7_T1_EUldbE_St5arrayIPcLm3EEEEviT0_S8_ ; -- Begin function _ZN2at6native29vectorized_elementwise_kernelILi4EZNS0_12_GLOBAL__N_119masked_scale_kernelIbddEEvRNS_6TensorERKS4_S7_T1_EUldbE_St5arrayIPcLm3EEEEviT0_S8_
	.p2align	8
	.type	_ZN2at6native29vectorized_elementwise_kernelILi4EZNS0_12_GLOBAL__N_119masked_scale_kernelIbddEEvRNS_6TensorERKS4_S7_T1_EUldbE_St5arrayIPcLm3EEEEviT0_S8_,@function
_ZN2at6native29vectorized_elementwise_kernelILi4EZNS0_12_GLOBAL__N_119masked_scale_kernelIbddEEvRNS_6TensorERKS4_S7_T1_EUldbE_St5arrayIPcLm3EEEEviT0_S8_: ; @_ZN2at6native29vectorized_elementwise_kernelILi4EZNS0_12_GLOBAL__N_119masked_scale_kernelIbddEEvRNS_6TensorERKS4_S7_T1_EUldbE_St5arrayIPcLm3EEEEviT0_S8_
; %bb.0:
	s_clause 0x1
	s_load_b32 s3, s[0:1], 0x0
	s_load_b256 s[4:11], s[0:1], 0x8
	s_lshl_b32 s2, s15, 10
	s_mov_b32 s0, -1
	s_waitcnt lgkmcnt(0)
	s_sub_i32 s1, s3, s2
	s_delay_alu instid0(SALU_CYCLE_1)
	s_cmpk_gt_i32 s1, 0x3ff
	s_cbranch_scc0 .LBB114_2
; %bb.1:
	s_ashr_i32 s3, s2, 31
	v_lshlrev_b32_e32 v1, 2, v0
	s_lshl_b64 s[12:13], s[2:3], 3
	v_dual_mov_b32 v9, 0 :: v_dual_lshlrev_b32 v12, 5, v0
	s_add_u32 s14, s8, s12
	s_addc_u32 s15, s9, s13
	s_add_u32 s16, s10, s2
	s_addc_u32 s17, s11, s3
	s_add_u32 s12, s6, s12
	global_load_b32 v11, v1, s[16:17]
	s_clause 0x1
	global_load_b128 v[1:4], v12, s[14:15]
	global_load_b128 v[5:8], v12, s[14:15] offset:16
	s_addc_u32 s13, s7, s13
	s_mov_b32 s0, 0
	s_waitcnt vmcnt(2)
	v_and_b32_e32 v10, 0xff, v11
	v_and_b32_e32 v13, 0xff00, v11
	s_delay_alu instid0(VALU_DEP_2) | instskip(SKIP_1) | instid1(VALU_DEP_3)
	v_cmp_ne_u32_e32 vcc_lo, 0, v10
	v_cndmask_b32_e64 v10, 0, 0x3ff00000, vcc_lo
	v_cmp_ne_u32_e32 vcc_lo, 0, v13
	v_and_b32_e32 v13, 0xff0000, v11
	s_waitcnt vmcnt(1)
	s_delay_alu instid0(VALU_DEP_3) | instskip(SKIP_1) | instid1(VALU_DEP_3)
	v_mul_f64 v[1:2], v[1:2], v[9:10]
	v_cndmask_b32_e64 v10, 0, 0x3ff00000, vcc_lo
	v_cmp_ne_u32_e32 vcc_lo, 0, v13
	s_delay_alu instid0(VALU_DEP_2) | instskip(SKIP_3) | instid1(VALU_DEP_2)
	v_mul_f64 v[3:4], v[3:4], v[9:10]
	v_cndmask_b32_e64 v10, 0, 0x3ff00000, vcc_lo
	v_cmp_lt_u32_e32 vcc_lo, 0xffffff, v11
	s_waitcnt vmcnt(0)
	v_mul_f64 v[5:6], v[5:6], v[9:10]
	v_cndmask_b32_e64 v10, 0, 0x3ff00000, vcc_lo
	s_delay_alu instid0(VALU_DEP_1) | instskip(SKIP_3) | instid1(VALU_DEP_4)
	v_mul_f64 v[7:8], v[7:8], v[9:10]
	v_mul_f64 v[1:2], v[1:2], s[4:5]
	;; [unrolled: 1-line block ×5, first 2 shown]
	s_clause 0x1
	global_store_b128 v12, v[1:4], s[12:13]
	global_store_b128 v12, v[5:8], s[12:13] offset:16
.LBB114_2:
	s_and_not1_b32 vcc_lo, exec_lo, s0
	s_cbranch_vccnz .LBB114_21
; %bb.3:
	v_mov_b32_e32 v11, 0
	v_dual_mov_b32 v12, 0 :: v_dual_mov_b32 v1, v0
	v_cmp_gt_i32_e32 vcc_lo, s1, v0
	v_or_b32_e32 v9, s2, v0
	v_or_b32_e32 v27, 0x100, v0
	s_delay_alu instid0(VALU_DEP_4)
	v_dual_mov_b32 v14, v12 :: v_dual_mov_b32 v13, v11
	v_dual_mov_b32 v16, v12 :: v_dual_mov_b32 v15, v11
	s_and_saveexec_b32 s3, vcc_lo
	s_cbranch_execz .LBB114_5
; %bb.4:
	v_mov_b32_e32 v10, 0
	global_load_u8 v3, v9, s[10:11]
	v_lshlrev_b64 v[1:2], 3, v[9:10]
	v_mov_b32_e32 v15, v10
	s_delay_alu instid0(VALU_DEP_2) | instskip(NEXT) | instid1(VALU_DEP_1)
	v_add_co_u32 v1, s0, s8, v1
	v_add_co_ci_u32_e64 v2, s0, s9, v2, s0
	global_load_b64 v[13:14], v[1:2], off
	v_or_b32_e32 v1, 0x100, v0
	s_waitcnt vmcnt(1)
	v_cmp_ne_u16_e64 s0, 0, v3
	s_delay_alu instid0(VALU_DEP_1)
	v_cndmask_b32_e64 v16, 0, 0x3ff00000, s0
.LBB114_5:
	s_or_b32 exec_lo, exec_lo, s3
	v_dual_mov_b32 v20, v12 :: v_dual_mov_b32 v19, v11
	s_mov_b32 s3, exec_lo
	v_cmpx_gt_i32_e64 s1, v1
	s_cbranch_execz .LBB114_7
; %bb.6:
	v_dual_mov_b32 v3, 0 :: v_dual_add_nc_u32 v2, s2, v1
	v_add_nc_u32_e32 v1, 0x100, v1
	s_delay_alu instid0(VALU_DEP_2) | instskip(SKIP_3) | instid1(VALU_DEP_1)
	v_lshlrev_b64 v[4:5], 3, v[2:3]
	global_load_u8 v2, v2, s[10:11]
	v_mov_b32_e32 v19, v3
	v_add_co_u32 v4, s0, s8, v4
	v_add_co_ci_u32_e64 v5, s0, s9, v5, s0
	global_load_b64 v[11:12], v[4:5], off
	s_waitcnt vmcnt(1)
	v_cmp_ne_u16_e64 s0, 0, v2
	s_delay_alu instid0(VALU_DEP_1)
	v_cndmask_b32_e64 v20, 0, 0x3ff00000, s0
.LBB114_7:
	s_or_b32 exec_lo, exec_lo, s3
	v_mov_b32_e32 v17, 0
	v_mov_b32_e32 v18, 0
	s_mov_b32 s3, exec_lo
	s_delay_alu instid0(VALU_DEP_1)
	v_dual_mov_b32 v22, v18 :: v_dual_mov_b32 v21, v17
	v_dual_mov_b32 v24, v18 :: v_dual_mov_b32 v23, v17
	v_cmpx_gt_i32_e64 s1, v1
	s_cbranch_execz .LBB114_9
; %bb.8:
	v_dual_mov_b32 v3, 0 :: v_dual_add_nc_u32 v2, s2, v1
	v_add_nc_u32_e32 v1, 0x100, v1
	s_delay_alu instid0(VALU_DEP_2) | instskip(SKIP_3) | instid1(VALU_DEP_1)
	v_lshlrev_b64 v[4:5], 3, v[2:3]
	global_load_u8 v2, v2, s[10:11]
	v_mov_b32_e32 v23, v3
	v_add_co_u32 v4, s0, s8, v4
	v_add_co_ci_u32_e64 v5, s0, s9, v5, s0
	global_load_b64 v[21:22], v[4:5], off
	s_waitcnt vmcnt(1)
	v_cmp_ne_u16_e64 s0, 0, v2
	s_delay_alu instid0(VALU_DEP_1)
	v_cndmask_b32_e64 v24, 0, 0x3ff00000, s0
.LBB114_9:
	s_or_b32 exec_lo, exec_lo, s3
	v_dual_mov_b32 v26, v18 :: v_dual_mov_b32 v25, v17
	s_mov_b32 s3, exec_lo
	v_cmpx_gt_i32_e64 s1, v1
	s_cbranch_execnz .LBB114_22
; %bb.10:
	s_or_b32 exec_lo, exec_lo, s3
                                        ; implicit-def: $vgpr1_vgpr2_vgpr3_vgpr4_vgpr5_vgpr6_vgpr7_vgpr8
	s_and_saveexec_b32 s0, vcc_lo
	s_cbranch_execnz .LBB114_23
.LBB114_11:
	s_or_b32 exec_lo, exec_lo, s0
	s_delay_alu instid0(SALU_CYCLE_1)
	s_mov_b32 s3, exec_lo
	v_cmpx_gt_i32_e64 s1, v27
	s_cbranch_execz .LBB114_13
.LBB114_12:
	s_waitcnt vmcnt(0)
	v_mul_f64 v[3:4], v[11:12], v[19:20]
	s_delay_alu instid0(VALU_DEP_1)
	v_mul_f64 v[3:4], v[3:4], s[4:5]
.LBB114_13:
	s_or_b32 exec_lo, exec_lo, s3
	v_or_b32_e32 v10, 0x200, v0
	s_mov_b32 s3, exec_lo
	s_delay_alu instid0(VALU_DEP_1)
	v_cmpx_gt_i32_e64 s1, v10
	s_cbranch_execz .LBB114_15
; %bb.14:
	s_waitcnt vmcnt(0)
	v_mul_f64 v[5:6], v[21:22], v[23:24]
	s_delay_alu instid0(VALU_DEP_1)
	v_mul_f64 v[5:6], v[5:6], s[4:5]
.LBB114_15:
	s_or_b32 exec_lo, exec_lo, s3
	v_or_b32_e32 v10, 0x300, v0
	s_mov_b32 s3, exec_lo
	s_delay_alu instid0(VALU_DEP_1)
	v_cmpx_gt_i32_e64 s1, v10
	s_cbranch_execnz .LBB114_24
; %bb.16:
	s_or_b32 exec_lo, exec_lo, s3
	s_and_saveexec_b32 s0, vcc_lo
	s_delay_alu instid0(SALU_CYCLE_1)
	s_xor_b32 s0, exec_lo, s0
	s_cbranch_execnz .LBB114_25
.LBB114_17:
	s_or_b32 exec_lo, exec_lo, s0
	s_delay_alu instid0(SALU_CYCLE_1)
	s_mov_b32 s0, exec_lo
	v_cmpx_gt_i32_e64 s1, v0
	s_cbranch_execnz .LBB114_26
.LBB114_18:
	s_or_b32 exec_lo, exec_lo, s0
	s_delay_alu instid0(SALU_CYCLE_1)
	s_mov_b32 s0, exec_lo
	v_cmpx_gt_i32_e64 s1, v0
	s_cbranch_execnz .LBB114_27
.LBB114_19:
	s_or_b32 exec_lo, exec_lo, s0
	s_delay_alu instid0(SALU_CYCLE_1)
	s_mov_b32 s0, exec_lo
	v_cmpx_gt_i32_e64 s1, v0
	s_cbranch_execz .LBB114_21
.LBB114_20:
	v_dual_mov_b32 v1, 0 :: v_dual_add_nc_u32 v0, s2, v0
	s_delay_alu instid0(VALU_DEP_1) | instskip(NEXT) | instid1(VALU_DEP_1)
	v_lshlrev_b64 v[0:1], 3, v[0:1]
	v_add_co_u32 v0, vcc_lo, s6, v0
	s_delay_alu instid0(VALU_DEP_2)
	v_add_co_ci_u32_e32 v1, vcc_lo, s7, v1, vcc_lo
	global_store_b64 v[0:1], v[7:8], off
.LBB114_21:
	s_nop 0
	s_sendmsg sendmsg(MSG_DEALLOC_VGPRS)
	s_endpgm
.LBB114_22:
	v_dual_mov_b32 v2, 0 :: v_dual_add_nc_u32 v1, s2, v1
	s_delay_alu instid0(VALU_DEP_1) | instskip(SKIP_3) | instid1(VALU_DEP_1)
	v_lshlrev_b64 v[3:4], 3, v[1:2]
	global_load_u8 v1, v1, s[10:11]
	v_mov_b32_e32 v17, v2
	v_add_co_u32 v3, s0, s8, v3
	v_add_co_ci_u32_e64 v4, s0, s9, v4, s0
	global_load_b64 v[25:26], v[3:4], off
	s_waitcnt vmcnt(1)
	v_cmp_ne_u16_e64 s0, 0, v1
	s_delay_alu instid0(VALU_DEP_1)
	v_cndmask_b32_e64 v18, 0, 0x3ff00000, s0
	s_or_b32 exec_lo, exec_lo, s3
                                        ; implicit-def: $vgpr1_vgpr2_vgpr3_vgpr4_vgpr5_vgpr6_vgpr7_vgpr8
	s_and_saveexec_b32 s0, vcc_lo
	s_cbranch_execz .LBB114_11
.LBB114_23:
	s_waitcnt vmcnt(0)
	v_mul_f64 v[1:2], v[13:14], v[15:16]
	s_delay_alu instid0(VALU_DEP_1) | instskip(SKIP_1) | instid1(SALU_CYCLE_1)
	v_mul_f64 v[1:2], v[1:2], s[4:5]
	s_or_b32 exec_lo, exec_lo, s0
	s_mov_b32 s3, exec_lo
	v_cmpx_gt_i32_e64 s1, v27
	s_cbranch_execnz .LBB114_12
	s_branch .LBB114_13
.LBB114_24:
	s_waitcnt vmcnt(0)
	v_mul_f64 v[7:8], v[17:18], v[25:26]
	s_delay_alu instid0(VALU_DEP_1) | instskip(SKIP_2) | instid1(SALU_CYCLE_1)
	v_mul_f64 v[7:8], v[7:8], s[4:5]
	s_or_b32 exec_lo, exec_lo, s3
	s_and_saveexec_b32 s0, vcc_lo
	s_xor_b32 s0, exec_lo, s0
	s_cbranch_execz .LBB114_17
.LBB114_25:
	v_mov_b32_e32 v10, 0
	v_mov_b32_e32 v0, v27
	s_delay_alu instid0(VALU_DEP_2) | instskip(NEXT) | instid1(VALU_DEP_1)
	v_lshlrev_b64 v[9:10], 3, v[9:10]
	v_add_co_u32 v9, vcc_lo, s6, v9
	s_delay_alu instid0(VALU_DEP_2) | instskip(SKIP_2) | instid1(SALU_CYCLE_1)
	v_add_co_ci_u32_e32 v10, vcc_lo, s7, v10, vcc_lo
	global_store_b64 v[9:10], v[1:2], off
	s_or_b32 exec_lo, exec_lo, s0
	s_mov_b32 s0, exec_lo
	v_cmpx_gt_i32_e64 s1, v0
	s_cbranch_execz .LBB114_18
.LBB114_26:
	v_dual_mov_b32 v2, 0 :: v_dual_add_nc_u32 v1, s2, v0
	v_add_nc_u32_e32 v0, 0x100, v0
	s_delay_alu instid0(VALU_DEP_2) | instskip(NEXT) | instid1(VALU_DEP_1)
	v_lshlrev_b64 v[1:2], 3, v[1:2]
	v_add_co_u32 v1, vcc_lo, s6, v1
	s_delay_alu instid0(VALU_DEP_2) | instskip(SKIP_2) | instid1(SALU_CYCLE_1)
	v_add_co_ci_u32_e32 v2, vcc_lo, s7, v2, vcc_lo
	global_store_b64 v[1:2], v[3:4], off
	s_or_b32 exec_lo, exec_lo, s0
	s_mov_b32 s0, exec_lo
	v_cmpx_gt_i32_e64 s1, v0
	s_cbranch_execz .LBB114_19
.LBB114_27:
	v_dual_mov_b32 v2, 0 :: v_dual_add_nc_u32 v1, s2, v0
	v_add_nc_u32_e32 v0, 0x100, v0
	s_delay_alu instid0(VALU_DEP_2) | instskip(NEXT) | instid1(VALU_DEP_1)
	v_lshlrev_b64 v[1:2], 3, v[1:2]
	v_add_co_u32 v1, vcc_lo, s6, v1
	s_delay_alu instid0(VALU_DEP_2) | instskip(SKIP_2) | instid1(SALU_CYCLE_1)
	v_add_co_ci_u32_e32 v2, vcc_lo, s7, v2, vcc_lo
	global_store_b64 v[1:2], v[5:6], off
	s_or_b32 exec_lo, exec_lo, s0
	s_mov_b32 s0, exec_lo
	v_cmpx_gt_i32_e64 s1, v0
	s_cbranch_execnz .LBB114_20
	s_branch .LBB114_21
	.section	.rodata,"a",@progbits
	.p2align	6, 0x0
	.amdhsa_kernel _ZN2at6native29vectorized_elementwise_kernelILi4EZNS0_12_GLOBAL__N_119masked_scale_kernelIbddEEvRNS_6TensorERKS4_S7_T1_EUldbE_St5arrayIPcLm3EEEEviT0_S8_
		.amdhsa_group_segment_fixed_size 0
		.amdhsa_private_segment_fixed_size 0
		.amdhsa_kernarg_size 40
		.amdhsa_user_sgpr_count 15
		.amdhsa_user_sgpr_dispatch_ptr 0
		.amdhsa_user_sgpr_queue_ptr 0
		.amdhsa_user_sgpr_kernarg_segment_ptr 1
		.amdhsa_user_sgpr_dispatch_id 0
		.amdhsa_user_sgpr_private_segment_size 0
		.amdhsa_wavefront_size32 1
		.amdhsa_uses_dynamic_stack 0
		.amdhsa_enable_private_segment 0
		.amdhsa_system_sgpr_workgroup_id_x 1
		.amdhsa_system_sgpr_workgroup_id_y 0
		.amdhsa_system_sgpr_workgroup_id_z 0
		.amdhsa_system_sgpr_workgroup_info 0
		.amdhsa_system_vgpr_workitem_id 0
		.amdhsa_next_free_vgpr 28
		.amdhsa_next_free_sgpr 18
		.amdhsa_reserve_vcc 1
		.amdhsa_float_round_mode_32 0
		.amdhsa_float_round_mode_16_64 0
		.amdhsa_float_denorm_mode_32 3
		.amdhsa_float_denorm_mode_16_64 3
		.amdhsa_dx10_clamp 1
		.amdhsa_ieee_mode 1
		.amdhsa_fp16_overflow 0
		.amdhsa_workgroup_processor_mode 1
		.amdhsa_memory_ordered 1
		.amdhsa_forward_progress 0
		.amdhsa_shared_vgpr_count 0
		.amdhsa_exception_fp_ieee_invalid_op 0
		.amdhsa_exception_fp_denorm_src 0
		.amdhsa_exception_fp_ieee_div_zero 0
		.amdhsa_exception_fp_ieee_overflow 0
		.amdhsa_exception_fp_ieee_underflow 0
		.amdhsa_exception_fp_ieee_inexact 0
		.amdhsa_exception_int_div_zero 0
	.end_amdhsa_kernel
	.section	.text._ZN2at6native29vectorized_elementwise_kernelILi4EZNS0_12_GLOBAL__N_119masked_scale_kernelIbddEEvRNS_6TensorERKS4_S7_T1_EUldbE_St5arrayIPcLm3EEEEviT0_S8_,"axG",@progbits,_ZN2at6native29vectorized_elementwise_kernelILi4EZNS0_12_GLOBAL__N_119masked_scale_kernelIbddEEvRNS_6TensorERKS4_S7_T1_EUldbE_St5arrayIPcLm3EEEEviT0_S8_,comdat
.Lfunc_end114:
	.size	_ZN2at6native29vectorized_elementwise_kernelILi4EZNS0_12_GLOBAL__N_119masked_scale_kernelIbddEEvRNS_6TensorERKS4_S7_T1_EUldbE_St5arrayIPcLm3EEEEviT0_S8_, .Lfunc_end114-_ZN2at6native29vectorized_elementwise_kernelILi4EZNS0_12_GLOBAL__N_119masked_scale_kernelIbddEEvRNS_6TensorERKS4_S7_T1_EUldbE_St5arrayIPcLm3EEEEviT0_S8_
                                        ; -- End function
	.section	.AMDGPU.csdata,"",@progbits
; Kernel info:
; codeLenInByte = 1460
; NumSgprs: 20
; NumVgprs: 28
; ScratchSize: 0
; MemoryBound: 0
; FloatMode: 240
; IeeeMode: 1
; LDSByteSize: 0 bytes/workgroup (compile time only)
; SGPRBlocks: 2
; VGPRBlocks: 3
; NumSGPRsForWavesPerEU: 20
; NumVGPRsForWavesPerEU: 28
; Occupancy: 16
; WaveLimiterHint : 0
; COMPUTE_PGM_RSRC2:SCRATCH_EN: 0
; COMPUTE_PGM_RSRC2:USER_SGPR: 15
; COMPUTE_PGM_RSRC2:TRAP_HANDLER: 0
; COMPUTE_PGM_RSRC2:TGID_X_EN: 1
; COMPUTE_PGM_RSRC2:TGID_Y_EN: 0
; COMPUTE_PGM_RSRC2:TGID_Z_EN: 0
; COMPUTE_PGM_RSRC2:TIDIG_COMP_CNT: 0
	.section	.text._ZN2at6native29vectorized_elementwise_kernelILi2EZNS0_12_GLOBAL__N_119masked_scale_kernelIbddEEvRNS_6TensorERKS4_S7_T1_EUldbE_St5arrayIPcLm3EEEEviT0_S8_,"axG",@progbits,_ZN2at6native29vectorized_elementwise_kernelILi2EZNS0_12_GLOBAL__N_119masked_scale_kernelIbddEEvRNS_6TensorERKS4_S7_T1_EUldbE_St5arrayIPcLm3EEEEviT0_S8_,comdat
	.globl	_ZN2at6native29vectorized_elementwise_kernelILi2EZNS0_12_GLOBAL__N_119masked_scale_kernelIbddEEvRNS_6TensorERKS4_S7_T1_EUldbE_St5arrayIPcLm3EEEEviT0_S8_ ; -- Begin function _ZN2at6native29vectorized_elementwise_kernelILi2EZNS0_12_GLOBAL__N_119masked_scale_kernelIbddEEvRNS_6TensorERKS4_S7_T1_EUldbE_St5arrayIPcLm3EEEEviT0_S8_
	.p2align	8
	.type	_ZN2at6native29vectorized_elementwise_kernelILi2EZNS0_12_GLOBAL__N_119masked_scale_kernelIbddEEvRNS_6TensorERKS4_S7_T1_EUldbE_St5arrayIPcLm3EEEEviT0_S8_,@function
_ZN2at6native29vectorized_elementwise_kernelILi2EZNS0_12_GLOBAL__N_119masked_scale_kernelIbddEEvRNS_6TensorERKS4_S7_T1_EUldbE_St5arrayIPcLm3EEEEviT0_S8_: ; @_ZN2at6native29vectorized_elementwise_kernelILi2EZNS0_12_GLOBAL__N_119masked_scale_kernelIbddEEvRNS_6TensorERKS4_S7_T1_EUldbE_St5arrayIPcLm3EEEEviT0_S8_
; %bb.0:
	s_clause 0x1
	s_load_b32 s3, s[0:1], 0x0
	s_load_b256 s[4:11], s[0:1], 0x8
	s_lshl_b32 s2, s15, 10
	s_mov_b32 s0, -1
	s_waitcnt lgkmcnt(0)
	s_sub_i32 s1, s3, s2
	s_delay_alu instid0(SALU_CYCLE_1)
	s_cmpk_gt_i32 s1, 0x3ff
	s_cbranch_scc0 .LBB115_2
; %bb.1:
	s_ashr_i32 s3, s2, 31
	v_lshlrev_b32_e32 v5, 1, v0
	s_lshl_b64 s[12:13], s[2:3], 3
	v_dual_mov_b32 v9, 0 :: v_dual_lshlrev_b32 v12, 4, v0
	s_add_u32 s14, s8, s12
	s_addc_u32 s15, s9, s13
	s_add_u32 s16, s10, s2
	s_addc_u32 s17, s11, s3
	s_add_u32 s12, s6, s12
	global_load_u16 v11, v5, s[16:17]
	global_load_b128 v[1:4], v12, s[14:15]
	global_load_u16 v13, v5, s[16:17] offset:512
	v_add_co_u32 v5, s0, s14, v12
	s_delay_alu instid0(VALU_DEP_1) | instskip(SKIP_1) | instid1(VALU_DEP_2)
	v_add_co_ci_u32_e64 v6, null, s15, 0, s0
	s_addc_u32 s13, s7, s13
	v_add_co_u32 v5, vcc_lo, 0x1000, v5
	s_delay_alu instid0(VALU_DEP_2) | instskip(SKIP_3) | instid1(VALU_DEP_1)
	v_add_co_ci_u32_e32 v6, vcc_lo, 0, v6, vcc_lo
	global_load_b128 v[5:8], v[5:6], off
	s_waitcnt vmcnt(3)
	v_and_b32_e32 v10, 0xff, v11
	v_cmp_ne_u16_e32 vcc_lo, 0, v10
	v_cndmask_b32_e64 v10, 0, 0x3ff00000, vcc_lo
	v_cmp_lt_u16_e32 vcc_lo, 0xff, v11
	s_waitcnt vmcnt(1)
	v_and_b32_e32 v11, 0xff, v13
	s_delay_alu instid0(VALU_DEP_3) | instskip(SKIP_1) | instid1(VALU_DEP_3)
	v_mul_f64 v[1:2], v[1:2], v[9:10]
	v_cndmask_b32_e64 v10, 0, 0x3ff00000, vcc_lo
	v_cmp_ne_u16_e32 vcc_lo, 0, v11
	s_delay_alu instid0(VALU_DEP_2) | instskip(SKIP_3) | instid1(VALU_DEP_2)
	v_mul_f64 v[3:4], v[3:4], v[9:10]
	v_cndmask_b32_e64 v10, 0, 0x3ff00000, vcc_lo
	v_cmp_lt_u16_e32 vcc_lo, 0xff, v13
	s_waitcnt vmcnt(0)
	v_mul_f64 v[5:6], v[5:6], v[9:10]
	v_cndmask_b32_e64 v10, 0, 0x3ff00000, vcc_lo
	s_delay_alu instid0(VALU_DEP_1) | instskip(SKIP_1) | instid1(VALU_DEP_1)
	v_mul_f64 v[7:8], v[7:8], v[9:10]
	v_add_co_u32 v9, s0, s12, v12
	v_add_co_ci_u32_e64 v10, null, s13, 0, s0
	s_mov_b32 s0, 0
	s_delay_alu instid0(VALU_DEP_2) | instskip(NEXT) | instid1(VALU_DEP_2)
	v_add_co_u32 v9, vcc_lo, 0x1000, v9
	v_add_co_ci_u32_e32 v10, vcc_lo, 0, v10, vcc_lo
	v_mul_f64 v[1:2], v[1:2], s[4:5]
	v_mul_f64 v[3:4], v[3:4], s[4:5]
	;; [unrolled: 1-line block ×4, first 2 shown]
	s_clause 0x1
	global_store_b128 v12, v[1:4], s[12:13]
	global_store_b128 v[9:10], v[5:8], off
.LBB115_2:
	s_and_not1_b32 vcc_lo, exec_lo, s0
	s_cbranch_vccnz .LBB115_21
; %bb.3:
	v_mov_b32_e32 v11, 0
	v_dual_mov_b32 v12, 0 :: v_dual_mov_b32 v1, v0
	v_cmp_gt_i32_e32 vcc_lo, s1, v0
	v_or_b32_e32 v9, s2, v0
	v_or_b32_e32 v27, 0x100, v0
	s_delay_alu instid0(VALU_DEP_4)
	v_dual_mov_b32 v14, v12 :: v_dual_mov_b32 v13, v11
	v_dual_mov_b32 v16, v12 :: v_dual_mov_b32 v15, v11
	s_and_saveexec_b32 s3, vcc_lo
	s_cbranch_execz .LBB115_5
; %bb.4:
	v_mov_b32_e32 v10, 0
	global_load_u8 v3, v9, s[10:11]
	v_lshlrev_b64 v[1:2], 3, v[9:10]
	v_mov_b32_e32 v15, v10
	s_delay_alu instid0(VALU_DEP_2) | instskip(NEXT) | instid1(VALU_DEP_1)
	v_add_co_u32 v1, s0, s8, v1
	v_add_co_ci_u32_e64 v2, s0, s9, v2, s0
	global_load_b64 v[13:14], v[1:2], off
	v_or_b32_e32 v1, 0x100, v0
	s_waitcnt vmcnt(1)
	v_cmp_ne_u16_e64 s0, 0, v3
	s_delay_alu instid0(VALU_DEP_1)
	v_cndmask_b32_e64 v16, 0, 0x3ff00000, s0
.LBB115_5:
	s_or_b32 exec_lo, exec_lo, s3
	v_dual_mov_b32 v20, v12 :: v_dual_mov_b32 v19, v11
	s_mov_b32 s3, exec_lo
	v_cmpx_gt_i32_e64 s1, v1
	s_cbranch_execz .LBB115_7
; %bb.6:
	v_dual_mov_b32 v3, 0 :: v_dual_add_nc_u32 v2, s2, v1
	v_add_nc_u32_e32 v1, 0x100, v1
	s_delay_alu instid0(VALU_DEP_2) | instskip(SKIP_3) | instid1(VALU_DEP_1)
	v_lshlrev_b64 v[4:5], 3, v[2:3]
	global_load_u8 v2, v2, s[10:11]
	v_mov_b32_e32 v19, v3
	v_add_co_u32 v4, s0, s8, v4
	v_add_co_ci_u32_e64 v5, s0, s9, v5, s0
	global_load_b64 v[11:12], v[4:5], off
	s_waitcnt vmcnt(1)
	v_cmp_ne_u16_e64 s0, 0, v2
	s_delay_alu instid0(VALU_DEP_1)
	v_cndmask_b32_e64 v20, 0, 0x3ff00000, s0
.LBB115_7:
	s_or_b32 exec_lo, exec_lo, s3
	v_mov_b32_e32 v17, 0
	v_mov_b32_e32 v18, 0
	s_mov_b32 s3, exec_lo
	s_delay_alu instid0(VALU_DEP_1)
	v_dual_mov_b32 v22, v18 :: v_dual_mov_b32 v21, v17
	v_dual_mov_b32 v24, v18 :: v_dual_mov_b32 v23, v17
	v_cmpx_gt_i32_e64 s1, v1
	s_cbranch_execz .LBB115_9
; %bb.8:
	v_dual_mov_b32 v3, 0 :: v_dual_add_nc_u32 v2, s2, v1
	v_add_nc_u32_e32 v1, 0x100, v1
	s_delay_alu instid0(VALU_DEP_2) | instskip(SKIP_3) | instid1(VALU_DEP_1)
	v_lshlrev_b64 v[4:5], 3, v[2:3]
	global_load_u8 v2, v2, s[10:11]
	v_mov_b32_e32 v23, v3
	v_add_co_u32 v4, s0, s8, v4
	v_add_co_ci_u32_e64 v5, s0, s9, v5, s0
	global_load_b64 v[21:22], v[4:5], off
	s_waitcnt vmcnt(1)
	v_cmp_ne_u16_e64 s0, 0, v2
	s_delay_alu instid0(VALU_DEP_1)
	v_cndmask_b32_e64 v24, 0, 0x3ff00000, s0
.LBB115_9:
	s_or_b32 exec_lo, exec_lo, s3
	v_dual_mov_b32 v26, v18 :: v_dual_mov_b32 v25, v17
	s_mov_b32 s3, exec_lo
	v_cmpx_gt_i32_e64 s1, v1
	s_cbranch_execnz .LBB115_22
; %bb.10:
	s_or_b32 exec_lo, exec_lo, s3
                                        ; implicit-def: $vgpr1_vgpr2_vgpr3_vgpr4_vgpr5_vgpr6_vgpr7_vgpr8
	s_and_saveexec_b32 s0, vcc_lo
	s_cbranch_execnz .LBB115_23
.LBB115_11:
	s_or_b32 exec_lo, exec_lo, s0
	s_delay_alu instid0(SALU_CYCLE_1)
	s_mov_b32 s3, exec_lo
	v_cmpx_gt_i32_e64 s1, v27
	s_cbranch_execz .LBB115_13
.LBB115_12:
	s_waitcnt vmcnt(0)
	v_mul_f64 v[3:4], v[11:12], v[19:20]
	s_delay_alu instid0(VALU_DEP_1)
	v_mul_f64 v[3:4], v[3:4], s[4:5]
.LBB115_13:
	s_or_b32 exec_lo, exec_lo, s3
	v_or_b32_e32 v10, 0x200, v0
	s_mov_b32 s3, exec_lo
	s_delay_alu instid0(VALU_DEP_1)
	v_cmpx_gt_i32_e64 s1, v10
	s_cbranch_execz .LBB115_15
; %bb.14:
	s_waitcnt vmcnt(0)
	v_mul_f64 v[5:6], v[21:22], v[23:24]
	s_delay_alu instid0(VALU_DEP_1)
	v_mul_f64 v[5:6], v[5:6], s[4:5]
.LBB115_15:
	s_or_b32 exec_lo, exec_lo, s3
	v_or_b32_e32 v10, 0x300, v0
	s_mov_b32 s3, exec_lo
	s_delay_alu instid0(VALU_DEP_1)
	v_cmpx_gt_i32_e64 s1, v10
	s_cbranch_execnz .LBB115_24
; %bb.16:
	s_or_b32 exec_lo, exec_lo, s3
	s_and_saveexec_b32 s0, vcc_lo
	s_delay_alu instid0(SALU_CYCLE_1)
	s_xor_b32 s0, exec_lo, s0
	s_cbranch_execnz .LBB115_25
.LBB115_17:
	s_or_b32 exec_lo, exec_lo, s0
	s_delay_alu instid0(SALU_CYCLE_1)
	s_mov_b32 s0, exec_lo
	v_cmpx_gt_i32_e64 s1, v0
	s_cbranch_execnz .LBB115_26
.LBB115_18:
	s_or_b32 exec_lo, exec_lo, s0
	s_delay_alu instid0(SALU_CYCLE_1)
	s_mov_b32 s0, exec_lo
	v_cmpx_gt_i32_e64 s1, v0
	s_cbranch_execnz .LBB115_27
.LBB115_19:
	s_or_b32 exec_lo, exec_lo, s0
	s_delay_alu instid0(SALU_CYCLE_1)
	s_mov_b32 s0, exec_lo
	v_cmpx_gt_i32_e64 s1, v0
	s_cbranch_execz .LBB115_21
.LBB115_20:
	v_dual_mov_b32 v1, 0 :: v_dual_add_nc_u32 v0, s2, v0
	s_delay_alu instid0(VALU_DEP_1) | instskip(NEXT) | instid1(VALU_DEP_1)
	v_lshlrev_b64 v[0:1], 3, v[0:1]
	v_add_co_u32 v0, vcc_lo, s6, v0
	s_delay_alu instid0(VALU_DEP_2)
	v_add_co_ci_u32_e32 v1, vcc_lo, s7, v1, vcc_lo
	global_store_b64 v[0:1], v[7:8], off
.LBB115_21:
	s_nop 0
	s_sendmsg sendmsg(MSG_DEALLOC_VGPRS)
	s_endpgm
.LBB115_22:
	v_dual_mov_b32 v2, 0 :: v_dual_add_nc_u32 v1, s2, v1
	s_delay_alu instid0(VALU_DEP_1) | instskip(SKIP_3) | instid1(VALU_DEP_1)
	v_lshlrev_b64 v[3:4], 3, v[1:2]
	global_load_u8 v1, v1, s[10:11]
	v_mov_b32_e32 v17, v2
	v_add_co_u32 v3, s0, s8, v3
	v_add_co_ci_u32_e64 v4, s0, s9, v4, s0
	global_load_b64 v[25:26], v[3:4], off
	s_waitcnt vmcnt(1)
	v_cmp_ne_u16_e64 s0, 0, v1
	s_delay_alu instid0(VALU_DEP_1)
	v_cndmask_b32_e64 v18, 0, 0x3ff00000, s0
	s_or_b32 exec_lo, exec_lo, s3
                                        ; implicit-def: $vgpr1_vgpr2_vgpr3_vgpr4_vgpr5_vgpr6_vgpr7_vgpr8
	s_and_saveexec_b32 s0, vcc_lo
	s_cbranch_execz .LBB115_11
.LBB115_23:
	s_waitcnt vmcnt(0)
	v_mul_f64 v[1:2], v[13:14], v[15:16]
	s_delay_alu instid0(VALU_DEP_1) | instskip(SKIP_1) | instid1(SALU_CYCLE_1)
	v_mul_f64 v[1:2], v[1:2], s[4:5]
	s_or_b32 exec_lo, exec_lo, s0
	s_mov_b32 s3, exec_lo
	v_cmpx_gt_i32_e64 s1, v27
	s_cbranch_execnz .LBB115_12
	s_branch .LBB115_13
.LBB115_24:
	s_waitcnt vmcnt(0)
	v_mul_f64 v[7:8], v[17:18], v[25:26]
	s_delay_alu instid0(VALU_DEP_1) | instskip(SKIP_2) | instid1(SALU_CYCLE_1)
	v_mul_f64 v[7:8], v[7:8], s[4:5]
	s_or_b32 exec_lo, exec_lo, s3
	s_and_saveexec_b32 s0, vcc_lo
	s_xor_b32 s0, exec_lo, s0
	s_cbranch_execz .LBB115_17
.LBB115_25:
	v_mov_b32_e32 v10, 0
	v_mov_b32_e32 v0, v27
	s_delay_alu instid0(VALU_DEP_2) | instskip(NEXT) | instid1(VALU_DEP_1)
	v_lshlrev_b64 v[9:10], 3, v[9:10]
	v_add_co_u32 v9, vcc_lo, s6, v9
	s_delay_alu instid0(VALU_DEP_2) | instskip(SKIP_2) | instid1(SALU_CYCLE_1)
	v_add_co_ci_u32_e32 v10, vcc_lo, s7, v10, vcc_lo
	global_store_b64 v[9:10], v[1:2], off
	s_or_b32 exec_lo, exec_lo, s0
	s_mov_b32 s0, exec_lo
	v_cmpx_gt_i32_e64 s1, v0
	s_cbranch_execz .LBB115_18
.LBB115_26:
	v_dual_mov_b32 v2, 0 :: v_dual_add_nc_u32 v1, s2, v0
	v_add_nc_u32_e32 v0, 0x100, v0
	s_delay_alu instid0(VALU_DEP_2) | instskip(NEXT) | instid1(VALU_DEP_1)
	v_lshlrev_b64 v[1:2], 3, v[1:2]
	v_add_co_u32 v1, vcc_lo, s6, v1
	s_delay_alu instid0(VALU_DEP_2) | instskip(SKIP_2) | instid1(SALU_CYCLE_1)
	v_add_co_ci_u32_e32 v2, vcc_lo, s7, v2, vcc_lo
	global_store_b64 v[1:2], v[3:4], off
	s_or_b32 exec_lo, exec_lo, s0
	s_mov_b32 s0, exec_lo
	v_cmpx_gt_i32_e64 s1, v0
	s_cbranch_execz .LBB115_19
.LBB115_27:
	v_dual_mov_b32 v2, 0 :: v_dual_add_nc_u32 v1, s2, v0
	v_add_nc_u32_e32 v0, 0x100, v0
	s_delay_alu instid0(VALU_DEP_2) | instskip(NEXT) | instid1(VALU_DEP_1)
	v_lshlrev_b64 v[1:2], 3, v[1:2]
	v_add_co_u32 v1, vcc_lo, s6, v1
	s_delay_alu instid0(VALU_DEP_2) | instskip(SKIP_2) | instid1(SALU_CYCLE_1)
	v_add_co_ci_u32_e32 v2, vcc_lo, s7, v2, vcc_lo
	global_store_b64 v[1:2], v[5:6], off
	s_or_b32 exec_lo, exec_lo, s0
	s_mov_b32 s0, exec_lo
	v_cmpx_gt_i32_e64 s1, v0
	s_cbranch_execnz .LBB115_20
	s_branch .LBB115_21
	.section	.rodata,"a",@progbits
	.p2align	6, 0x0
	.amdhsa_kernel _ZN2at6native29vectorized_elementwise_kernelILi2EZNS0_12_GLOBAL__N_119masked_scale_kernelIbddEEvRNS_6TensorERKS4_S7_T1_EUldbE_St5arrayIPcLm3EEEEviT0_S8_
		.amdhsa_group_segment_fixed_size 0
		.amdhsa_private_segment_fixed_size 0
		.amdhsa_kernarg_size 40
		.amdhsa_user_sgpr_count 15
		.amdhsa_user_sgpr_dispatch_ptr 0
		.amdhsa_user_sgpr_queue_ptr 0
		.amdhsa_user_sgpr_kernarg_segment_ptr 1
		.amdhsa_user_sgpr_dispatch_id 0
		.amdhsa_user_sgpr_private_segment_size 0
		.amdhsa_wavefront_size32 1
		.amdhsa_uses_dynamic_stack 0
		.amdhsa_enable_private_segment 0
		.amdhsa_system_sgpr_workgroup_id_x 1
		.amdhsa_system_sgpr_workgroup_id_y 0
		.amdhsa_system_sgpr_workgroup_id_z 0
		.amdhsa_system_sgpr_workgroup_info 0
		.amdhsa_system_vgpr_workitem_id 0
		.amdhsa_next_free_vgpr 28
		.amdhsa_next_free_sgpr 18
		.amdhsa_reserve_vcc 1
		.amdhsa_float_round_mode_32 0
		.amdhsa_float_round_mode_16_64 0
		.amdhsa_float_denorm_mode_32 3
		.amdhsa_float_denorm_mode_16_64 3
		.amdhsa_dx10_clamp 1
		.amdhsa_ieee_mode 1
		.amdhsa_fp16_overflow 0
		.amdhsa_workgroup_processor_mode 1
		.amdhsa_memory_ordered 1
		.amdhsa_forward_progress 0
		.amdhsa_shared_vgpr_count 0
		.amdhsa_exception_fp_ieee_invalid_op 0
		.amdhsa_exception_fp_denorm_src 0
		.amdhsa_exception_fp_ieee_div_zero 0
		.amdhsa_exception_fp_ieee_overflow 0
		.amdhsa_exception_fp_ieee_underflow 0
		.amdhsa_exception_fp_ieee_inexact 0
		.amdhsa_exception_int_div_zero 0
	.end_amdhsa_kernel
	.section	.text._ZN2at6native29vectorized_elementwise_kernelILi2EZNS0_12_GLOBAL__N_119masked_scale_kernelIbddEEvRNS_6TensorERKS4_S7_T1_EUldbE_St5arrayIPcLm3EEEEviT0_S8_,"axG",@progbits,_ZN2at6native29vectorized_elementwise_kernelILi2EZNS0_12_GLOBAL__N_119masked_scale_kernelIbddEEvRNS_6TensorERKS4_S7_T1_EUldbE_St5arrayIPcLm3EEEEviT0_S8_,comdat
.Lfunc_end115:
	.size	_ZN2at6native29vectorized_elementwise_kernelILi2EZNS0_12_GLOBAL__N_119masked_scale_kernelIbddEEvRNS_6TensorERKS4_S7_T1_EUldbE_St5arrayIPcLm3EEEEviT0_S8_, .Lfunc_end115-_ZN2at6native29vectorized_elementwise_kernelILi2EZNS0_12_GLOBAL__N_119masked_scale_kernelIbddEEvRNS_6TensorERKS4_S7_T1_EUldbE_St5arrayIPcLm3EEEEviT0_S8_
                                        ; -- End function
	.section	.AMDGPU.csdata,"",@progbits
; Kernel info:
; codeLenInByte = 1532
; NumSgprs: 20
; NumVgprs: 28
; ScratchSize: 0
; MemoryBound: 0
; FloatMode: 240
; IeeeMode: 1
; LDSByteSize: 0 bytes/workgroup (compile time only)
; SGPRBlocks: 2
; VGPRBlocks: 3
; NumSGPRsForWavesPerEU: 20
; NumVGPRsForWavesPerEU: 28
; Occupancy: 16
; WaveLimiterHint : 1
; COMPUTE_PGM_RSRC2:SCRATCH_EN: 0
; COMPUTE_PGM_RSRC2:USER_SGPR: 15
; COMPUTE_PGM_RSRC2:TRAP_HANDLER: 0
; COMPUTE_PGM_RSRC2:TGID_X_EN: 1
; COMPUTE_PGM_RSRC2:TGID_Y_EN: 0
; COMPUTE_PGM_RSRC2:TGID_Z_EN: 0
; COMPUTE_PGM_RSRC2:TIDIG_COMP_CNT: 0
	.section	.text._ZN2at6native27unrolled_elementwise_kernelIZNS0_12_GLOBAL__N_119masked_scale_kernelIbddEEvRNS_6TensorERKS4_S7_T1_EUldbE_St5arrayIPcLm3EELi4E23TrivialOffsetCalculatorILi2EjESD_ILi1EjENS0_6memory15LoadWithoutCastENSG_16StoreWithoutCastEEEviT_T0_T2_T3_T4_T5_,"axG",@progbits,_ZN2at6native27unrolled_elementwise_kernelIZNS0_12_GLOBAL__N_119masked_scale_kernelIbddEEvRNS_6TensorERKS4_S7_T1_EUldbE_St5arrayIPcLm3EELi4E23TrivialOffsetCalculatorILi2EjESD_ILi1EjENS0_6memory15LoadWithoutCastENSG_16StoreWithoutCastEEEviT_T0_T2_T3_T4_T5_,comdat
	.globl	_ZN2at6native27unrolled_elementwise_kernelIZNS0_12_GLOBAL__N_119masked_scale_kernelIbddEEvRNS_6TensorERKS4_S7_T1_EUldbE_St5arrayIPcLm3EELi4E23TrivialOffsetCalculatorILi2EjESD_ILi1EjENS0_6memory15LoadWithoutCastENSG_16StoreWithoutCastEEEviT_T0_T2_T3_T4_T5_ ; -- Begin function _ZN2at6native27unrolled_elementwise_kernelIZNS0_12_GLOBAL__N_119masked_scale_kernelIbddEEvRNS_6TensorERKS4_S7_T1_EUldbE_St5arrayIPcLm3EELi4E23TrivialOffsetCalculatorILi2EjESD_ILi1EjENS0_6memory15LoadWithoutCastENSG_16StoreWithoutCastEEEviT_T0_T2_T3_T4_T5_
	.p2align	8
	.type	_ZN2at6native27unrolled_elementwise_kernelIZNS0_12_GLOBAL__N_119masked_scale_kernelIbddEEvRNS_6TensorERKS4_S7_T1_EUldbE_St5arrayIPcLm3EELi4E23TrivialOffsetCalculatorILi2EjESD_ILi1EjENS0_6memory15LoadWithoutCastENSG_16StoreWithoutCastEEEviT_T0_T2_T3_T4_T5_,@function
_ZN2at6native27unrolled_elementwise_kernelIZNS0_12_GLOBAL__N_119masked_scale_kernelIbddEEvRNS_6TensorERKS4_S7_T1_EUldbE_St5arrayIPcLm3EELi4E23TrivialOffsetCalculatorILi2EjESD_ILi1EjENS0_6memory15LoadWithoutCastENSG_16StoreWithoutCastEEEviT_T0_T2_T3_T4_T5_: ; @_ZN2at6native27unrolled_elementwise_kernelIZNS0_12_GLOBAL__N_119masked_scale_kernelIbddEEvRNS_6TensorERKS4_S7_T1_EUldbE_St5arrayIPcLm3EELi4E23TrivialOffsetCalculatorILi2EjESD_ILi1EjENS0_6memory15LoadWithoutCastENSG_16StoreWithoutCastEEEviT_T0_T2_T3_T4_T5_
; %bb.0:
	s_clause 0x1
	s_load_b32 s2, s[0:1], 0x0
	s_load_b256 s[4:11], s[0:1], 0x8
	v_mov_b32_e32 v11, 0
	v_dual_mov_b32 v12, 0 :: v_dual_mov_b32 v1, v0
	s_lshl_b32 s1, s15, 10
	v_or_b32_e32 v27, 0x100, v0
	v_or_b32_e32 v9, s1, v0
	s_delay_alu instid0(VALU_DEP_3) | instskip(SKIP_3) | instid1(SALU_CYCLE_1)
	v_dual_mov_b32 v14, v12 :: v_dual_mov_b32 v13, v11
	v_dual_mov_b32 v16, v12 :: v_dual_mov_b32 v15, v11
	s_waitcnt lgkmcnt(0)
	s_sub_i32 s2, s2, s1
	v_cmp_gt_i32_e32 vcc_lo, s2, v0
	s_and_saveexec_b32 s3, vcc_lo
	s_cbranch_execz .LBB116_2
; %bb.1:
	v_mov_b32_e32 v10, 0
	global_load_u8 v3, v9, s[10:11]
	v_lshlrev_b64 v[1:2], 3, v[9:10]
	v_mov_b32_e32 v15, v10
	s_delay_alu instid0(VALU_DEP_2) | instskip(NEXT) | instid1(VALU_DEP_1)
	v_add_co_u32 v1, s0, s8, v1
	v_add_co_ci_u32_e64 v2, s0, s9, v2, s0
	global_load_b64 v[13:14], v[1:2], off
	v_or_b32_e32 v1, 0x100, v0
	s_waitcnt vmcnt(1)
	v_cmp_ne_u16_e64 s0, 0, v3
	s_delay_alu instid0(VALU_DEP_1)
	v_cndmask_b32_e64 v16, 0, 0x3ff00000, s0
.LBB116_2:
	s_or_b32 exec_lo, exec_lo, s3
	v_dual_mov_b32 v20, v12 :: v_dual_mov_b32 v19, v11
	s_mov_b32 s3, exec_lo
	v_cmpx_gt_i32_e64 s2, v1
	s_cbranch_execz .LBB116_4
; %bb.3:
	v_dual_mov_b32 v3, 0 :: v_dual_add_nc_u32 v2, s1, v1
	v_add_nc_u32_e32 v1, 0x100, v1
	s_delay_alu instid0(VALU_DEP_2) | instskip(SKIP_3) | instid1(VALU_DEP_1)
	v_lshlrev_b64 v[4:5], 3, v[2:3]
	global_load_u8 v2, v2, s[10:11]
	v_mov_b32_e32 v19, v3
	v_add_co_u32 v4, s0, s8, v4
	v_add_co_ci_u32_e64 v5, s0, s9, v5, s0
	global_load_b64 v[11:12], v[4:5], off
	s_waitcnt vmcnt(1)
	v_cmp_ne_u16_e64 s0, 0, v2
	s_delay_alu instid0(VALU_DEP_1)
	v_cndmask_b32_e64 v20, 0, 0x3ff00000, s0
.LBB116_4:
	s_or_b32 exec_lo, exec_lo, s3
	v_mov_b32_e32 v17, 0
	v_mov_b32_e32 v18, 0
	s_mov_b32 s3, exec_lo
	s_delay_alu instid0(VALU_DEP_1)
	v_dual_mov_b32 v22, v18 :: v_dual_mov_b32 v21, v17
	v_dual_mov_b32 v24, v18 :: v_dual_mov_b32 v23, v17
	v_cmpx_gt_i32_e64 s2, v1
	s_cbranch_execz .LBB116_6
; %bb.5:
	v_dual_mov_b32 v3, 0 :: v_dual_add_nc_u32 v2, s1, v1
	v_add_nc_u32_e32 v1, 0x100, v1
	s_delay_alu instid0(VALU_DEP_2) | instskip(SKIP_3) | instid1(VALU_DEP_1)
	v_lshlrev_b64 v[4:5], 3, v[2:3]
	global_load_u8 v2, v2, s[10:11]
	v_mov_b32_e32 v23, v3
	v_add_co_u32 v4, s0, s8, v4
	v_add_co_ci_u32_e64 v5, s0, s9, v5, s0
	global_load_b64 v[21:22], v[4:5], off
	s_waitcnt vmcnt(1)
	v_cmp_ne_u16_e64 s0, 0, v2
	s_delay_alu instid0(VALU_DEP_1)
	v_cndmask_b32_e64 v24, 0, 0x3ff00000, s0
.LBB116_6:
	s_or_b32 exec_lo, exec_lo, s3
	v_dual_mov_b32 v26, v18 :: v_dual_mov_b32 v25, v17
	s_mov_b32 s3, exec_lo
	v_cmpx_gt_i32_e64 s2, v1
	s_cbranch_execnz .LBB116_18
; %bb.7:
	s_or_b32 exec_lo, exec_lo, s3
                                        ; implicit-def: $vgpr1_vgpr2_vgpr3_vgpr4_vgpr5_vgpr6_vgpr7_vgpr8
	s_and_saveexec_b32 s0, vcc_lo
	s_cbranch_execnz .LBB116_19
.LBB116_8:
	s_or_b32 exec_lo, exec_lo, s0
	s_delay_alu instid0(SALU_CYCLE_1)
	s_mov_b32 s3, exec_lo
	v_cmpx_gt_i32_e64 s2, v27
	s_cbranch_execz .LBB116_10
.LBB116_9:
	s_waitcnt vmcnt(0)
	v_mul_f64 v[3:4], v[11:12], v[19:20]
	s_delay_alu instid0(VALU_DEP_1)
	v_mul_f64 v[3:4], v[3:4], s[4:5]
.LBB116_10:
	s_or_b32 exec_lo, exec_lo, s3
	v_or_b32_e32 v10, 0x200, v0
	s_mov_b32 s3, exec_lo
	s_delay_alu instid0(VALU_DEP_1)
	v_cmpx_gt_i32_e64 s2, v10
	s_cbranch_execz .LBB116_12
; %bb.11:
	s_waitcnt vmcnt(0)
	v_mul_f64 v[5:6], v[21:22], v[23:24]
	s_delay_alu instid0(VALU_DEP_1)
	v_mul_f64 v[5:6], v[5:6], s[4:5]
.LBB116_12:
	s_or_b32 exec_lo, exec_lo, s3
	v_or_b32_e32 v10, 0x300, v0
	s_mov_b32 s3, exec_lo
	s_delay_alu instid0(VALU_DEP_1)
	v_cmpx_gt_i32_e64 s2, v10
	s_cbranch_execnz .LBB116_20
; %bb.13:
	s_or_b32 exec_lo, exec_lo, s3
	s_and_saveexec_b32 s0, vcc_lo
	s_delay_alu instid0(SALU_CYCLE_1)
	s_xor_b32 s0, exec_lo, s0
	s_cbranch_execnz .LBB116_21
.LBB116_14:
	s_or_b32 exec_lo, exec_lo, s0
	s_delay_alu instid0(SALU_CYCLE_1)
	s_mov_b32 s0, exec_lo
	v_cmpx_gt_i32_e64 s2, v0
	s_cbranch_execnz .LBB116_22
.LBB116_15:
	s_or_b32 exec_lo, exec_lo, s0
	s_delay_alu instid0(SALU_CYCLE_1)
	s_mov_b32 s0, exec_lo
	v_cmpx_gt_i32_e64 s2, v0
	s_cbranch_execnz .LBB116_23
.LBB116_16:
	s_or_b32 exec_lo, exec_lo, s0
	s_delay_alu instid0(SALU_CYCLE_1)
	s_mov_b32 s0, exec_lo
	v_cmpx_gt_i32_e64 s2, v0
	s_cbranch_execnz .LBB116_24
.LBB116_17:
	s_nop 0
	s_sendmsg sendmsg(MSG_DEALLOC_VGPRS)
	s_endpgm
.LBB116_18:
	v_dual_mov_b32 v2, 0 :: v_dual_add_nc_u32 v1, s1, v1
	s_delay_alu instid0(VALU_DEP_1) | instskip(SKIP_3) | instid1(VALU_DEP_1)
	v_lshlrev_b64 v[3:4], 3, v[1:2]
	global_load_u8 v1, v1, s[10:11]
	v_mov_b32_e32 v17, v2
	v_add_co_u32 v3, s0, s8, v3
	v_add_co_ci_u32_e64 v4, s0, s9, v4, s0
	global_load_b64 v[25:26], v[3:4], off
	s_waitcnt vmcnt(1)
	v_cmp_ne_u16_e64 s0, 0, v1
	s_delay_alu instid0(VALU_DEP_1)
	v_cndmask_b32_e64 v18, 0, 0x3ff00000, s0
	s_or_b32 exec_lo, exec_lo, s3
                                        ; implicit-def: $vgpr1_vgpr2_vgpr3_vgpr4_vgpr5_vgpr6_vgpr7_vgpr8
	s_and_saveexec_b32 s0, vcc_lo
	s_cbranch_execz .LBB116_8
.LBB116_19:
	s_waitcnt vmcnt(0)
	v_mul_f64 v[1:2], v[13:14], v[15:16]
	s_delay_alu instid0(VALU_DEP_1) | instskip(SKIP_1) | instid1(SALU_CYCLE_1)
	v_mul_f64 v[1:2], v[1:2], s[4:5]
	s_or_b32 exec_lo, exec_lo, s0
	s_mov_b32 s3, exec_lo
	v_cmpx_gt_i32_e64 s2, v27
	s_cbranch_execnz .LBB116_9
	s_branch .LBB116_10
.LBB116_20:
	s_waitcnt vmcnt(0)
	v_mul_f64 v[7:8], v[17:18], v[25:26]
	s_delay_alu instid0(VALU_DEP_1) | instskip(SKIP_2) | instid1(SALU_CYCLE_1)
	v_mul_f64 v[7:8], v[7:8], s[4:5]
	s_or_b32 exec_lo, exec_lo, s3
	s_and_saveexec_b32 s0, vcc_lo
	s_xor_b32 s0, exec_lo, s0
	s_cbranch_execz .LBB116_14
.LBB116_21:
	v_mov_b32_e32 v10, 0
	v_mov_b32_e32 v0, v27
	s_delay_alu instid0(VALU_DEP_2) | instskip(NEXT) | instid1(VALU_DEP_1)
	v_lshlrev_b64 v[9:10], 3, v[9:10]
	v_add_co_u32 v9, vcc_lo, s6, v9
	s_delay_alu instid0(VALU_DEP_2) | instskip(SKIP_2) | instid1(SALU_CYCLE_1)
	v_add_co_ci_u32_e32 v10, vcc_lo, s7, v10, vcc_lo
	global_store_b64 v[9:10], v[1:2], off
	s_or_b32 exec_lo, exec_lo, s0
	s_mov_b32 s0, exec_lo
	v_cmpx_gt_i32_e64 s2, v0
	s_cbranch_execz .LBB116_15
.LBB116_22:
	v_dual_mov_b32 v2, 0 :: v_dual_add_nc_u32 v1, s1, v0
	v_add_nc_u32_e32 v0, 0x100, v0
	s_delay_alu instid0(VALU_DEP_2) | instskip(NEXT) | instid1(VALU_DEP_1)
	v_lshlrev_b64 v[1:2], 3, v[1:2]
	v_add_co_u32 v1, vcc_lo, s6, v1
	s_delay_alu instid0(VALU_DEP_2) | instskip(SKIP_2) | instid1(SALU_CYCLE_1)
	v_add_co_ci_u32_e32 v2, vcc_lo, s7, v2, vcc_lo
	global_store_b64 v[1:2], v[3:4], off
	s_or_b32 exec_lo, exec_lo, s0
	s_mov_b32 s0, exec_lo
	v_cmpx_gt_i32_e64 s2, v0
	s_cbranch_execz .LBB116_16
.LBB116_23:
	v_dual_mov_b32 v2, 0 :: v_dual_add_nc_u32 v1, s1, v0
	v_add_nc_u32_e32 v0, 0x100, v0
	s_delay_alu instid0(VALU_DEP_2) | instskip(NEXT) | instid1(VALU_DEP_1)
	v_lshlrev_b64 v[1:2], 3, v[1:2]
	v_add_co_u32 v1, vcc_lo, s6, v1
	s_delay_alu instid0(VALU_DEP_2) | instskip(SKIP_2) | instid1(SALU_CYCLE_1)
	v_add_co_ci_u32_e32 v2, vcc_lo, s7, v2, vcc_lo
	global_store_b64 v[1:2], v[5:6], off
	s_or_b32 exec_lo, exec_lo, s0
	s_mov_b32 s0, exec_lo
	v_cmpx_gt_i32_e64 s2, v0
	s_cbranch_execz .LBB116_17
.LBB116_24:
	v_dual_mov_b32 v1, 0 :: v_dual_add_nc_u32 v0, s1, v0
	s_delay_alu instid0(VALU_DEP_1) | instskip(NEXT) | instid1(VALU_DEP_1)
	v_lshlrev_b64 v[0:1], 3, v[0:1]
	v_add_co_u32 v0, vcc_lo, s6, v0
	s_delay_alu instid0(VALU_DEP_2)
	v_add_co_ci_u32_e32 v1, vcc_lo, s7, v1, vcc_lo
	global_store_b64 v[0:1], v[7:8], off
	s_nop 0
	s_sendmsg sendmsg(MSG_DEALLOC_VGPRS)
	s_endpgm
	.section	.rodata,"a",@progbits
	.p2align	6, 0x0
	.amdhsa_kernel _ZN2at6native27unrolled_elementwise_kernelIZNS0_12_GLOBAL__N_119masked_scale_kernelIbddEEvRNS_6TensorERKS4_S7_T1_EUldbE_St5arrayIPcLm3EELi4E23TrivialOffsetCalculatorILi2EjESD_ILi1EjENS0_6memory15LoadWithoutCastENSG_16StoreWithoutCastEEEviT_T0_T2_T3_T4_T5_
		.amdhsa_group_segment_fixed_size 0
		.amdhsa_private_segment_fixed_size 0
		.amdhsa_kernarg_size 44
		.amdhsa_user_sgpr_count 15
		.amdhsa_user_sgpr_dispatch_ptr 0
		.amdhsa_user_sgpr_queue_ptr 0
		.amdhsa_user_sgpr_kernarg_segment_ptr 1
		.amdhsa_user_sgpr_dispatch_id 0
		.amdhsa_user_sgpr_private_segment_size 0
		.amdhsa_wavefront_size32 1
		.amdhsa_uses_dynamic_stack 0
		.amdhsa_enable_private_segment 0
		.amdhsa_system_sgpr_workgroup_id_x 1
		.amdhsa_system_sgpr_workgroup_id_y 0
		.amdhsa_system_sgpr_workgroup_id_z 0
		.amdhsa_system_sgpr_workgroup_info 0
		.amdhsa_system_vgpr_workitem_id 0
		.amdhsa_next_free_vgpr 28
		.amdhsa_next_free_sgpr 16
		.amdhsa_reserve_vcc 1
		.amdhsa_float_round_mode_32 0
		.amdhsa_float_round_mode_16_64 0
		.amdhsa_float_denorm_mode_32 3
		.amdhsa_float_denorm_mode_16_64 3
		.amdhsa_dx10_clamp 1
		.amdhsa_ieee_mode 1
		.amdhsa_fp16_overflow 0
		.amdhsa_workgroup_processor_mode 1
		.amdhsa_memory_ordered 1
		.amdhsa_forward_progress 0
		.amdhsa_shared_vgpr_count 0
		.amdhsa_exception_fp_ieee_invalid_op 0
		.amdhsa_exception_fp_denorm_src 0
		.amdhsa_exception_fp_ieee_div_zero 0
		.amdhsa_exception_fp_ieee_overflow 0
		.amdhsa_exception_fp_ieee_underflow 0
		.amdhsa_exception_fp_ieee_inexact 0
		.amdhsa_exception_int_div_zero 0
	.end_amdhsa_kernel
	.section	.text._ZN2at6native27unrolled_elementwise_kernelIZNS0_12_GLOBAL__N_119masked_scale_kernelIbddEEvRNS_6TensorERKS4_S7_T1_EUldbE_St5arrayIPcLm3EELi4E23TrivialOffsetCalculatorILi2EjESD_ILi1EjENS0_6memory15LoadWithoutCastENSG_16StoreWithoutCastEEEviT_T0_T2_T3_T4_T5_,"axG",@progbits,_ZN2at6native27unrolled_elementwise_kernelIZNS0_12_GLOBAL__N_119masked_scale_kernelIbddEEvRNS_6TensorERKS4_S7_T1_EUldbE_St5arrayIPcLm3EELi4E23TrivialOffsetCalculatorILi2EjESD_ILi1EjENS0_6memory15LoadWithoutCastENSG_16StoreWithoutCastEEEviT_T0_T2_T3_T4_T5_,comdat
.Lfunc_end116:
	.size	_ZN2at6native27unrolled_elementwise_kernelIZNS0_12_GLOBAL__N_119masked_scale_kernelIbddEEvRNS_6TensorERKS4_S7_T1_EUldbE_St5arrayIPcLm3EELi4E23TrivialOffsetCalculatorILi2EjESD_ILi1EjENS0_6memory15LoadWithoutCastENSG_16StoreWithoutCastEEEviT_T0_T2_T3_T4_T5_, .Lfunc_end116-_ZN2at6native27unrolled_elementwise_kernelIZNS0_12_GLOBAL__N_119masked_scale_kernelIbddEEvRNS_6TensorERKS4_S7_T1_EUldbE_St5arrayIPcLm3EELi4E23TrivialOffsetCalculatorILi2EjESD_ILi1EjENS0_6memory15LoadWithoutCastENSG_16StoreWithoutCastEEEviT_T0_T2_T3_T4_T5_
                                        ; -- End function
	.section	.AMDGPU.csdata,"",@progbits
; Kernel info:
; codeLenInByte = 1164
; NumSgprs: 18
; NumVgprs: 28
; ScratchSize: 0
; MemoryBound: 0
; FloatMode: 240
; IeeeMode: 1
; LDSByteSize: 0 bytes/workgroup (compile time only)
; SGPRBlocks: 2
; VGPRBlocks: 3
; NumSGPRsForWavesPerEU: 18
; NumVGPRsForWavesPerEU: 28
; Occupancy: 16
; WaveLimiterHint : 0
; COMPUTE_PGM_RSRC2:SCRATCH_EN: 0
; COMPUTE_PGM_RSRC2:USER_SGPR: 15
; COMPUTE_PGM_RSRC2:TRAP_HANDLER: 0
; COMPUTE_PGM_RSRC2:TGID_X_EN: 1
; COMPUTE_PGM_RSRC2:TGID_Y_EN: 0
; COMPUTE_PGM_RSRC2:TGID_Z_EN: 0
; COMPUTE_PGM_RSRC2:TIDIG_COMP_CNT: 0
	.section	.text._ZN2at6native32elementwise_kernel_manual_unrollILi128ELi4EZNS0_22gpu_kernel_impl_nocastIZNS0_12_GLOBAL__N_119masked_scale_kernelIbddEEvRNS_6TensorERKS5_S8_T1_EUldbE_EEvRNS_18TensorIteratorBaseERKT_EUlibE_EEviS9_,"axG",@progbits,_ZN2at6native32elementwise_kernel_manual_unrollILi128ELi4EZNS0_22gpu_kernel_impl_nocastIZNS0_12_GLOBAL__N_119masked_scale_kernelIbddEEvRNS_6TensorERKS5_S8_T1_EUldbE_EEvRNS_18TensorIteratorBaseERKT_EUlibE_EEviS9_,comdat
	.globl	_ZN2at6native32elementwise_kernel_manual_unrollILi128ELi4EZNS0_22gpu_kernel_impl_nocastIZNS0_12_GLOBAL__N_119masked_scale_kernelIbddEEvRNS_6TensorERKS5_S8_T1_EUldbE_EEvRNS_18TensorIteratorBaseERKT_EUlibE_EEviS9_ ; -- Begin function _ZN2at6native32elementwise_kernel_manual_unrollILi128ELi4EZNS0_22gpu_kernel_impl_nocastIZNS0_12_GLOBAL__N_119masked_scale_kernelIbddEEvRNS_6TensorERKS5_S8_T1_EUldbE_EEvRNS_18TensorIteratorBaseERKT_EUlibE_EEviS9_
	.p2align	8
	.type	_ZN2at6native32elementwise_kernel_manual_unrollILi128ELi4EZNS0_22gpu_kernel_impl_nocastIZNS0_12_GLOBAL__N_119masked_scale_kernelIbddEEvRNS_6TensorERKS5_S8_T1_EUldbE_EEvRNS_18TensorIteratorBaseERKT_EUlibE_EEviS9_,@function
_ZN2at6native32elementwise_kernel_manual_unrollILi128ELi4EZNS0_22gpu_kernel_impl_nocastIZNS0_12_GLOBAL__N_119masked_scale_kernelIbddEEvRNS_6TensorERKS5_S8_T1_EUldbE_EEvRNS_18TensorIteratorBaseERKT_EUlibE_EEviS9_: ; @_ZN2at6native32elementwise_kernel_manual_unrollILi128ELi4EZNS0_22gpu_kernel_impl_nocastIZNS0_12_GLOBAL__N_119masked_scale_kernelIbddEEvRNS_6TensorERKS5_S8_T1_EUldbE_EEvRNS_18TensorIteratorBaseERKT_EUlibE_EEviS9_
; %bb.0:
	s_clause 0x1
	s_load_b32 s24, s[0:1], 0x8
	s_load_b32 s30, s[0:1], 0x0
	v_lshl_or_b32 v6, s15, 9, v0
	s_or_b32 s0, s0, 8
	s_mov_b32 s2, exec_lo
	s_delay_alu instid0(VALU_DEP_1) | instskip(SKIP_2) | instid1(SALU_CYCLE_1)
	v_or_b32_e32 v12, 0x180, v6
	s_waitcnt lgkmcnt(0)
	s_add_i32 s25, s24, -1
	s_cmp_gt_u32 s25, 1
	s_cselect_b32 s26, -1, 0
	v_cmpx_le_i32_e64 s30, v12
	s_xor_b32 s27, exec_lo, s2
	s_cbranch_execz .LBB117_8
; %bb.1:
	s_clause 0x4
	s_load_b128 s[16:19], s[0:1], 0x4
	s_load_b64 s[20:21], s[0:1], 0x14
	s_load_b128 s[12:15], s[0:1], 0xc4
	s_load_b64 s[2:3], s[0:1], 0xd4
	s_load_b256 s[4:11], s[0:1], 0x188
	s_cmp_lg_u32 s24, 0
	s_mov_b32 s33, exec_lo
	s_cselect_b32 s31, -1, 0
	s_min_u32 s29, s25, 15
	s_cmp_gt_u32 s24, 1
	s_cselect_b32 s28, -1, 0
	v_cmpx_gt_i32_e64 s30, v6
	s_cbranch_execz .LBB117_15
; %bb.2:
	s_and_not1_b32 vcc_lo, exec_lo, s26
	s_cbranch_vccnz .LBB117_57
; %bb.3:
	v_dual_mov_b32 v0, 0 :: v_dual_mov_b32 v1, 0
	v_mov_b32_e32 v2, 0
	s_and_not1_b32 vcc_lo, exec_lo, s31
	s_mov_b32 s34, 0
	s_cbranch_vccnz .LBB117_58
; %bb.4:
	s_add_i32 s22, s29, 1
	v_dual_mov_b32 v1, 0 :: v_dual_mov_b32 v2, 0
	v_dual_mov_b32 v0, 0 :: v_dual_mov_b32 v3, v6
	s_and_b32 s35, s22, 30
	s_add_u32 s22, s0, 0xffffffec
	s_addc_u32 s23, s1, -1
	s_set_inst_prefetch_distance 0x1
	.p2align	6
.LBB117_5:                              ; =>This Inner Loop Header: Depth=1
	s_clause 0x2
	s_load_b128 s[36:39], s[22:23], 0x18
	s_load_b64 s[44:45], s[22:23], 0x28
	s_load_b128 s[40:43], s[22:23], 0xd8
	s_waitcnt lgkmcnt(0)
	v_mul_hi_u32 v4, s37, v3
	s_delay_alu instid0(VALU_DEP_1) | instskip(NEXT) | instid1(VALU_DEP_1)
	v_add_nc_u32_e32 v4, v3, v4
	v_lshrrev_b32_e32 v4, s38, v4
	s_delay_alu instid0(VALU_DEP_1)
	v_mul_hi_u32 v5, s44, v4
	v_mul_lo_u32 v7, v4, s36
	s_load_b64 s[36:37], s[22:23], 0xe8
	s_add_u32 s22, s22, 24
	s_addc_u32 s23, s23, 0
	s_add_i32 s35, s35, -2
	s_delay_alu instid0(SALU_CYCLE_1) | instskip(NEXT) | instid1(VALU_DEP_2)
	s_cmp_lg_u32 s35, 0
	v_add_nc_u32_e32 v5, v4, v5
	s_delay_alu instid0(VALU_DEP_2) | instskip(NEXT) | instid1(VALU_DEP_2)
	v_sub_nc_u32_e32 v7, v3, v7
	v_lshrrev_b32_e32 v3, s45, v5
	s_delay_alu instid0(VALU_DEP_2) | instskip(NEXT) | instid1(VALU_DEP_2)
	v_mul_lo_u32 v8, v7, s40
	v_mul_lo_u32 v5, v3, s39
	s_delay_alu instid0(VALU_DEP_1) | instskip(SKIP_2) | instid1(VALU_DEP_3)
	v_sub_nc_u32_e32 v4, v4, v5
	v_mul_lo_u32 v5, v7, s41
	v_mul_lo_u32 v7, v7, s42
	;; [unrolled: 1-line block ×3, first 2 shown]
	s_waitcnt lgkmcnt(0)
	v_mul_lo_u32 v10, v4, s36
	v_mul_lo_u32 v4, v4, s37
	s_delay_alu instid0(VALU_DEP_3) | instskip(NEXT) | instid1(VALU_DEP_3)
	v_add3_u32 v0, v8, v0, v9
	v_add3_u32 v2, v5, v2, v10
	s_delay_alu instid0(VALU_DEP_3)
	v_add3_u32 v1, v7, v1, v4
	s_cbranch_scc1 .LBB117_5
; %bb.6:
	s_set_inst_prefetch_distance 0x2
	s_bitcmp1_b32 s29, 0
	s_cselect_b32 s35, -1, 0
	s_delay_alu instid0(SALU_CYCLE_1)
	s_and_b32 vcc_lo, exec_lo, s35
	s_cbranch_vccnz .LBB117_58
; %bb.7:
	s_clause 0x3
	s_load_b64 s[36:37], s[22:23], 0x18
	s_load_b32 s35, s[22:23], 0x20
	s_load_b64 s[38:39], s[22:23], 0xd8
	s_load_b32 s22, s[22:23], 0xe0
	s_waitcnt lgkmcnt(0)
	v_mul_hi_u32 v4, s37, v3
	s_delay_alu instid0(VALU_DEP_1) | instskip(NEXT) | instid1(VALU_DEP_1)
	v_add_nc_u32_e32 v4, v3, v4
	v_lshrrev_b32_e32 v4, s35, v4
	s_delay_alu instid0(VALU_DEP_1) | instskip(NEXT) | instid1(VALU_DEP_1)
	v_mul_lo_u32 v4, v4, s36
	v_sub_nc_u32_e32 v9, v3, v4
	s_delay_alu instid0(VALU_DEP_1) | instskip(SKIP_1) | instid1(VALU_DEP_2)
	v_mad_u64_u32 v[3:4], null, v9, s38, v[0:1]
	v_mad_u64_u32 v[7:8], null, v9, s22, v[1:2]
	;; [unrolled: 1-line block ×3, first 2 shown]
	v_mov_b32_e32 v0, v3
	s_delay_alu instid0(VALU_DEP_2)
	v_dual_mov_b32 v1, v7 :: v_dual_mov_b32 v2, v4
	s_branch .LBB117_58
.LBB117_8:
	s_and_not1_saveexec_b32 s2, s27
	s_cbranch_execz .LBB117_76
.LBB117_9:
	v_cndmask_b32_e64 v9, 0, 1, s26
	s_and_not1_b32 vcc_lo, exec_lo, s26
	s_cbranch_vccnz .LBB117_22
; %bb.10:
	v_dual_mov_b32 v0, 0 :: v_dual_mov_b32 v1, 0
	v_mov_b32_e32 v2, 0
	s_cmp_lg_u32 s24, 0
	s_mov_b32 s4, 0
	s_cbranch_scc0 .LBB117_23
; %bb.11:
	s_min_u32 s5, s25, 15
	v_dual_mov_b32 v1, 0 :: v_dual_mov_b32 v2, 0
	s_add_i32 s2, s5, 1
	v_dual_mov_b32 v0, 0 :: v_dual_mov_b32 v3, v6
	s_and_b32 s6, s2, 30
	s_add_u32 s2, s0, 0xffffffec
	s_addc_u32 s3, s1, -1
	s_set_inst_prefetch_distance 0x1
	.p2align	6
.LBB117_12:                             ; =>This Inner Loop Header: Depth=1
	s_clause 0x2
	s_load_b128 s[8:11], s[2:3], 0x18
	s_load_b64 s[16:17], s[2:3], 0x28
	s_load_b128 s[12:15], s[2:3], 0xd8
	s_waitcnt lgkmcnt(0)
	v_mul_hi_u32 v4, s9, v3
	s_delay_alu instid0(VALU_DEP_1) | instskip(NEXT) | instid1(VALU_DEP_1)
	v_add_nc_u32_e32 v4, v3, v4
	v_lshrrev_b32_e32 v4, s10, v4
	s_delay_alu instid0(VALU_DEP_1)
	v_mul_hi_u32 v5, s16, v4
	v_mul_lo_u32 v7, v4, s8
	s_load_b64 s[8:9], s[2:3], 0xe8
	s_add_u32 s2, s2, 24
	s_addc_u32 s3, s3, 0
	s_add_i32 s6, s6, -2
	s_delay_alu instid0(SALU_CYCLE_1) | instskip(NEXT) | instid1(VALU_DEP_2)
	s_cmp_lg_u32 s6, 0
	v_add_nc_u32_e32 v5, v4, v5
	s_delay_alu instid0(VALU_DEP_2) | instskip(NEXT) | instid1(VALU_DEP_2)
	v_sub_nc_u32_e32 v7, v3, v7
	v_lshrrev_b32_e32 v3, s17, v5
	s_delay_alu instid0(VALU_DEP_2) | instskip(NEXT) | instid1(VALU_DEP_2)
	v_mul_lo_u32 v8, v7, s12
	v_mul_lo_u32 v5, v3, s11
	s_delay_alu instid0(VALU_DEP_1) | instskip(SKIP_2) | instid1(VALU_DEP_3)
	v_sub_nc_u32_e32 v4, v4, v5
	v_mul_lo_u32 v5, v7, s13
	v_mul_lo_u32 v7, v7, s14
	;; [unrolled: 1-line block ×3, first 2 shown]
	s_waitcnt lgkmcnt(0)
	v_mul_lo_u32 v11, v4, s8
	v_mul_lo_u32 v4, v4, s9
	s_delay_alu instid0(VALU_DEP_3) | instskip(NEXT) | instid1(VALU_DEP_3)
	v_add3_u32 v0, v8, v0, v10
	v_add3_u32 v2, v5, v2, v11
	s_delay_alu instid0(VALU_DEP_3)
	v_add3_u32 v1, v7, v1, v4
	s_cbranch_scc1 .LBB117_12
; %bb.13:
	s_set_inst_prefetch_distance 0x2
	s_bitcmp1_b32 s5, 0
	s_cselect_b32 s5, -1, 0
	s_delay_alu instid0(SALU_CYCLE_1)
	s_and_b32 vcc_lo, exec_lo, s5
	s_cbranch_vccnz .LBB117_23
; %bb.14:
	s_clause 0x3
	s_load_b64 s[6:7], s[2:3], 0x18
	s_load_b32 s5, s[2:3], 0x20
	s_load_b64 s[8:9], s[2:3], 0xd8
	s_load_b32 s2, s[2:3], 0xe0
	s_waitcnt lgkmcnt(0)
	v_mul_hi_u32 v4, s7, v3
	s_delay_alu instid0(VALU_DEP_1) | instskip(NEXT) | instid1(VALU_DEP_1)
	v_add_nc_u32_e32 v4, v3, v4
	v_lshrrev_b32_e32 v4, s5, v4
	s_delay_alu instid0(VALU_DEP_1) | instskip(NEXT) | instid1(VALU_DEP_1)
	v_mul_lo_u32 v4, v4, s6
	v_sub_nc_u32_e32 v10, v3, v4
	s_delay_alu instid0(VALU_DEP_1) | instskip(SKIP_1) | instid1(VALU_DEP_2)
	v_mad_u64_u32 v[3:4], null, v10, s8, v[0:1]
	v_mad_u64_u32 v[7:8], null, v10, s2, v[1:2]
	;; [unrolled: 1-line block ×3, first 2 shown]
	v_mov_b32_e32 v0, v3
	s_delay_alu instid0(VALU_DEP_2)
	v_dual_mov_b32 v1, v7 :: v_dual_mov_b32 v2, v4
	s_branch .LBB117_23
.LBB117_15:
	s_or_b32 exec_lo, exec_lo, s33
	s_delay_alu instid0(SALU_CYCLE_1)
	s_mov_b32 s33, exec_lo
	v_cmpx_gt_i32_e64 s30, v6
	s_cbranch_execz .LBB117_62
.LBB117_16:
	s_and_not1_b32 vcc_lo, exec_lo, s26
	s_cbranch_vccnz .LBB117_69
; %bb.17:
	v_dual_mov_b32 v0, 0 :: v_dual_mov_b32 v1, 0
	v_mov_b32_e32 v2, 0
	s_and_not1_b32 vcc_lo, exec_lo, s31
	s_mov_b32 s34, 0
	s_cbranch_vccnz .LBB117_70
; %bb.18:
	s_add_i32 s22, s29, 1
	v_dual_mov_b32 v1, 0 :: v_dual_mov_b32 v2, 0
	v_dual_mov_b32 v0, 0 :: v_dual_mov_b32 v3, v6
	s_and_b32 s35, s22, 30
	s_add_u32 s22, s0, 0xffffffec
	s_addc_u32 s23, s1, -1
	s_set_inst_prefetch_distance 0x1
	.p2align	6
.LBB117_19:                             ; =>This Inner Loop Header: Depth=1
	s_clause 0x2
	s_load_b128 s[36:39], s[22:23], 0x18
	s_load_b64 s[44:45], s[22:23], 0x28
	s_load_b128 s[40:43], s[22:23], 0xd8
	s_waitcnt lgkmcnt(0)
	v_mul_hi_u32 v4, s37, v3
	s_delay_alu instid0(VALU_DEP_1) | instskip(NEXT) | instid1(VALU_DEP_1)
	v_add_nc_u32_e32 v4, v3, v4
	v_lshrrev_b32_e32 v4, s38, v4
	s_delay_alu instid0(VALU_DEP_1)
	v_mul_hi_u32 v5, s44, v4
	v_mul_lo_u32 v7, v4, s36
	s_load_b64 s[36:37], s[22:23], 0xe8
	s_add_u32 s22, s22, 24
	s_addc_u32 s23, s23, 0
	s_add_i32 s35, s35, -2
	s_delay_alu instid0(SALU_CYCLE_1) | instskip(NEXT) | instid1(VALU_DEP_2)
	s_cmp_eq_u32 s35, 0
	v_add_nc_u32_e32 v5, v4, v5
	s_delay_alu instid0(VALU_DEP_2) | instskip(NEXT) | instid1(VALU_DEP_2)
	v_sub_nc_u32_e32 v7, v3, v7
	v_lshrrev_b32_e32 v3, s45, v5
	s_delay_alu instid0(VALU_DEP_2) | instskip(NEXT) | instid1(VALU_DEP_2)
	v_mul_lo_u32 v8, v7, s40
	v_mul_lo_u32 v5, v3, s39
	s_delay_alu instid0(VALU_DEP_1) | instskip(SKIP_2) | instid1(VALU_DEP_3)
	v_sub_nc_u32_e32 v4, v4, v5
	v_mul_lo_u32 v5, v7, s41
	v_mul_lo_u32 v7, v7, s42
	;; [unrolled: 1-line block ×3, first 2 shown]
	s_waitcnt lgkmcnt(0)
	v_mul_lo_u32 v10, v4, s36
	v_mul_lo_u32 v4, v4, s37
	s_delay_alu instid0(VALU_DEP_3) | instskip(NEXT) | instid1(VALU_DEP_3)
	v_add3_u32 v0, v8, v0, v9
	v_add3_u32 v2, v5, v2, v10
	s_delay_alu instid0(VALU_DEP_3)
	v_add3_u32 v1, v7, v1, v4
	s_cbranch_scc0 .LBB117_19
; %bb.20:
	s_set_inst_prefetch_distance 0x2
	s_bitcmp1_b32 s29, 0
	s_cselect_b32 s35, -1, 0
	s_delay_alu instid0(SALU_CYCLE_1)
	s_and_b32 vcc_lo, exec_lo, s35
	s_cbranch_vccnz .LBB117_70
; %bb.21:
	s_clause 0x3
	s_load_b64 s[36:37], s[22:23], 0x18
	s_load_b32 s35, s[22:23], 0x20
	s_load_b64 s[38:39], s[22:23], 0xd8
	s_load_b32 s22, s[22:23], 0xe0
	s_waitcnt lgkmcnt(0)
	v_mul_hi_u32 v4, s37, v3
	s_delay_alu instid0(VALU_DEP_1) | instskip(NEXT) | instid1(VALU_DEP_1)
	v_add_nc_u32_e32 v4, v3, v4
	v_lshrrev_b32_e32 v4, s35, v4
	s_delay_alu instid0(VALU_DEP_1) | instskip(NEXT) | instid1(VALU_DEP_1)
	v_mul_lo_u32 v4, v4, s36
	v_sub_nc_u32_e32 v9, v3, v4
	s_delay_alu instid0(VALU_DEP_1) | instskip(SKIP_1) | instid1(VALU_DEP_2)
	v_mad_u64_u32 v[3:4], null, v9, s38, v[0:1]
	v_mad_u64_u32 v[7:8], null, v9, s22, v[1:2]
	;; [unrolled: 1-line block ×3, first 2 shown]
	v_mov_b32_e32 v0, v3
	s_delay_alu instid0(VALU_DEP_2)
	v_dual_mov_b32 v1, v7 :: v_dual_mov_b32 v2, v4
	s_branch .LBB117_70
.LBB117_22:
	s_mov_b32 s4, -1
                                        ; implicit-def: $vgpr0
                                        ; implicit-def: $vgpr2
                                        ; implicit-def: $vgpr1
.LBB117_23:
	s_delay_alu instid0(SALU_CYCLE_1)
	s_and_not1_b32 vcc_lo, exec_lo, s4
	s_cbranch_vccnz .LBB117_26
; %bb.24:
	s_clause 0x1
	s_load_b128 s[4:7], s[0:1], 0x4
	s_load_b128 s[8:11], s[0:1], 0xc4
	s_cmp_lt_u32 s24, 2
	s_waitcnt lgkmcnt(0)
	v_mul_hi_u32 v0, s5, v6
	s_delay_alu instid0(VALU_DEP_1) | instskip(NEXT) | instid1(VALU_DEP_1)
	v_add_nc_u32_e32 v0, v6, v0
	v_lshrrev_b32_e32 v3, s6, v0
	s_delay_alu instid0(VALU_DEP_1) | instskip(NEXT) | instid1(VALU_DEP_1)
	v_mul_lo_u32 v0, v3, s4
	v_sub_nc_u32_e32 v1, v6, v0
	s_delay_alu instid0(VALU_DEP_1)
	v_mul_lo_u32 v0, v1, s8
	v_mul_lo_u32 v2, v1, s9
	;; [unrolled: 1-line block ×3, first 2 shown]
	s_cbranch_scc1 .LBB117_26
; %bb.25:
	s_clause 0x1
	s_load_b128 s[4:7], s[0:1], 0x10
	s_load_b128 s[8:11], s[0:1], 0xd0
	s_waitcnt lgkmcnt(0)
	v_mul_hi_u32 v4, s5, v3
	s_delay_alu instid0(VALU_DEP_1) | instskip(NEXT) | instid1(VALU_DEP_1)
	v_add_nc_u32_e32 v4, v3, v4
	v_lshrrev_b32_e32 v4, s6, v4
	s_delay_alu instid0(VALU_DEP_1) | instskip(NEXT) | instid1(VALU_DEP_1)
	v_mul_lo_u32 v4, v4, s4
	v_sub_nc_u32_e32 v10, v3, v4
	s_delay_alu instid0(VALU_DEP_1) | instskip(SKIP_1) | instid1(VALU_DEP_2)
	v_mad_u64_u32 v[3:4], null, v10, s8, v[0:1]
	v_mad_u64_u32 v[7:8], null, v10, s10, v[1:2]
	;; [unrolled: 1-line block ×3, first 2 shown]
	v_mov_b32_e32 v0, v3
	s_delay_alu instid0(VALU_DEP_2)
	v_dual_mov_b32 v1, v7 :: v_dual_mov_b32 v2, v4
.LBB117_26:
	v_cmp_ne_u32_e32 vcc_lo, 1, v9
	v_add_nc_u32_e32 v7, 0x80, v6
	s_cbranch_vccnz .LBB117_32
; %bb.27:
	v_dual_mov_b32 v3, 0 :: v_dual_mov_b32 v4, 0
	v_mov_b32_e32 v5, 0
	s_cmp_lg_u32 s24, 0
	s_mov_b32 s4, 0
	s_cbranch_scc0 .LBB117_33
; %bb.28:
	s_min_u32 s5, s25, 15
	v_dual_mov_b32 v4, 0 :: v_dual_mov_b32 v5, 0
	s_add_i32 s2, s5, 1
	v_dual_mov_b32 v3, 0 :: v_dual_mov_b32 v8, v7
	s_and_b32 s6, s2, 30
	s_add_u32 s2, s0, 0xffffffec
	s_addc_u32 s3, s1, -1
	s_set_inst_prefetch_distance 0x1
	.p2align	6
.LBB117_29:                             ; =>This Inner Loop Header: Depth=1
	s_clause 0x2
	s_load_b128 s[8:11], s[2:3], 0x18
	s_load_b64 s[16:17], s[2:3], 0x28
	s_load_b128 s[12:15], s[2:3], 0xd8
	s_waitcnt lgkmcnt(0)
	v_mul_hi_u32 v10, s9, v8
	s_delay_alu instid0(VALU_DEP_1) | instskip(NEXT) | instid1(VALU_DEP_1)
	v_add_nc_u32_e32 v10, v8, v10
	v_lshrrev_b32_e32 v10, s10, v10
	s_delay_alu instid0(VALU_DEP_1)
	v_mul_hi_u32 v11, s16, v10
	v_mul_lo_u32 v13, v10, s8
	s_load_b64 s[8:9], s[2:3], 0xe8
	s_add_u32 s2, s2, 24
	s_addc_u32 s3, s3, 0
	s_add_i32 s6, s6, -2
	s_delay_alu instid0(SALU_CYCLE_1) | instskip(NEXT) | instid1(VALU_DEP_2)
	s_cmp_lg_u32 s6, 0
	v_add_nc_u32_e32 v11, v10, v11
	s_delay_alu instid0(VALU_DEP_2) | instskip(NEXT) | instid1(VALU_DEP_2)
	v_sub_nc_u32_e32 v13, v8, v13
	v_lshrrev_b32_e32 v8, s17, v11
	s_delay_alu instid0(VALU_DEP_2) | instskip(NEXT) | instid1(VALU_DEP_2)
	v_mul_lo_u32 v14, v13, s12
	v_mul_lo_u32 v11, v8, s11
	s_delay_alu instid0(VALU_DEP_1) | instskip(SKIP_2) | instid1(VALU_DEP_3)
	v_sub_nc_u32_e32 v10, v10, v11
	v_mul_lo_u32 v11, v13, s13
	v_mul_lo_u32 v13, v13, s14
	;; [unrolled: 1-line block ×3, first 2 shown]
	s_waitcnt lgkmcnt(0)
	v_mul_lo_u32 v16, v10, s8
	v_mul_lo_u32 v10, v10, s9
	s_delay_alu instid0(VALU_DEP_3) | instskip(NEXT) | instid1(VALU_DEP_3)
	v_add3_u32 v3, v14, v3, v15
	v_add3_u32 v5, v11, v5, v16
	s_delay_alu instid0(VALU_DEP_3)
	v_add3_u32 v4, v13, v4, v10
	s_cbranch_scc1 .LBB117_29
; %bb.30:
	s_set_inst_prefetch_distance 0x2
	s_bitcmp1_b32 s5, 0
	s_cselect_b32 s5, -1, 0
	s_delay_alu instid0(SALU_CYCLE_1)
	s_and_b32 vcc_lo, exec_lo, s5
	s_cbranch_vccnz .LBB117_33
; %bb.31:
	s_clause 0x3
	s_load_b64 s[6:7], s[2:3], 0x18
	s_load_b32 s5, s[2:3], 0x20
	s_load_b64 s[8:9], s[2:3], 0xd8
	s_load_b32 s2, s[2:3], 0xe0
	s_waitcnt lgkmcnt(0)
	v_mul_hi_u32 v10, s7, v8
	s_delay_alu instid0(VALU_DEP_1) | instskip(NEXT) | instid1(VALU_DEP_1)
	v_add_nc_u32_e32 v10, v8, v10
	v_lshrrev_b32_e32 v10, s5, v10
	s_delay_alu instid0(VALU_DEP_1) | instskip(NEXT) | instid1(VALU_DEP_1)
	v_mul_lo_u32 v10, v10, s6
	v_sub_nc_u32_e32 v8, v8, v10
	s_delay_alu instid0(VALU_DEP_1) | instskip(SKIP_2) | instid1(VALU_DEP_3)
	v_mad_u64_u32 v[13:14], null, v8, s9, v[5:6]
	v_mad_u64_u32 v[10:11], null, v8, s8, v[3:4]
	;; [unrolled: 1-line block ×3, first 2 shown]
	v_mov_b32_e32 v5, v13
	s_delay_alu instid0(VALU_DEP_3) | instskip(NEXT) | instid1(VALU_DEP_3)
	v_mov_b32_e32 v3, v10
	v_mov_b32_e32 v4, v14
	s_branch .LBB117_33
.LBB117_32:
	s_mov_b32 s4, -1
                                        ; implicit-def: $vgpr3
                                        ; implicit-def: $vgpr5
                                        ; implicit-def: $vgpr4
.LBB117_33:
	s_delay_alu instid0(SALU_CYCLE_1)
	s_and_not1_b32 vcc_lo, exec_lo, s4
	s_cbranch_vccnz .LBB117_36
; %bb.34:
	s_clause 0x1
	s_load_b128 s[4:7], s[0:1], 0x4
	s_load_b128 s[8:11], s[0:1], 0xc4
	s_cmp_lt_u32 s24, 2
	s_waitcnt lgkmcnt(0)
	v_mul_hi_u32 v3, s5, v7
	s_delay_alu instid0(VALU_DEP_1) | instskip(NEXT) | instid1(VALU_DEP_1)
	v_add_nc_u32_e32 v3, v7, v3
	v_lshrrev_b32_e32 v8, s6, v3
	s_delay_alu instid0(VALU_DEP_1) | instskip(NEXT) | instid1(VALU_DEP_1)
	v_mul_lo_u32 v3, v8, s4
	v_sub_nc_u32_e32 v4, v7, v3
	s_delay_alu instid0(VALU_DEP_1)
	v_mul_lo_u32 v3, v4, s8
	v_mul_lo_u32 v5, v4, s9
	;; [unrolled: 1-line block ×3, first 2 shown]
	s_cbranch_scc1 .LBB117_36
; %bb.35:
	s_clause 0x1
	s_load_b128 s[4:7], s[0:1], 0x10
	s_load_b128 s[8:11], s[0:1], 0xd0
	s_waitcnt lgkmcnt(0)
	v_mul_hi_u32 v7, s5, v8
	s_delay_alu instid0(VALU_DEP_1) | instskip(NEXT) | instid1(VALU_DEP_1)
	v_add_nc_u32_e32 v7, v8, v7
	v_lshrrev_b32_e32 v7, s6, v7
	s_delay_alu instid0(VALU_DEP_1) | instskip(NEXT) | instid1(VALU_DEP_1)
	v_mul_lo_u32 v7, v7, s4
	v_sub_nc_u32_e32 v15, v8, v7
	s_delay_alu instid0(VALU_DEP_1) | instskip(SKIP_2) | instid1(VALU_DEP_3)
	v_mad_u64_u32 v[7:8], null, v15, s8, v[3:4]
	v_mad_u64_u32 v[10:11], null, v15, s9, v[5:6]
	v_mad_u64_u32 v[13:14], null, v15, s10, v[4:5]
	v_mov_b32_e32 v3, v7
	s_delay_alu instid0(VALU_DEP_2)
	v_dual_mov_b32 v5, v10 :: v_dual_mov_b32 v4, v13
.LBB117_36:
	v_cmp_ne_u32_e32 vcc_lo, 1, v9
	v_add_nc_u32_e32 v10, 0x100, v6
	s_cbranch_vccnz .LBB117_42
; %bb.37:
	v_dual_mov_b32 v6, 0 :: v_dual_mov_b32 v7, 0
	v_mov_b32_e32 v8, 0
	s_cmp_lg_u32 s24, 0
	s_mov_b32 s4, 0
	s_cbranch_scc0 .LBB117_43
; %bb.38:
	s_min_u32 s5, s25, 15
	v_dual_mov_b32 v7, 0 :: v_dual_mov_b32 v8, 0
	s_add_i32 s2, s5, 1
	v_dual_mov_b32 v6, 0 :: v_dual_mov_b32 v11, v10
	s_and_b32 s6, s2, 30
	s_add_u32 s2, s0, 0xffffffec
	s_addc_u32 s3, s1, -1
	s_set_inst_prefetch_distance 0x1
	.p2align	6
.LBB117_39:                             ; =>This Inner Loop Header: Depth=1
	s_clause 0x2
	s_load_b128 s[8:11], s[2:3], 0x18
	s_load_b64 s[16:17], s[2:3], 0x28
	s_load_b128 s[12:15], s[2:3], 0xd8
	s_waitcnt lgkmcnt(0)
	v_mul_hi_u32 v13, s9, v11
	s_delay_alu instid0(VALU_DEP_1) | instskip(NEXT) | instid1(VALU_DEP_1)
	v_add_nc_u32_e32 v13, v11, v13
	v_lshrrev_b32_e32 v13, s10, v13
	s_delay_alu instid0(VALU_DEP_1)
	v_mul_hi_u32 v14, s16, v13
	v_mul_lo_u32 v15, v13, s8
	s_load_b64 s[8:9], s[2:3], 0xe8
	s_add_u32 s2, s2, 24
	s_addc_u32 s3, s3, 0
	s_add_i32 s6, s6, -2
	s_delay_alu instid0(SALU_CYCLE_1) | instskip(NEXT) | instid1(VALU_DEP_2)
	s_cmp_lg_u32 s6, 0
	v_add_nc_u32_e32 v14, v13, v14
	s_delay_alu instid0(VALU_DEP_2) | instskip(NEXT) | instid1(VALU_DEP_2)
	v_sub_nc_u32_e32 v15, v11, v15
	v_lshrrev_b32_e32 v11, s17, v14
	s_delay_alu instid0(VALU_DEP_2) | instskip(NEXT) | instid1(VALU_DEP_2)
	v_mul_lo_u32 v16, v15, s12
	v_mul_lo_u32 v14, v11, s11
	s_delay_alu instid0(VALU_DEP_1) | instskip(SKIP_2) | instid1(VALU_DEP_3)
	v_sub_nc_u32_e32 v13, v13, v14
	v_mul_lo_u32 v14, v15, s13
	v_mul_lo_u32 v15, v15, s14
	;; [unrolled: 1-line block ×3, first 2 shown]
	s_waitcnt lgkmcnt(0)
	v_mul_lo_u32 v18, v13, s8
	v_mul_lo_u32 v13, v13, s9
	s_delay_alu instid0(VALU_DEP_3) | instskip(NEXT) | instid1(VALU_DEP_3)
	v_add3_u32 v6, v16, v6, v17
	v_add3_u32 v8, v14, v8, v18
	s_delay_alu instid0(VALU_DEP_3)
	v_add3_u32 v7, v15, v7, v13
	s_cbranch_scc1 .LBB117_39
; %bb.40:
	s_set_inst_prefetch_distance 0x2
	s_bitcmp1_b32 s5, 0
	s_cselect_b32 s5, -1, 0
	s_delay_alu instid0(SALU_CYCLE_1)
	s_and_b32 vcc_lo, exec_lo, s5
	s_cbranch_vccnz .LBB117_43
; %bb.41:
	s_clause 0x3
	s_load_b64 s[6:7], s[2:3], 0x18
	s_load_b32 s5, s[2:3], 0x20
	s_load_b64 s[8:9], s[2:3], 0xd8
	s_load_b32 s2, s[2:3], 0xe0
	s_waitcnt lgkmcnt(0)
	v_mul_hi_u32 v13, s7, v11
	s_delay_alu instid0(VALU_DEP_1) | instskip(NEXT) | instid1(VALU_DEP_1)
	v_add_nc_u32_e32 v13, v11, v13
	v_lshrrev_b32_e32 v13, s5, v13
	s_delay_alu instid0(VALU_DEP_1) | instskip(NEXT) | instid1(VALU_DEP_1)
	v_mul_lo_u32 v13, v13, s6
	v_sub_nc_u32_e32 v11, v11, v13
	s_delay_alu instid0(VALU_DEP_1) | instskip(SKIP_2) | instid1(VALU_DEP_3)
	v_mad_u64_u32 v[13:14], null, v11, s8, v[6:7]
	v_mad_u64_u32 v[14:15], null, v11, s9, v[8:9]
	;; [unrolled: 1-line block ×3, first 2 shown]
	v_mov_b32_e32 v6, v13
	s_delay_alu instid0(VALU_DEP_2)
	v_dual_mov_b32 v8, v14 :: v_dual_mov_b32 v7, v15
	s_branch .LBB117_43
.LBB117_42:
	s_mov_b32 s4, -1
                                        ; implicit-def: $vgpr6
                                        ; implicit-def: $vgpr8
                                        ; implicit-def: $vgpr7
.LBB117_43:
	s_delay_alu instid0(SALU_CYCLE_1)
	s_and_not1_b32 vcc_lo, exec_lo, s4
	s_cbranch_vccnz .LBB117_46
; %bb.44:
	s_clause 0x1
	s_load_b128 s[4:7], s[0:1], 0x4
	s_load_b128 s[8:11], s[0:1], 0xc4
	s_cmp_lt_u32 s24, 2
	s_waitcnt lgkmcnt(0)
	v_mul_hi_u32 v6, s5, v10
	s_delay_alu instid0(VALU_DEP_1) | instskip(NEXT) | instid1(VALU_DEP_1)
	v_add_nc_u32_e32 v6, v10, v6
	v_lshrrev_b32_e32 v11, s6, v6
	s_delay_alu instid0(VALU_DEP_1) | instskip(NEXT) | instid1(VALU_DEP_1)
	v_mul_lo_u32 v6, v11, s4
	v_sub_nc_u32_e32 v7, v10, v6
	s_delay_alu instid0(VALU_DEP_1)
	v_mul_lo_u32 v6, v7, s8
	v_mul_lo_u32 v8, v7, s9
	;; [unrolled: 1-line block ×3, first 2 shown]
	s_cbranch_scc1 .LBB117_46
; %bb.45:
	s_clause 0x1
	s_load_b128 s[4:7], s[0:1], 0x10
	s_load_b128 s[8:11], s[0:1], 0xd0
	s_waitcnt lgkmcnt(0)
	v_mul_hi_u32 v10, s5, v11
	s_delay_alu instid0(VALU_DEP_1) | instskip(NEXT) | instid1(VALU_DEP_1)
	v_add_nc_u32_e32 v10, v11, v10
	v_lshrrev_b32_e32 v10, s6, v10
	s_delay_alu instid0(VALU_DEP_1) | instskip(NEXT) | instid1(VALU_DEP_1)
	v_mul_lo_u32 v10, v10, s4
	v_sub_nc_u32_e32 v16, v11, v10
	s_delay_alu instid0(VALU_DEP_1) | instskip(SKIP_2) | instid1(VALU_DEP_3)
	v_mad_u64_u32 v[13:14], null, v16, s9, v[8:9]
	v_mad_u64_u32 v[10:11], null, v16, s8, v[6:7]
	;; [unrolled: 1-line block ×3, first 2 shown]
	v_mov_b32_e32 v8, v13
	s_delay_alu instid0(VALU_DEP_3) | instskip(NEXT) | instid1(VALU_DEP_3)
	v_mov_b32_e32 v6, v10
	v_mov_b32_e32 v7, v14
.LBB117_46:
	v_cmp_ne_u32_e32 vcc_lo, 1, v9
	s_cbranch_vccnz .LBB117_52
; %bb.47:
	v_dual_mov_b32 v9, 0 :: v_dual_mov_b32 v10, 0
	v_mov_b32_e32 v11, 0
	s_cmp_lg_u32 s24, 0
	s_mov_b32 s4, 0
	s_cbranch_scc0 .LBB117_53
; %bb.48:
	s_min_u32 s5, s25, 15
	v_dual_mov_b32 v10, 0 :: v_dual_mov_b32 v11, 0
	s_add_i32 s2, s5, 1
	v_mov_b32_e32 v9, 0
	v_mov_b32_e32 v13, v12
	s_and_b32 s6, s2, 30
	s_add_u32 s2, s0, 0xffffffec
	s_addc_u32 s3, s1, -1
	s_set_inst_prefetch_distance 0x1
	.p2align	6
.LBB117_49:                             ; =>This Inner Loop Header: Depth=1
	s_clause 0x2
	s_load_b128 s[8:11], s[2:3], 0x18
	s_load_b64 s[16:17], s[2:3], 0x28
	s_load_b128 s[12:15], s[2:3], 0xd8
	s_waitcnt lgkmcnt(0)
	v_mul_hi_u32 v14, s9, v13
	s_delay_alu instid0(VALU_DEP_1) | instskip(NEXT) | instid1(VALU_DEP_1)
	v_add_nc_u32_e32 v14, v13, v14
	v_lshrrev_b32_e32 v14, s10, v14
	s_delay_alu instid0(VALU_DEP_1)
	v_mul_hi_u32 v15, s16, v14
	v_mul_lo_u32 v16, v14, s8
	s_load_b64 s[8:9], s[2:3], 0xe8
	s_add_u32 s2, s2, 24
	s_addc_u32 s3, s3, 0
	s_add_i32 s6, s6, -2
	s_delay_alu instid0(SALU_CYCLE_1) | instskip(NEXT) | instid1(VALU_DEP_2)
	s_cmp_lg_u32 s6, 0
	v_add_nc_u32_e32 v15, v14, v15
	s_delay_alu instid0(VALU_DEP_2) | instskip(NEXT) | instid1(VALU_DEP_2)
	v_sub_nc_u32_e32 v16, v13, v16
	v_lshrrev_b32_e32 v13, s17, v15
	s_delay_alu instid0(VALU_DEP_2) | instskip(NEXT) | instid1(VALU_DEP_2)
	v_mul_lo_u32 v17, v16, s12
	v_mul_lo_u32 v15, v13, s11
	s_delay_alu instid0(VALU_DEP_1) | instskip(SKIP_2) | instid1(VALU_DEP_3)
	v_sub_nc_u32_e32 v14, v14, v15
	v_mul_lo_u32 v15, v16, s13
	v_mul_lo_u32 v16, v16, s14
	;; [unrolled: 1-line block ×3, first 2 shown]
	s_waitcnt lgkmcnt(0)
	v_mul_lo_u32 v19, v14, s8
	v_mul_lo_u32 v14, v14, s9
	s_delay_alu instid0(VALU_DEP_3) | instskip(NEXT) | instid1(VALU_DEP_3)
	v_add3_u32 v9, v17, v9, v18
	v_add3_u32 v11, v15, v11, v19
	s_delay_alu instid0(VALU_DEP_3)
	v_add3_u32 v10, v16, v10, v14
	s_cbranch_scc1 .LBB117_49
; %bb.50:
	s_set_inst_prefetch_distance 0x2
	s_bitcmp1_b32 s5, 0
	s_cselect_b32 s5, -1, 0
	s_delay_alu instid0(SALU_CYCLE_1)
	s_and_b32 vcc_lo, exec_lo, s5
	s_cbranch_vccnz .LBB117_53
; %bb.51:
	s_clause 0x3
	s_load_b64 s[6:7], s[2:3], 0x18
	s_load_b32 s5, s[2:3], 0x20
	s_load_b64 s[8:9], s[2:3], 0xd8
	s_load_b32 s2, s[2:3], 0xe0
	s_waitcnt lgkmcnt(0)
	v_mul_hi_u32 v14, s7, v13
	s_delay_alu instid0(VALU_DEP_1) | instskip(NEXT) | instid1(VALU_DEP_1)
	v_add_nc_u32_e32 v14, v13, v14
	v_lshrrev_b32_e32 v14, s5, v14
	s_delay_alu instid0(VALU_DEP_1) | instskip(NEXT) | instid1(VALU_DEP_1)
	v_mul_lo_u32 v14, v14, s6
	v_sub_nc_u32_e32 v17, v13, v14
	s_delay_alu instid0(VALU_DEP_1) | instskip(SKIP_2) | instid1(VALU_DEP_3)
	v_mad_u64_u32 v[13:14], null, v17, s8, v[9:10]
	v_mad_u64_u32 v[14:15], null, v17, s9, v[11:12]
	;; [unrolled: 1-line block ×3, first 2 shown]
	v_mov_b32_e32 v9, v13
	s_delay_alu instid0(VALU_DEP_2)
	v_dual_mov_b32 v11, v14 :: v_dual_mov_b32 v10, v15
	s_branch .LBB117_53
.LBB117_52:
	s_mov_b32 s4, -1
                                        ; implicit-def: $vgpr9
                                        ; implicit-def: $vgpr11
                                        ; implicit-def: $vgpr10
.LBB117_53:
	s_delay_alu instid0(SALU_CYCLE_1)
	s_and_not1_b32 vcc_lo, exec_lo, s4
	s_cbranch_vccnz .LBB117_56
; %bb.54:
	s_clause 0x1
	s_load_b128 s[4:7], s[0:1], 0x4
	s_load_b128 s[8:11], s[0:1], 0xc4
	s_cmp_lt_u32 s24, 2
	s_waitcnt lgkmcnt(0)
	v_mul_hi_u32 v9, s5, v12
	s_delay_alu instid0(VALU_DEP_1) | instskip(NEXT) | instid1(VALU_DEP_1)
	v_add_nc_u32_e32 v9, v12, v9
	v_lshrrev_b32_e32 v13, s6, v9
	s_delay_alu instid0(VALU_DEP_1) | instskip(NEXT) | instid1(VALU_DEP_1)
	v_mul_lo_u32 v9, v13, s4
	v_sub_nc_u32_e32 v10, v12, v9
	s_delay_alu instid0(VALU_DEP_1)
	v_mul_lo_u32 v9, v10, s8
	v_mul_lo_u32 v11, v10, s9
	v_mul_lo_u32 v10, v10, s10
	s_cbranch_scc1 .LBB117_56
; %bb.55:
	s_clause 0x1
	s_load_b128 s[4:7], s[0:1], 0x10
	s_load_b128 s[8:11], s[0:1], 0xd0
	s_waitcnt lgkmcnt(0)
	v_mul_hi_u32 v12, s5, v13
	s_delay_alu instid0(VALU_DEP_1) | instskip(NEXT) | instid1(VALU_DEP_1)
	v_add_nc_u32_e32 v12, v13, v12
	v_lshrrev_b32_e32 v12, s6, v12
	s_delay_alu instid0(VALU_DEP_1) | instskip(NEXT) | instid1(VALU_DEP_1)
	v_mul_lo_u32 v12, v12, s4
	v_sub_nc_u32_e32 v16, v13, v12
	s_delay_alu instid0(VALU_DEP_1) | instskip(NEXT) | instid1(VALU_DEP_1)
	v_mad_u64_u32 v[12:13], null, v16, s8, v[9:10]
	v_mad_u64_u32 v[13:14], null, v16, s9, v[11:12]
	;; [unrolled: 1-line block ×3, first 2 shown]
	v_mov_b32_e32 v9, v12
	s_delay_alu instid0(VALU_DEP_2)
	v_dual_mov_b32 v11, v13 :: v_dual_mov_b32 v10, v14
.LBB117_56:
	s_load_b256 s[0:7], s[0:1], 0x188
	v_mov_b32_e32 v12, 0
	s_waitcnt lgkmcnt(0)
	global_load_u8 v13, v1, s[4:5]
	global_load_b64 v[1:2], v2, s[2:3]
	global_load_u8 v14, v4, s[4:5]
	global_load_b64 v[4:5], v5, s[2:3]
	;; [unrolled: 2-line block ×4, first 2 shown]
	s_waitcnt vmcnt(7)
	v_cmp_ne_u16_e32 vcc_lo, 0, v13
	v_cndmask_b32_e64 v13, 0, 0x3ff00000, vcc_lo
	s_waitcnt vmcnt(5)
	v_cmp_ne_u16_e32 vcc_lo, 0, v14
	s_delay_alu instid0(VALU_DEP_2) | instskip(SKIP_3) | instid1(VALU_DEP_2)
	v_mul_f64 v[1:2], v[1:2], v[12:13]
	v_cndmask_b32_e64 v13, 0, 0x3ff00000, vcc_lo
	s_waitcnt vmcnt(3)
	v_cmp_ne_u16_e32 vcc_lo, 0, v15
	v_mul_f64 v[4:5], v[4:5], v[12:13]
	v_cndmask_b32_e64 v13, 0, 0x3ff00000, vcc_lo
	s_waitcnt vmcnt(1)
	v_cmp_ne_u16_e32 vcc_lo, 0, v16
	s_delay_alu instid0(VALU_DEP_2) | instskip(SKIP_2) | instid1(VALU_DEP_1)
	v_mul_f64 v[7:8], v[7:8], v[12:13]
	v_cndmask_b32_e64 v13, 0, 0x3ff00000, vcc_lo
	s_waitcnt vmcnt(0)
	v_mul_f64 v[10:11], v[10:11], v[12:13]
	v_mul_f64 v[1:2], s[6:7], v[1:2]
	;; [unrolled: 1-line block ×4, first 2 shown]
	s_delay_alu instid0(VALU_DEP_4)
	v_mul_f64 v[10:11], s[6:7], v[10:11]
	s_clause 0x3
	global_store_b64 v0, v[1:2], s[0:1]
	global_store_b64 v3, v[4:5], s[0:1]
	;; [unrolled: 1-line block ×4, first 2 shown]
	s_nop 0
	s_sendmsg sendmsg(MSG_DEALLOC_VGPRS)
	s_endpgm
.LBB117_57:
	s_mov_b32 s34, -1
                                        ; implicit-def: $vgpr0
                                        ; implicit-def: $vgpr2
                                        ; implicit-def: $vgpr1
.LBB117_58:
	s_delay_alu instid0(SALU_CYCLE_1)
	s_and_not1_b32 vcc_lo, exec_lo, s34
	s_cbranch_vccnz .LBB117_61
; %bb.59:
	s_waitcnt lgkmcnt(0)
	v_mul_hi_u32 v0, s17, v6
	s_and_not1_b32 vcc_lo, exec_lo, s28
	s_delay_alu instid0(VALU_DEP_1) | instskip(NEXT) | instid1(VALU_DEP_1)
	v_add_nc_u32_e32 v0, v6, v0
	v_lshrrev_b32_e32 v3, s18, v0
	s_delay_alu instid0(VALU_DEP_1) | instskip(NEXT) | instid1(VALU_DEP_1)
	v_mul_lo_u32 v0, v3, s16
	v_sub_nc_u32_e32 v1, v6, v0
	s_delay_alu instid0(VALU_DEP_1)
	v_mul_lo_u32 v0, v1, s12
	v_mul_lo_u32 v2, v1, s13
	v_mul_lo_u32 v1, v1, s14
	s_cbranch_vccnz .LBB117_61
; %bb.60:
	v_mul_hi_u32 v4, s20, v3
	s_delay_alu instid0(VALU_DEP_1) | instskip(NEXT) | instid1(VALU_DEP_1)
	v_add_nc_u32_e32 v4, v3, v4
	v_lshrrev_b32_e32 v4, s21, v4
	s_delay_alu instid0(VALU_DEP_1) | instskip(NEXT) | instid1(VALU_DEP_1)
	v_mul_lo_u32 v4, v4, s19
	v_sub_nc_u32_e32 v9, v3, v4
	s_delay_alu instid0(VALU_DEP_1) | instskip(SKIP_1) | instid1(VALU_DEP_2)
	v_mad_u64_u32 v[3:4], null, v9, s15, v[0:1]
	v_mad_u64_u32 v[7:8], null, v9, s3, v[1:2]
	;; [unrolled: 1-line block ×3, first 2 shown]
	v_mov_b32_e32 v0, v3
	s_delay_alu instid0(VALU_DEP_2)
	v_dual_mov_b32 v1, v7 :: v_dual_mov_b32 v2, v4
.LBB117_61:
	s_waitcnt lgkmcnt(0)
	global_load_u8 v3, v1, s[8:9]
	global_load_b64 v[1:2], v2, s[6:7]
	v_add_nc_u32_e32 v6, 0x80, v6
	s_waitcnt vmcnt(1)
	v_cmp_ne_u16_e32 vcc_lo, 0, v3
	v_mov_b32_e32 v3, 0
	v_cndmask_b32_e64 v4, 0, 0x3ff00000, vcc_lo
	s_waitcnt vmcnt(0)
	s_delay_alu instid0(VALU_DEP_1) | instskip(NEXT) | instid1(VALU_DEP_1)
	v_mul_f64 v[1:2], v[1:2], v[3:4]
	v_mul_f64 v[1:2], s[10:11], v[1:2]
	global_store_b64 v0, v[1:2], s[4:5]
	s_or_b32 exec_lo, exec_lo, s33
	s_delay_alu instid0(SALU_CYCLE_1)
	s_mov_b32 s33, exec_lo
	v_cmpx_gt_i32_e64 s30, v6
	s_cbranch_execnz .LBB117_16
.LBB117_62:
	s_or_b32 exec_lo, exec_lo, s33
	s_delay_alu instid0(SALU_CYCLE_1)
	s_mov_b32 s33, exec_lo
	v_cmpx_gt_i32_e64 s30, v6
	s_cbranch_execz .LBB117_74
.LBB117_63:
	s_and_not1_b32 vcc_lo, exec_lo, s26
	s_cbranch_vccnz .LBB117_77
; %bb.64:
	v_dual_mov_b32 v0, 0 :: v_dual_mov_b32 v1, 0
	v_mov_b32_e32 v2, 0
	s_and_not1_b32 vcc_lo, exec_lo, s31
	s_mov_b32 s34, 0
	s_cbranch_vccnz .LBB117_78
; %bb.65:
	s_add_i32 s22, s29, 1
	v_dual_mov_b32 v1, 0 :: v_dual_mov_b32 v2, 0
	v_dual_mov_b32 v0, 0 :: v_dual_mov_b32 v3, v6
	s_and_b32 s35, s22, 30
	s_add_u32 s22, s0, 0xffffffec
	s_addc_u32 s23, s1, -1
	s_set_inst_prefetch_distance 0x1
	.p2align	6
.LBB117_66:                             ; =>This Inner Loop Header: Depth=1
	s_clause 0x2
	s_load_b128 s[36:39], s[22:23], 0x18
	s_load_b64 s[44:45], s[22:23], 0x28
	s_load_b128 s[40:43], s[22:23], 0xd8
	s_waitcnt lgkmcnt(0)
	v_mul_hi_u32 v4, s37, v3
	s_delay_alu instid0(VALU_DEP_1) | instskip(NEXT) | instid1(VALU_DEP_1)
	v_add_nc_u32_e32 v4, v3, v4
	v_lshrrev_b32_e32 v4, s38, v4
	s_delay_alu instid0(VALU_DEP_1)
	v_mul_hi_u32 v5, s44, v4
	v_mul_lo_u32 v7, v4, s36
	s_load_b64 s[36:37], s[22:23], 0xe8
	s_add_u32 s22, s22, 24
	s_addc_u32 s23, s23, 0
	s_add_i32 s35, s35, -2
	s_delay_alu instid0(SALU_CYCLE_1) | instskip(NEXT) | instid1(VALU_DEP_2)
	s_cmp_eq_u32 s35, 0
	v_add_nc_u32_e32 v5, v4, v5
	s_delay_alu instid0(VALU_DEP_2) | instskip(NEXT) | instid1(VALU_DEP_2)
	v_sub_nc_u32_e32 v7, v3, v7
	v_lshrrev_b32_e32 v3, s45, v5
	s_delay_alu instid0(VALU_DEP_2) | instskip(NEXT) | instid1(VALU_DEP_2)
	v_mul_lo_u32 v8, v7, s40
	v_mul_lo_u32 v5, v3, s39
	s_delay_alu instid0(VALU_DEP_1) | instskip(SKIP_2) | instid1(VALU_DEP_3)
	v_sub_nc_u32_e32 v4, v4, v5
	v_mul_lo_u32 v5, v7, s41
	v_mul_lo_u32 v7, v7, s42
	;; [unrolled: 1-line block ×3, first 2 shown]
	s_waitcnt lgkmcnt(0)
	v_mul_lo_u32 v10, v4, s36
	v_mul_lo_u32 v4, v4, s37
	s_delay_alu instid0(VALU_DEP_3) | instskip(NEXT) | instid1(VALU_DEP_3)
	v_add3_u32 v0, v8, v0, v9
	v_add3_u32 v2, v5, v2, v10
	s_delay_alu instid0(VALU_DEP_3)
	v_add3_u32 v1, v7, v1, v4
	s_cbranch_scc0 .LBB117_66
; %bb.67:
	s_set_inst_prefetch_distance 0x2
	s_bitcmp1_b32 s29, 0
	s_cselect_b32 s35, -1, 0
	s_delay_alu instid0(SALU_CYCLE_1)
	s_and_b32 vcc_lo, exec_lo, s35
	s_cbranch_vccnz .LBB117_78
; %bb.68:
	s_clause 0x3
	s_load_b64 s[36:37], s[22:23], 0x18
	s_load_b32 s35, s[22:23], 0x20
	s_load_b64 s[38:39], s[22:23], 0xd8
	s_load_b32 s22, s[22:23], 0xe0
	s_waitcnt lgkmcnt(0)
	v_mul_hi_u32 v4, s37, v3
	s_delay_alu instid0(VALU_DEP_1) | instskip(NEXT) | instid1(VALU_DEP_1)
	v_add_nc_u32_e32 v4, v3, v4
	v_lshrrev_b32_e32 v4, s35, v4
	s_delay_alu instid0(VALU_DEP_1) | instskip(NEXT) | instid1(VALU_DEP_1)
	v_mul_lo_u32 v4, v4, s36
	v_sub_nc_u32_e32 v9, v3, v4
	s_delay_alu instid0(VALU_DEP_1) | instskip(SKIP_1) | instid1(VALU_DEP_2)
	v_mad_u64_u32 v[3:4], null, v9, s38, v[0:1]
	v_mad_u64_u32 v[7:8], null, v9, s22, v[1:2]
	v_mad_u64_u32 v[4:5], null, v9, s39, v[2:3]
	v_mov_b32_e32 v0, v3
	s_delay_alu instid0(VALU_DEP_2)
	v_dual_mov_b32 v1, v7 :: v_dual_mov_b32 v2, v4
	s_branch .LBB117_78
.LBB117_69:
	s_mov_b32 s34, -1
                                        ; implicit-def: $vgpr0
                                        ; implicit-def: $vgpr2
                                        ; implicit-def: $vgpr1
.LBB117_70:
	s_delay_alu instid0(SALU_CYCLE_1)
	s_and_not1_b32 vcc_lo, exec_lo, s34
	s_cbranch_vccnz .LBB117_73
; %bb.71:
	s_waitcnt lgkmcnt(0)
	v_mul_hi_u32 v0, s17, v6
	s_and_not1_b32 vcc_lo, exec_lo, s28
	s_delay_alu instid0(VALU_DEP_1) | instskip(NEXT) | instid1(VALU_DEP_1)
	v_add_nc_u32_e32 v0, v6, v0
	v_lshrrev_b32_e32 v3, s18, v0
	s_delay_alu instid0(VALU_DEP_1) | instskip(NEXT) | instid1(VALU_DEP_1)
	v_mul_lo_u32 v0, v3, s16
	v_sub_nc_u32_e32 v1, v6, v0
	s_delay_alu instid0(VALU_DEP_1)
	v_mul_lo_u32 v0, v1, s12
	v_mul_lo_u32 v2, v1, s13
	;; [unrolled: 1-line block ×3, first 2 shown]
	s_cbranch_vccnz .LBB117_73
; %bb.72:
	v_mul_hi_u32 v4, s20, v3
	s_delay_alu instid0(VALU_DEP_1) | instskip(NEXT) | instid1(VALU_DEP_1)
	v_add_nc_u32_e32 v4, v3, v4
	v_lshrrev_b32_e32 v4, s21, v4
	s_delay_alu instid0(VALU_DEP_1) | instskip(NEXT) | instid1(VALU_DEP_1)
	v_mul_lo_u32 v4, v4, s19
	v_sub_nc_u32_e32 v9, v3, v4
	s_delay_alu instid0(VALU_DEP_1) | instskip(SKIP_1) | instid1(VALU_DEP_2)
	v_mad_u64_u32 v[3:4], null, v9, s15, v[0:1]
	v_mad_u64_u32 v[7:8], null, v9, s3, v[1:2]
	;; [unrolled: 1-line block ×3, first 2 shown]
	v_mov_b32_e32 v0, v3
	s_delay_alu instid0(VALU_DEP_2)
	v_dual_mov_b32 v1, v7 :: v_dual_mov_b32 v2, v4
.LBB117_73:
	s_waitcnt lgkmcnt(0)
	global_load_u8 v3, v1, s[8:9]
	global_load_b64 v[1:2], v2, s[6:7]
	v_add_nc_u32_e32 v6, 0x80, v6
	s_waitcnt vmcnt(1)
	v_cmp_ne_u16_e32 vcc_lo, 0, v3
	v_mov_b32_e32 v3, 0
	v_cndmask_b32_e64 v4, 0, 0x3ff00000, vcc_lo
	s_waitcnt vmcnt(0)
	s_delay_alu instid0(VALU_DEP_1) | instskip(NEXT) | instid1(VALU_DEP_1)
	v_mul_f64 v[1:2], v[1:2], v[3:4]
	v_mul_f64 v[1:2], s[10:11], v[1:2]
	global_store_b64 v0, v[1:2], s[4:5]
	s_or_b32 exec_lo, exec_lo, s33
	s_delay_alu instid0(SALU_CYCLE_1)
	s_mov_b32 s33, exec_lo
	v_cmpx_gt_i32_e64 s30, v6
	s_cbranch_execnz .LBB117_63
.LBB117_74:
	s_or_b32 exec_lo, exec_lo, s33
	v_cmp_gt_i32_e32 vcc_lo, s30, v6
	s_and_saveexec_b32 s30, vcc_lo
	s_cbranch_execnz .LBB117_82
.LBB117_75:
	s_or_b32 exec_lo, exec_lo, s30
                                        ; implicit-def: $vgpr12
                                        ; implicit-def: $vgpr6
	s_waitcnt lgkmcnt(0)
	s_and_not1_saveexec_b32 s2, s27
	s_cbranch_execnz .LBB117_9
.LBB117_76:
	s_nop 0
	s_sendmsg sendmsg(MSG_DEALLOC_VGPRS)
	s_endpgm
.LBB117_77:
	s_mov_b32 s34, -1
                                        ; implicit-def: $vgpr0
                                        ; implicit-def: $vgpr2
                                        ; implicit-def: $vgpr1
.LBB117_78:
	s_delay_alu instid0(SALU_CYCLE_1)
	s_and_not1_b32 vcc_lo, exec_lo, s34
	s_cbranch_vccnz .LBB117_81
; %bb.79:
	s_waitcnt lgkmcnt(0)
	v_mul_hi_u32 v0, s17, v6
	s_and_not1_b32 vcc_lo, exec_lo, s28
	s_delay_alu instid0(VALU_DEP_1) | instskip(NEXT) | instid1(VALU_DEP_1)
	v_add_nc_u32_e32 v0, v6, v0
	v_lshrrev_b32_e32 v3, s18, v0
	s_delay_alu instid0(VALU_DEP_1) | instskip(NEXT) | instid1(VALU_DEP_1)
	v_mul_lo_u32 v0, v3, s16
	v_sub_nc_u32_e32 v1, v6, v0
	s_delay_alu instid0(VALU_DEP_1)
	v_mul_lo_u32 v0, v1, s12
	v_mul_lo_u32 v2, v1, s13
	;; [unrolled: 1-line block ×3, first 2 shown]
	s_cbranch_vccnz .LBB117_81
; %bb.80:
	v_mul_hi_u32 v4, s20, v3
	s_delay_alu instid0(VALU_DEP_1) | instskip(NEXT) | instid1(VALU_DEP_1)
	v_add_nc_u32_e32 v4, v3, v4
	v_lshrrev_b32_e32 v4, s21, v4
	s_delay_alu instid0(VALU_DEP_1) | instskip(NEXT) | instid1(VALU_DEP_1)
	v_mul_lo_u32 v4, v4, s19
	v_sub_nc_u32_e32 v9, v3, v4
	s_delay_alu instid0(VALU_DEP_1) | instskip(SKIP_1) | instid1(VALU_DEP_2)
	v_mad_u64_u32 v[3:4], null, v9, s15, v[0:1]
	v_mad_u64_u32 v[7:8], null, v9, s3, v[1:2]
	;; [unrolled: 1-line block ×3, first 2 shown]
	v_mov_b32_e32 v0, v3
	s_delay_alu instid0(VALU_DEP_2)
	v_dual_mov_b32 v1, v7 :: v_dual_mov_b32 v2, v4
.LBB117_81:
	s_waitcnt lgkmcnt(0)
	global_load_u8 v3, v1, s[8:9]
	global_load_b64 v[1:2], v2, s[6:7]
	v_add_nc_u32_e32 v6, 0x80, v6
	s_waitcnt vmcnt(1)
	v_cmp_ne_u16_e32 vcc_lo, 0, v3
	v_mov_b32_e32 v3, 0
	v_cndmask_b32_e64 v4, 0, 0x3ff00000, vcc_lo
	s_waitcnt vmcnt(0)
	s_delay_alu instid0(VALU_DEP_1) | instskip(NEXT) | instid1(VALU_DEP_1)
	v_mul_f64 v[1:2], v[1:2], v[3:4]
	v_mul_f64 v[1:2], s[10:11], v[1:2]
	global_store_b64 v0, v[1:2], s[4:5]
	s_or_b32 exec_lo, exec_lo, s33
	v_cmp_gt_i32_e32 vcc_lo, s30, v6
	s_and_saveexec_b32 s30, vcc_lo
	s_cbranch_execz .LBB117_75
.LBB117_82:
	s_and_not1_b32 vcc_lo, exec_lo, s26
	s_cbranch_vccnz .LBB117_88
; %bb.83:
	v_dual_mov_b32 v0, 0 :: v_dual_mov_b32 v1, 0
	v_mov_b32_e32 v2, 0
	s_and_not1_b32 vcc_lo, exec_lo, s31
	s_mov_b32 s31, 0
	s_cbranch_vccnz .LBB117_89
; %bb.84:
	s_add_i32 s22, s29, 1
	v_dual_mov_b32 v1, 0 :: v_dual_mov_b32 v2, 0
	v_dual_mov_b32 v0, 0 :: v_dual_mov_b32 v3, v6
	s_and_b32 s33, s22, 30
	s_add_u32 s22, s0, 0xffffffec
	s_addc_u32 s23, s1, -1
	s_set_inst_prefetch_distance 0x1
	.p2align	6
.LBB117_85:                             ; =>This Inner Loop Header: Depth=1
	s_clause 0x2
	s_load_b128 s[36:39], s[22:23], 0x18
	s_load_b64 s[34:35], s[22:23], 0x28
	s_load_b128 s[40:43], s[22:23], 0xd8
	s_waitcnt lgkmcnt(0)
	v_mul_hi_u32 v4, s37, v3
	s_delay_alu instid0(VALU_DEP_1) | instskip(NEXT) | instid1(VALU_DEP_1)
	v_add_nc_u32_e32 v4, v3, v4
	v_lshrrev_b32_e32 v4, s38, v4
	s_delay_alu instid0(VALU_DEP_1)
	v_mul_hi_u32 v5, s34, v4
	v_mul_lo_u32 v7, v4, s36
	s_load_b64 s[36:37], s[22:23], 0xe8
	s_add_u32 s22, s22, 24
	s_addc_u32 s23, s23, 0
	s_add_i32 s33, s33, -2
	s_delay_alu instid0(SALU_CYCLE_1) | instskip(NEXT) | instid1(VALU_DEP_2)
	s_cmp_eq_u32 s33, 0
	v_add_nc_u32_e32 v5, v4, v5
	s_delay_alu instid0(VALU_DEP_2) | instskip(NEXT) | instid1(VALU_DEP_2)
	v_sub_nc_u32_e32 v7, v3, v7
	v_lshrrev_b32_e32 v3, s35, v5
	s_delay_alu instid0(VALU_DEP_2) | instskip(NEXT) | instid1(VALU_DEP_2)
	v_mul_lo_u32 v8, v7, s40
	v_mul_lo_u32 v5, v3, s39
	s_delay_alu instid0(VALU_DEP_1) | instskip(SKIP_2) | instid1(VALU_DEP_3)
	v_sub_nc_u32_e32 v4, v4, v5
	v_mul_lo_u32 v5, v7, s41
	v_mul_lo_u32 v7, v7, s42
	;; [unrolled: 1-line block ×3, first 2 shown]
	s_waitcnt lgkmcnt(0)
	v_mul_lo_u32 v10, v4, s36
	v_mul_lo_u32 v4, v4, s37
	s_delay_alu instid0(VALU_DEP_3) | instskip(NEXT) | instid1(VALU_DEP_3)
	v_add3_u32 v0, v8, v0, v9
	v_add3_u32 v2, v5, v2, v10
	s_delay_alu instid0(VALU_DEP_3)
	v_add3_u32 v1, v7, v1, v4
	s_cbranch_scc0 .LBB117_85
; %bb.86:
	s_set_inst_prefetch_distance 0x2
	s_bitcmp1_b32 s29, 0
	s_cselect_b32 s29, -1, 0
	s_delay_alu instid0(SALU_CYCLE_1)
	s_and_b32 vcc_lo, exec_lo, s29
	s_cbranch_vccnz .LBB117_89
; %bb.87:
	s_clause 0x3
	s_load_b64 s[34:35], s[22:23], 0x18
	s_load_b32 s29, s[22:23], 0x20
	s_load_b64 s[36:37], s[22:23], 0xd8
	s_load_b32 s22, s[22:23], 0xe0
	s_waitcnt lgkmcnt(0)
	v_mul_hi_u32 v4, s35, v3
	s_delay_alu instid0(VALU_DEP_1) | instskip(NEXT) | instid1(VALU_DEP_1)
	v_add_nc_u32_e32 v4, v3, v4
	v_lshrrev_b32_e32 v4, s29, v4
	s_delay_alu instid0(VALU_DEP_1) | instskip(NEXT) | instid1(VALU_DEP_1)
	v_mul_lo_u32 v4, v4, s34
	v_sub_nc_u32_e32 v9, v3, v4
	s_delay_alu instid0(VALU_DEP_1) | instskip(SKIP_1) | instid1(VALU_DEP_2)
	v_mad_u64_u32 v[3:4], null, v9, s36, v[0:1]
	v_mad_u64_u32 v[7:8], null, v9, s22, v[1:2]
	;; [unrolled: 1-line block ×3, first 2 shown]
	v_mov_b32_e32 v0, v3
	s_delay_alu instid0(VALU_DEP_2)
	v_dual_mov_b32 v1, v7 :: v_dual_mov_b32 v2, v4
	s_branch .LBB117_89
.LBB117_88:
	s_mov_b32 s31, -1
                                        ; implicit-def: $vgpr0
                                        ; implicit-def: $vgpr2
                                        ; implicit-def: $vgpr1
.LBB117_89:
	s_delay_alu instid0(SALU_CYCLE_1)
	s_and_not1_b32 vcc_lo, exec_lo, s31
	s_cbranch_vccnz .LBB117_92
; %bb.90:
	s_waitcnt lgkmcnt(0)
	v_mul_hi_u32 v0, s17, v6
	s_and_not1_b32 vcc_lo, exec_lo, s28
	s_delay_alu instid0(VALU_DEP_1) | instskip(NEXT) | instid1(VALU_DEP_1)
	v_add_nc_u32_e32 v0, v6, v0
	v_lshrrev_b32_e32 v3, s18, v0
	s_delay_alu instid0(VALU_DEP_1) | instskip(NEXT) | instid1(VALU_DEP_1)
	v_mul_lo_u32 v0, v3, s16
	v_sub_nc_u32_e32 v1, v6, v0
	s_delay_alu instid0(VALU_DEP_1)
	v_mul_lo_u32 v0, v1, s12
	v_mul_lo_u32 v2, v1, s13
	;; [unrolled: 1-line block ×3, first 2 shown]
	s_cbranch_vccnz .LBB117_92
; %bb.91:
	v_mul_hi_u32 v4, s20, v3
	s_delay_alu instid0(VALU_DEP_1) | instskip(NEXT) | instid1(VALU_DEP_1)
	v_add_nc_u32_e32 v4, v3, v4
	v_lshrrev_b32_e32 v4, s21, v4
	s_delay_alu instid0(VALU_DEP_1) | instskip(NEXT) | instid1(VALU_DEP_1)
	v_mul_lo_u32 v4, v4, s19
	v_sub_nc_u32_e32 v7, v3, v4
	s_delay_alu instid0(VALU_DEP_1) | instskip(NEXT) | instid1(VALU_DEP_1)
	v_mad_u64_u32 v[3:4], null, v7, s15, v[0:1]
	v_mad_u64_u32 v[4:5], null, v7, s2, v[2:3]
	;; [unrolled: 1-line block ×3, first 2 shown]
	v_mov_b32_e32 v0, v3
	s_delay_alu instid0(VALU_DEP_2)
	v_dual_mov_b32 v2, v4 :: v_dual_mov_b32 v1, v5
.LBB117_92:
	s_waitcnt lgkmcnt(0)
	global_load_u8 v3, v1, s[8:9]
	global_load_b64 v[1:2], v2, s[6:7]
	s_waitcnt vmcnt(1)
	v_cmp_ne_u16_e32 vcc_lo, 0, v3
	v_mov_b32_e32 v3, 0
	v_cndmask_b32_e64 v4, 0, 0x3ff00000, vcc_lo
	s_waitcnt vmcnt(0)
	s_delay_alu instid0(VALU_DEP_1) | instskip(NEXT) | instid1(VALU_DEP_1)
	v_mul_f64 v[1:2], v[1:2], v[3:4]
	v_mul_f64 v[1:2], s[10:11], v[1:2]
	global_store_b64 v0, v[1:2], s[4:5]
	s_or_b32 exec_lo, exec_lo, s30
                                        ; implicit-def: $vgpr12
                                        ; implicit-def: $vgpr6
	s_and_not1_saveexec_b32 s2, s27
	s_cbranch_execz .LBB117_76
	s_branch .LBB117_9
	.section	.rodata,"a",@progbits
	.p2align	6, 0x0
	.amdhsa_kernel _ZN2at6native32elementwise_kernel_manual_unrollILi128ELi4EZNS0_22gpu_kernel_impl_nocastIZNS0_12_GLOBAL__N_119masked_scale_kernelIbddEEvRNS_6TensorERKS5_S8_T1_EUldbE_EEvRNS_18TensorIteratorBaseERKT_EUlibE_EEviS9_
		.amdhsa_group_segment_fixed_size 0
		.amdhsa_private_segment_fixed_size 0
		.amdhsa_kernarg_size 432
		.amdhsa_user_sgpr_count 15
		.amdhsa_user_sgpr_dispatch_ptr 0
		.amdhsa_user_sgpr_queue_ptr 0
		.amdhsa_user_sgpr_kernarg_segment_ptr 1
		.amdhsa_user_sgpr_dispatch_id 0
		.amdhsa_user_sgpr_private_segment_size 0
		.amdhsa_wavefront_size32 1
		.amdhsa_uses_dynamic_stack 0
		.amdhsa_enable_private_segment 0
		.amdhsa_system_sgpr_workgroup_id_x 1
		.amdhsa_system_sgpr_workgroup_id_y 0
		.amdhsa_system_sgpr_workgroup_id_z 0
		.amdhsa_system_sgpr_workgroup_info 0
		.amdhsa_system_vgpr_workitem_id 0
		.amdhsa_next_free_vgpr 20
		.amdhsa_next_free_sgpr 46
		.amdhsa_reserve_vcc 1
		.amdhsa_float_round_mode_32 0
		.amdhsa_float_round_mode_16_64 0
		.amdhsa_float_denorm_mode_32 3
		.amdhsa_float_denorm_mode_16_64 3
		.amdhsa_dx10_clamp 1
		.amdhsa_ieee_mode 1
		.amdhsa_fp16_overflow 0
		.amdhsa_workgroup_processor_mode 1
		.amdhsa_memory_ordered 1
		.amdhsa_forward_progress 0
		.amdhsa_shared_vgpr_count 0
		.amdhsa_exception_fp_ieee_invalid_op 0
		.amdhsa_exception_fp_denorm_src 0
		.amdhsa_exception_fp_ieee_div_zero 0
		.amdhsa_exception_fp_ieee_overflow 0
		.amdhsa_exception_fp_ieee_underflow 0
		.amdhsa_exception_fp_ieee_inexact 0
		.amdhsa_exception_int_div_zero 0
	.end_amdhsa_kernel
	.section	.text._ZN2at6native32elementwise_kernel_manual_unrollILi128ELi4EZNS0_22gpu_kernel_impl_nocastIZNS0_12_GLOBAL__N_119masked_scale_kernelIbddEEvRNS_6TensorERKS5_S8_T1_EUldbE_EEvRNS_18TensorIteratorBaseERKT_EUlibE_EEviS9_,"axG",@progbits,_ZN2at6native32elementwise_kernel_manual_unrollILi128ELi4EZNS0_22gpu_kernel_impl_nocastIZNS0_12_GLOBAL__N_119masked_scale_kernelIbddEEvRNS_6TensorERKS5_S8_T1_EUldbE_EEvRNS_18TensorIteratorBaseERKT_EUlibE_EEviS9_,comdat
.Lfunc_end117:
	.size	_ZN2at6native32elementwise_kernel_manual_unrollILi128ELi4EZNS0_22gpu_kernel_impl_nocastIZNS0_12_GLOBAL__N_119masked_scale_kernelIbddEEvRNS_6TensorERKS5_S8_T1_EUldbE_EEvRNS_18TensorIteratorBaseERKT_EUlibE_EEviS9_, .Lfunc_end117-_ZN2at6native32elementwise_kernel_manual_unrollILi128ELi4EZNS0_22gpu_kernel_impl_nocastIZNS0_12_GLOBAL__N_119masked_scale_kernelIbddEEvRNS_6TensorERKS5_S8_T1_EUldbE_EEvRNS_18TensorIteratorBaseERKT_EUlibE_EEviS9_
                                        ; -- End function
	.section	.AMDGPU.csdata,"",@progbits
; Kernel info:
; codeLenInByte = 6100
; NumSgprs: 48
; NumVgprs: 20
; ScratchSize: 0
; MemoryBound: 0
; FloatMode: 240
; IeeeMode: 1
; LDSByteSize: 0 bytes/workgroup (compile time only)
; SGPRBlocks: 5
; VGPRBlocks: 2
; NumSGPRsForWavesPerEU: 48
; NumVGPRsForWavesPerEU: 20
; Occupancy: 16
; WaveLimiterHint : 1
; COMPUTE_PGM_RSRC2:SCRATCH_EN: 0
; COMPUTE_PGM_RSRC2:USER_SGPR: 15
; COMPUTE_PGM_RSRC2:TRAP_HANDLER: 0
; COMPUTE_PGM_RSRC2:TGID_X_EN: 1
; COMPUTE_PGM_RSRC2:TGID_Y_EN: 0
; COMPUTE_PGM_RSRC2:TGID_Z_EN: 0
; COMPUTE_PGM_RSRC2:TIDIG_COMP_CNT: 0
	.section	.text._ZN2at6native32elementwise_kernel_manual_unrollILi128ELi4EZNS0_15gpu_kernel_implIZNS0_12_GLOBAL__N_119masked_scale_kernelIbddEEvRNS_6TensorERKS5_S8_T1_EUldbE_EEvRNS_18TensorIteratorBaseERKT_EUlibE_EEviS9_,"axG",@progbits,_ZN2at6native32elementwise_kernel_manual_unrollILi128ELi4EZNS0_15gpu_kernel_implIZNS0_12_GLOBAL__N_119masked_scale_kernelIbddEEvRNS_6TensorERKS5_S8_T1_EUldbE_EEvRNS_18TensorIteratorBaseERKT_EUlibE_EEviS9_,comdat
	.globl	_ZN2at6native32elementwise_kernel_manual_unrollILi128ELi4EZNS0_15gpu_kernel_implIZNS0_12_GLOBAL__N_119masked_scale_kernelIbddEEvRNS_6TensorERKS5_S8_T1_EUldbE_EEvRNS_18TensorIteratorBaseERKT_EUlibE_EEviS9_ ; -- Begin function _ZN2at6native32elementwise_kernel_manual_unrollILi128ELi4EZNS0_15gpu_kernel_implIZNS0_12_GLOBAL__N_119masked_scale_kernelIbddEEvRNS_6TensorERKS5_S8_T1_EUldbE_EEvRNS_18TensorIteratorBaseERKT_EUlibE_EEviS9_
	.p2align	8
	.type	_ZN2at6native32elementwise_kernel_manual_unrollILi128ELi4EZNS0_15gpu_kernel_implIZNS0_12_GLOBAL__N_119masked_scale_kernelIbddEEvRNS_6TensorERKS5_S8_T1_EUldbE_EEvRNS_18TensorIteratorBaseERKT_EUlibE_EEviS9_,@function
_ZN2at6native32elementwise_kernel_manual_unrollILi128ELi4EZNS0_15gpu_kernel_implIZNS0_12_GLOBAL__N_119masked_scale_kernelIbddEEvRNS_6TensorERKS5_S8_T1_EUldbE_EEvRNS_18TensorIteratorBaseERKT_EUlibE_EEviS9_: ; @_ZN2at6native32elementwise_kernel_manual_unrollILi128ELi4EZNS0_15gpu_kernel_implIZNS0_12_GLOBAL__N_119masked_scale_kernelIbddEEvRNS_6TensorERKS5_S8_T1_EUldbE_EEvRNS_18TensorIteratorBaseERKT_EUlibE_EEviS9_
; %bb.0:
	s_clause 0x5
	s_load_b32 s14, s[0:1], 0x38
	s_load_b32 s19, s[0:1], 0x0
	s_load_b64 s[2:3], s[0:1], 0x30
	s_load_b128 s[4:7], s[0:1], 0x8
	s_load_b64 s[12:13], s[0:1], 0x18
	s_load_b128 s[8:11], s[0:1], 0x20
	v_lshl_or_b32 v10, s15, 9, v0
	s_mov_b32 s15, 0
	s_mov_b32 s18, 0
	s_mov_b32 s0, exec_lo
	s_delay_alu instid0(VALU_DEP_1) | instskip(SKIP_3) | instid1(VALU_DEP_1)
	v_or_b32_e32 v0, 0x180, v10
	s_waitcnt lgkmcnt(0)
	s_lshr_b32 s16, s14, 8
	s_lshr_b32 s11, s14, 16
	v_cmpx_le_i32_e64 s19, v0
	s_xor_b32 s17, exec_lo, s0
	s_cbranch_execz .LBB118_1543
; %bb.1:
	s_mov_b32 s1, -1
	s_mov_b32 s23, 0
	s_mov_b32 s21, 0
	;; [unrolled: 1-line block ×3, first 2 shown]
	s_mov_b32 s22, exec_lo
	v_cmpx_gt_i32_e64 s19, v10
	s_cbranch_execz .LBB118_379
; %bb.2:
	v_mul_lo_u32 v0, v10, s9
	v_and_b32_e64 v4, 0xff, s16
	s_delay_alu instid0(VALU_DEP_1) | instskip(NEXT) | instid1(VALU_DEP_3)
	v_cmp_gt_i16_e32 vcc_lo, 11, v4
	v_ashrrev_i32_e32 v1, 31, v0
	v_add_co_u32 v2, s0, s6, v0
	s_delay_alu instid0(VALU_DEP_1)
	v_add_co_ci_u32_e64 v3, s0, s7, v1, s0
	s_cbranch_vccnz .LBB118_9
; %bb.3:
	v_cmp_lt_i16_e32 vcc_lo, 25, v4
	s_cbranch_vccz .LBB118_18
; %bb.4:
	v_cmp_lt_i16_e32 vcc_lo, 28, v4
	s_cbranch_vccz .LBB118_28
	;; [unrolled: 3-line block ×4, first 2 shown]
; %bb.7:
	v_cmp_eq_u16_e32 vcc_lo, 46, v4
	s_mov_b32 s1, 0
	s_cbranch_vccz .LBB118_36
; %bb.8:
	global_load_b32 v0, v[2:3], off
	s_mov_b32 s0, -1
	s_waitcnt vmcnt(0)
	v_lshlrev_b32_e32 v0, 16, v0
	s_delay_alu instid0(VALU_DEP_1)
	v_cvt_f64_f32_e32 v[0:1], v0
	s_branch .LBB118_38
.LBB118_9:
	s_mov_b32 s0, 0
                                        ; implicit-def: $vgpr0_vgpr1
	s_and_b32 vcc_lo, exec_lo, s1
	s_cbranch_vccnz .LBB118_104
.LBB118_10:
	s_and_not1_b32 vcc_lo, exec_lo, s0
	s_cbranch_vccnz .LBB118_151
.LBB118_11:
	v_mul_lo_u32 v2, v10, s10
	v_and_b32_e64 v4, 0xff, s11
	s_delay_alu instid0(VALU_DEP_1) | instskip(NEXT) | instid1(VALU_DEP_3)
	v_cmp_gt_i16_e32 vcc_lo, 11, v4
	v_ashrrev_i32_e32 v3, 31, v2
	v_add_co_u32 v2, s0, s12, v2
	s_delay_alu instid0(VALU_DEP_1)
	v_add_co_ci_u32_e64 v3, s0, s13, v3, s0
	s_cbranch_vccnz .LBB118_19
; %bb.12:
	v_cmp_lt_i16_e32 vcc_lo, 25, v4
	s_cbranch_vccz .LBB118_29
; %bb.13:
	v_cmp_lt_i16_e32 vcc_lo, 28, v4
	s_cbranch_vccz .LBB118_32
	;; [unrolled: 3-line block ×4, first 2 shown]
; %bb.16:
	v_cmp_eq_u16_e32 vcc_lo, 46, v4
	s_mov_b32 s20, 0
	s_cbranch_vccz .LBB118_152
; %bb.17:
	global_load_b32 v5, v[2:3], off
	s_mov_b32 s1, 0
	s_mov_b32 s0, -1
	s_waitcnt vmcnt(0)
	v_and_b32_e32 v5, 0x7fff7fff, v5
	s_delay_alu instid0(VALU_DEP_1)
	v_cmp_ne_u32_e32 vcc_lo, 0, v5
	s_and_b32 s18, vcc_lo, exec_lo
	s_branch .LBB118_154
.LBB118_18:
	s_mov_b32 s0, 0
                                        ; implicit-def: $vgpr0_vgpr1
	s_and_b32 vcc_lo, exec_lo, s1
	s_cbranch_vccnz .LBB118_71
	s_branch .LBB118_103
.LBB118_19:
	s_mov_b32 s1, 0
	s_mov_b32 s0, 0
                                        ; implicit-def: $sgpr18
	s_cbranch_execnz .LBB118_217
.LBB118_20:
	s_and_not1_b32 vcc_lo, exec_lo, s0
	s_cbranch_vccnz .LBB118_265
.LBB118_21:
	v_cndmask_b32_e64 v2, 0, 1, s18
	v_and_b32_e64 v6, 0xff, s14
	s_delay_alu instid0(VALU_DEP_2) | instskip(NEXT) | instid1(VALU_DEP_2)
	v_cvt_f64_u32_e32 v[2:3], v2
	v_cmp_gt_i16_e32 vcc_lo, 11, v6
	s_and_b32 vcc_lo, exec_lo, vcc_lo
	s_waitcnt vmcnt(0)
	s_delay_alu instid0(VALU_DEP_2) | instskip(SKIP_1) | instid1(VALU_DEP_1)
	v_mul_f64 v[0:1], v[0:1], v[2:3]
	v_mul_lo_u32 v2, v10, s8
	v_ashrrev_i32_e32 v3, 31, v2
	v_add_co_u32 v4, s0, s4, v2
	s_delay_alu instid0(VALU_DEP_1)
	v_add_co_ci_u32_e64 v5, s0, s5, v3, s0
	v_mul_f64 v[0:1], s[2:3], v[0:1]
	s_cbranch_vccnz .LBB118_30
; %bb.22:
	v_cmp_lt_i16_e32 vcc_lo, 25, v6
	s_cbranch_vccz .LBB118_33
; %bb.23:
	v_cmp_lt_i16_e32 vcc_lo, 28, v6
	s_cbranch_vccz .LBB118_35
	;; [unrolled: 3-line block ×4, first 2 shown]
; %bb.26:
	v_cmp_eq_u16_e32 vcc_lo, 46, v6
	s_mov_b32 s18, 0
	s_mov_b32 s0, -1
	s_mov_b32 s1, 0
	s_cbranch_vccz .LBB118_267
; %bb.27:
	v_cvt_f32_f64_e32 v2, v[0:1]
	s_mov_b32 s1, -1
	s_mov_b32 s0, 0
	s_delay_alu instid0(VALU_DEP_1) | instskip(SKIP_1) | instid1(VALU_DEP_2)
	v_bfe_u32 v3, v2, 16, 1
	v_cmp_o_f32_e32 vcc_lo, v2, v2
	v_add3_u32 v3, v2, v3, 0x7fff
	s_delay_alu instid0(VALU_DEP_1) | instskip(NEXT) | instid1(VALU_DEP_1)
	v_lshrrev_b32_e32 v3, 16, v3
	v_cndmask_b32_e32 v2, 0x7fc0, v3, vcc_lo
	global_store_b32 v[4:5], v2, off
	s_branch .LBB118_267
.LBB118_28:
	s_mov_b32 s0, 0
                                        ; implicit-def: $vgpr0_vgpr1
	s_branch .LBB118_50
.LBB118_29:
	s_mov_b32 s20, -1
	s_mov_b32 s1, 0
	s_mov_b32 s0, 0
                                        ; implicit-def: $sgpr18
	s_branch .LBB118_181
.LBB118_30:
	s_mov_b32 s18, -1
	s_mov_b32 s0, 0
	s_mov_b32 s1, 0
	s_branch .LBB118_336
.LBB118_31:
	s_mov_b32 s0, 0
                                        ; implicit-def: $vgpr0_vgpr1
	s_branch .LBB118_45
.LBB118_32:
	s_mov_b32 s20, -1
	s_mov_b32 s1, 0
	s_mov_b32 s0, 0
                                        ; implicit-def: $sgpr18
	s_branch .LBB118_162
.LBB118_33:
	s_mov_b32 s18, -1
	s_mov_b32 s0, 0
	s_mov_b32 s1, 0
	s_branch .LBB118_294
.LBB118_34:
	s_mov_b32 s20, -1
	s_mov_b32 s1, 0
	s_mov_b32 s0, 0
                                        ; implicit-def: $sgpr18
	s_branch .LBB118_157
.LBB118_35:
	s_mov_b32 s18, -1
	s_mov_b32 s0, 0
	s_mov_b32 s1, 0
	s_branch .LBB118_277
.LBB118_36:
	s_mov_b32 s21, -1
.LBB118_37:
	s_mov_b32 s0, 0
                                        ; implicit-def: $vgpr0_vgpr1
.LBB118_38:
	s_and_b32 vcc_lo, exec_lo, s1
	s_cbranch_vccz .LBB118_44
; %bb.39:
	v_cmp_eq_u16_e32 vcc_lo, 44, v4
	s_cbranch_vccz .LBB118_43
; %bb.40:
	global_load_u8 v5, v[2:3], off
	s_mov_b32 s21, 0
	s_mov_b32 s0, -1
	s_waitcnt vmcnt(0)
	v_lshlrev_b32_e32 v0, 23, v5
	v_cmp_ne_u32_e32 vcc_lo, 0xff, v5
	s_delay_alu instid0(VALU_DEP_2) | instskip(NEXT) | instid1(VALU_DEP_1)
	v_cvt_f64_f32_e32 v[0:1], v0
	v_cndmask_b32_e32 v0, 0x20000000, v0, vcc_lo
	s_delay_alu instid0(VALU_DEP_2) | instskip(SKIP_1) | instid1(VALU_DEP_2)
	v_cndmask_b32_e32 v1, 0x7ff80000, v1, vcc_lo
	v_cmp_ne_u32_e32 vcc_lo, 0, v5
	v_cndmask_b32_e32 v1, 0x38000000, v1, vcc_lo
	s_delay_alu instid0(VALU_DEP_4)
	v_cndmask_b32_e32 v0, 0, v0, vcc_lo
	s_branch .LBB118_44
.LBB118_41:
	s_mov_b32 s20, -1
	s_mov_b32 s1, 0
	s_branch .LBB118_153
.LBB118_42:
	s_mov_b32 s18, -1
	s_mov_b32 s0, 0
	s_mov_b32 s1, 0
	s_branch .LBB118_273
.LBB118_43:
	s_mov_b32 s21, -1
                                        ; implicit-def: $vgpr0_vgpr1
.LBB118_44:
	s_mov_b32 s1, 0
.LBB118_45:
	s_delay_alu instid0(SALU_CYCLE_1)
	s_and_b32 vcc_lo, exec_lo, s1
	s_cbranch_vccz .LBB118_49
; %bb.46:
	v_cmp_eq_u16_e32 vcc_lo, 29, v4
	s_cbranch_vccz .LBB118_48
; %bb.47:
	global_load_b64 v[0:1], v[2:3], off
	s_mov_b32 s0, -1
	s_mov_b32 s21, 0
	s_mov_b32 s1, 0
	s_waitcnt vmcnt(0)
	v_cvt_f64_u32_e32 v[5:6], v1
	v_cvt_f64_u32_e32 v[0:1], v0
	s_delay_alu instid0(VALU_DEP_2) | instskip(NEXT) | instid1(VALU_DEP_1)
	v_ldexp_f64 v[5:6], v[5:6], 32
	v_add_f64 v[0:1], v[5:6], v[0:1]
	s_branch .LBB118_50
.LBB118_48:
	s_mov_b32 s21, -1
                                        ; implicit-def: $vgpr0_vgpr1
.LBB118_49:
	s_mov_b32 s1, 0
.LBB118_50:
	s_delay_alu instid0(SALU_CYCLE_1)
	s_and_b32 vcc_lo, exec_lo, s1
	s_cbranch_vccz .LBB118_70
; %bb.51:
	v_cmp_gt_i16_e32 vcc_lo, 27, v4
	s_cbranch_vccnz .LBB118_54
; %bb.52:
	v_cmp_lt_i16_e32 vcc_lo, 27, v4
	s_cbranch_vccz .LBB118_55
; %bb.53:
	global_load_b32 v0, v[2:3], off
	s_mov_b32 s0, 0
	s_waitcnt vmcnt(0)
	v_cvt_f64_u32_e32 v[0:1], v0
	s_branch .LBB118_56
.LBB118_54:
	s_mov_b32 s0, -1
                                        ; implicit-def: $vgpr0_vgpr1
	s_branch .LBB118_59
.LBB118_55:
	s_mov_b32 s0, -1
                                        ; implicit-def: $vgpr0_vgpr1
.LBB118_56:
	s_delay_alu instid0(SALU_CYCLE_1)
	s_and_not1_b32 vcc_lo, exec_lo, s0
	s_cbranch_vccnz .LBB118_58
; %bb.57:
	global_load_u16 v0, v[2:3], off
	s_waitcnt vmcnt(0)
	v_cvt_f64_u32_e32 v[0:1], v0
.LBB118_58:
	s_mov_b32 s0, 0
.LBB118_59:
	s_delay_alu instid0(SALU_CYCLE_1)
	s_and_not1_b32 vcc_lo, exec_lo, s0
	s_cbranch_vccnz .LBB118_69
; %bb.60:
	global_load_u8 v5, v[2:3], off
	s_mov_b32 s20, exec_lo
                                        ; implicit-def: $sgpr0_sgpr1
	s_waitcnt vmcnt(0)
	v_cmpx_lt_i16_e32 0x7f, v5
	s_xor_b32 s20, exec_lo, s20
	s_cbranch_execz .LBB118_64
; %bb.61:
	s_mov_b32 s24, -1
	s_mov_b32 s18, exec_lo
                                        ; implicit-def: $sgpr0_sgpr1
	v_cmpx_eq_u16_e32 0x80, v5
; %bb.62:
	s_mov_b32 s1, 0x7ff80000
	s_brev_b32 s0, 4
	s_xor_b32 s24, exec_lo, -1
; %bb.63:
	s_or_b32 exec_lo, exec_lo, s18
	s_delay_alu instid0(SALU_CYCLE_1)
	s_and_b32 s18, s24, exec_lo
.LBB118_64:
	s_or_saveexec_b32 s20, s20
	v_dual_mov_b32 v0, s0 :: v_dual_mov_b32 v1, s1
	s_xor_b32 exec_lo, exec_lo, s20
; %bb.65:
	v_cmp_ne_u16_e32 vcc_lo, 0, v5
	v_mov_b32_e32 v0, 0
	v_mov_b32_e32 v1, 0
	s_and_not1_b32 s0, s18, exec_lo
	s_and_b32 s1, vcc_lo, exec_lo
	s_delay_alu instid0(SALU_CYCLE_1)
	s_or_b32 s18, s0, s1
; %bb.66:
	s_or_b32 exec_lo, exec_lo, s20
	s_and_saveexec_b32 s0, s18
	s_cbranch_execz .LBB118_68
; %bb.67:
	v_and_b32_e32 v0, 0xffff, v5
	v_lshlrev_b32_e32 v5, 24, v5
	s_delay_alu instid0(VALU_DEP_2) | instskip(NEXT) | instid1(VALU_DEP_2)
	v_and_b32_e32 v1, 7, v0
	v_and_b32_e32 v5, 0x80000000, v5
	s_delay_alu instid0(VALU_DEP_2) | instskip(NEXT) | instid1(VALU_DEP_1)
	v_clz_i32_u32_e32 v6, v1
	v_min_u32_e32 v6, 32, v6
	s_delay_alu instid0(VALU_DEP_1) | instskip(SKIP_1) | instid1(VALU_DEP_2)
	v_subrev_nc_u32_e32 v7, 28, v6
	v_sub_nc_u32_e32 v6, 29, v6
	v_lshlrev_b32_e32 v7, v7, v0
	v_bfe_u32 v0, v0, 3, 4
	s_delay_alu instid0(VALU_DEP_2) | instskip(NEXT) | instid1(VALU_DEP_2)
	v_and_b32_e32 v7, 7, v7
	v_cmp_eq_u32_e32 vcc_lo, 0, v0
	s_delay_alu instid0(VALU_DEP_2) | instskip(NEXT) | instid1(VALU_DEP_1)
	v_dual_cndmask_b32 v0, v0, v6 :: v_dual_cndmask_b32 v1, v1, v7
	v_lshl_add_u32 v0, v0, 23, 0x3b800000
	s_delay_alu instid0(VALU_DEP_2) | instskip(NEXT) | instid1(VALU_DEP_1)
	v_lshlrev_b32_e32 v1, 20, v1
	v_or3_b32 v0, v5, v0, v1
	s_delay_alu instid0(VALU_DEP_1)
	v_cvt_f64_f32_e32 v[0:1], v0
.LBB118_68:
	s_or_b32 exec_lo, exec_lo, s0
.LBB118_69:
	s_mov_b32 s0, -1
.LBB118_70:
	s_branch .LBB118_103
.LBB118_71:
	v_cmp_lt_i16_e32 vcc_lo, 22, v4
	s_cbranch_vccz .LBB118_83
; %bb.72:
	v_cmp_gt_i16_e32 vcc_lo, 24, v4
	s_cbranch_vccnz .LBB118_84
; %bb.73:
	v_cmp_lt_i16_e32 vcc_lo, 24, v4
	s_cbranch_vccz .LBB118_85
; %bb.74:
	global_load_u8 v5, v[2:3], off
	s_mov_b32 s18, 0
	s_mov_b32 s20, exec_lo
                                        ; implicit-def: $sgpr0_sgpr1
	s_waitcnt vmcnt(0)
	v_cmpx_lt_i16_e32 0x7f, v5
	s_xor_b32 s20, exec_lo, s20
	s_cbranch_execz .LBB118_78
; %bb.75:
	s_mov_b32 s24, -1
	s_mov_b32 s18, exec_lo
                                        ; implicit-def: $sgpr0_sgpr1
	v_cmpx_eq_u16_e32 0x80, v5
; %bb.76:
	s_mov_b32 s1, 0x7ff80000
	s_brev_b32 s0, 4
	s_xor_b32 s24, exec_lo, -1
; %bb.77:
	s_or_b32 exec_lo, exec_lo, s18
	s_delay_alu instid0(SALU_CYCLE_1)
	s_and_b32 s18, s24, exec_lo
.LBB118_78:
	s_or_saveexec_b32 s20, s20
	v_dual_mov_b32 v0, s0 :: v_dual_mov_b32 v1, s1
	s_xor_b32 exec_lo, exec_lo, s20
; %bb.79:
	v_cmp_ne_u16_e32 vcc_lo, 0, v5
	v_mov_b32_e32 v0, 0
	v_mov_b32_e32 v1, 0
	s_and_not1_b32 s0, s18, exec_lo
	s_and_b32 s1, vcc_lo, exec_lo
	s_delay_alu instid0(SALU_CYCLE_1)
	s_or_b32 s18, s0, s1
; %bb.80:
	s_or_b32 exec_lo, exec_lo, s20
	s_and_saveexec_b32 s0, s18
	s_cbranch_execz .LBB118_82
; %bb.81:
	v_and_b32_e32 v0, 0xffff, v5
	v_lshlrev_b32_e32 v5, 24, v5
	s_delay_alu instid0(VALU_DEP_2) | instskip(NEXT) | instid1(VALU_DEP_2)
	v_and_b32_e32 v1, 3, v0
	v_and_b32_e32 v5, 0x80000000, v5
	s_delay_alu instid0(VALU_DEP_2) | instskip(NEXT) | instid1(VALU_DEP_1)
	v_clz_i32_u32_e32 v6, v1
	v_min_u32_e32 v6, 32, v6
	s_delay_alu instid0(VALU_DEP_1) | instskip(SKIP_1) | instid1(VALU_DEP_2)
	v_subrev_nc_u32_e32 v7, 29, v6
	v_sub_nc_u32_e32 v6, 30, v6
	v_lshlrev_b32_e32 v7, v7, v0
	v_bfe_u32 v0, v0, 2, 5
	s_delay_alu instid0(VALU_DEP_2) | instskip(NEXT) | instid1(VALU_DEP_2)
	v_and_b32_e32 v7, 3, v7
	v_cmp_eq_u32_e32 vcc_lo, 0, v0
	s_delay_alu instid0(VALU_DEP_2) | instskip(NEXT) | instid1(VALU_DEP_1)
	v_dual_cndmask_b32 v0, v0, v6 :: v_dual_cndmask_b32 v1, v1, v7
	v_lshl_add_u32 v0, v0, 23, 0x37800000
	s_delay_alu instid0(VALU_DEP_2) | instskip(NEXT) | instid1(VALU_DEP_1)
	v_lshlrev_b32_e32 v1, 21, v1
	v_or3_b32 v0, v5, v0, v1
	s_delay_alu instid0(VALU_DEP_1)
	v_cvt_f64_f32_e32 v[0:1], v0
.LBB118_82:
	s_or_b32 exec_lo, exec_lo, s0
	s_mov_b32 s0, 0
	s_branch .LBB118_86
.LBB118_83:
	s_mov_b32 s1, -1
                                        ; implicit-def: $vgpr0_vgpr1
	s_branch .LBB118_92
.LBB118_84:
	s_mov_b32 s0, -1
                                        ; implicit-def: $vgpr0_vgpr1
	s_branch .LBB118_89
.LBB118_85:
	s_mov_b32 s0, -1
                                        ; implicit-def: $vgpr0_vgpr1
.LBB118_86:
	s_delay_alu instid0(SALU_CYCLE_1)
	s_and_b32 vcc_lo, exec_lo, s0
	s_cbranch_vccz .LBB118_88
; %bb.87:
	global_load_u8 v0, v[2:3], off
	s_waitcnt vmcnt(0)
	v_lshlrev_b32_e32 v0, 24, v0
	s_delay_alu instid0(VALU_DEP_1) | instskip(NEXT) | instid1(VALU_DEP_1)
	v_and_b32_e32 v1, 0x7f000000, v0
	v_clz_i32_u32_e32 v5, v1
	v_add_nc_u32_e32 v7, 0x1000000, v1
	v_cmp_ne_u32_e32 vcc_lo, 0, v1
	s_delay_alu instid0(VALU_DEP_3) | instskip(NEXT) | instid1(VALU_DEP_1)
	v_min_u32_e32 v5, 32, v5
	v_sub_nc_u32_e64 v5, v5, 4 clamp
	s_delay_alu instid0(VALU_DEP_1) | instskip(SKIP_1) | instid1(VALU_DEP_2)
	v_lshlrev_b32_e32 v6, v5, v1
	v_lshlrev_b32_e32 v5, 23, v5
	v_lshrrev_b32_e32 v6, 4, v6
	s_delay_alu instid0(VALU_DEP_1) | instskip(SKIP_1) | instid1(VALU_DEP_2)
	v_sub_nc_u32_e32 v5, v6, v5
	v_ashrrev_i32_e32 v6, 8, v7
	v_add_nc_u32_e32 v5, 0x3c000000, v5
	s_delay_alu instid0(VALU_DEP_1) | instskip(NEXT) | instid1(VALU_DEP_1)
	v_and_or_b32 v5, 0x7f800000, v6, v5
	v_cndmask_b32_e32 v1, 0, v5, vcc_lo
	s_delay_alu instid0(VALU_DEP_1) | instskip(NEXT) | instid1(VALU_DEP_1)
	v_and_or_b32 v0, 0x80000000, v0, v1
	v_cvt_f64_f32_e32 v[0:1], v0
.LBB118_88:
	s_mov_b32 s0, 0
.LBB118_89:
	s_delay_alu instid0(SALU_CYCLE_1)
	s_and_not1_b32 vcc_lo, exec_lo, s0
	s_cbranch_vccnz .LBB118_91
; %bb.90:
	global_load_u8 v0, v[2:3], off
	s_waitcnt vmcnt(0)
	v_lshlrev_b32_e32 v1, 25, v0
	v_lshlrev_b16 v0, 8, v0
	s_delay_alu instid0(VALU_DEP_1) | instskip(SKIP_1) | instid1(VALU_DEP_2)
	v_and_or_b32 v6, 0x7f00, v0, 0.5
	v_bfe_i32 v0, v0, 0, 16
	v_add_f32_e32 v6, -0.5, v6
	v_lshrrev_b32_e32 v5, 4, v1
	v_cmp_gt_u32_e32 vcc_lo, 0x8000000, v1
	s_delay_alu instid0(VALU_DEP_2) | instskip(NEXT) | instid1(VALU_DEP_1)
	v_or_b32_e32 v5, 0x70000000, v5
	v_mul_f32_e32 v5, 0x7800000, v5
	s_delay_alu instid0(VALU_DEP_1) | instskip(NEXT) | instid1(VALU_DEP_1)
	v_cndmask_b32_e32 v1, v5, v6, vcc_lo
	v_and_or_b32 v0, 0x80000000, v0, v1
	s_delay_alu instid0(VALU_DEP_1)
	v_cvt_f64_f32_e32 v[0:1], v0
.LBB118_91:
	s_mov_b32 s1, 0
	s_mov_b32 s0, -1
.LBB118_92:
	s_and_not1_b32 vcc_lo, exec_lo, s1
	s_cbranch_vccnz .LBB118_103
; %bb.93:
	v_cmp_lt_i16_e32 vcc_lo, 14, v4
	s_cbranch_vccz .LBB118_96
; %bb.94:
	v_cmp_eq_u16_e32 vcc_lo, 15, v4
	s_cbranch_vccz .LBB118_97
; %bb.95:
	global_load_u16 v0, v[2:3], off
	s_mov_b32 s0, -1
	s_mov_b32 s21, 0
	s_waitcnt vmcnt(0)
	v_lshlrev_b32_e32 v0, 16, v0
	s_delay_alu instid0(VALU_DEP_1)
	v_cvt_f64_f32_e32 v[0:1], v0
	s_branch .LBB118_98
.LBB118_96:
	s_mov_b32 s1, -1
                                        ; implicit-def: $vgpr0_vgpr1
	s_branch .LBB118_99
.LBB118_97:
	s_mov_b32 s21, -1
                                        ; implicit-def: $vgpr0_vgpr1
.LBB118_98:
	s_mov_b32 s1, 0
.LBB118_99:
	s_delay_alu instid0(SALU_CYCLE_1)
	s_and_b32 vcc_lo, exec_lo, s1
	s_cbranch_vccz .LBB118_103
; %bb.100:
	v_cmp_eq_u16_e32 vcc_lo, 11, v4
	s_cbranch_vccz .LBB118_102
; %bb.101:
	global_load_u8 v0, v[2:3], off
	s_mov_b32 s21, 0
	s_mov_b32 s0, -1
	s_waitcnt vmcnt(0)
	v_cmp_ne_u16_e32 vcc_lo, 0, v0
	v_mov_b32_e32 v0, 0
	v_cndmask_b32_e64 v1, 0, 0x3ff00000, vcc_lo
	s_branch .LBB118_103
.LBB118_102:
	s_mov_b32 s21, -1
                                        ; implicit-def: $vgpr0_vgpr1
.LBB118_103:
	s_branch .LBB118_10
.LBB118_104:
	v_cmp_gt_i16_e32 vcc_lo, 5, v4
	s_cbranch_vccnz .LBB118_109
; %bb.105:
	v_cmp_gt_i16_e32 vcc_lo, 8, v4
	s_cbranch_vccnz .LBB118_110
; %bb.106:
	;; [unrolled: 3-line block ×3, first 2 shown]
	v_cmp_lt_i16_e32 vcc_lo, 9, v4
	s_cbranch_vccz .LBB118_112
; %bb.108:
	global_load_b64 v[0:1], v[2:3], off
	s_mov_b32 s0, 0
	s_branch .LBB118_113
.LBB118_109:
                                        ; implicit-def: $vgpr0_vgpr1
	s_branch .LBB118_131
.LBB118_110:
	s_mov_b32 s0, -1
                                        ; implicit-def: $vgpr0_vgpr1
	s_branch .LBB118_119
.LBB118_111:
	s_mov_b32 s0, -1
                                        ; implicit-def: $vgpr0_vgpr1
	s_branch .LBB118_116
.LBB118_112:
	s_mov_b32 s0, -1
                                        ; implicit-def: $vgpr0_vgpr1
.LBB118_113:
	s_delay_alu instid0(SALU_CYCLE_1)
	s_and_not1_b32 vcc_lo, exec_lo, s0
	s_cbranch_vccnz .LBB118_115
; %bb.114:
	global_load_b32 v0, v[2:3], off
	s_waitcnt vmcnt(0)
	v_cvt_f64_f32_e32 v[0:1], v0
.LBB118_115:
	s_mov_b32 s0, 0
.LBB118_116:
	s_delay_alu instid0(SALU_CYCLE_1)
	s_and_not1_b32 vcc_lo, exec_lo, s0
	s_cbranch_vccnz .LBB118_118
; %bb.117:
	global_load_b32 v0, v[2:3], off
	s_waitcnt vmcnt(0)
	v_cvt_f32_f16_e32 v0, v0
	s_delay_alu instid0(VALU_DEP_1)
	v_cvt_f64_f32_e32 v[0:1], v0
.LBB118_118:
	s_mov_b32 s0, 0
.LBB118_119:
	s_delay_alu instid0(SALU_CYCLE_1)
	s_and_not1_b32 vcc_lo, exec_lo, s0
	s_cbranch_vccnz .LBB118_130
; %bb.120:
	v_cmp_gt_i16_e32 vcc_lo, 6, v4
	s_cbranch_vccnz .LBB118_123
; %bb.121:
	v_cmp_lt_i16_e32 vcc_lo, 6, v4
	s_cbranch_vccz .LBB118_124
; %bb.122:
	global_load_b64 v[0:1], v[2:3], off
	s_mov_b32 s0, 0
	s_branch .LBB118_125
.LBB118_123:
	s_mov_b32 s0, -1
                                        ; implicit-def: $vgpr0_vgpr1
	s_branch .LBB118_128
.LBB118_124:
	s_mov_b32 s0, -1
                                        ; implicit-def: $vgpr0_vgpr1
.LBB118_125:
	s_delay_alu instid0(SALU_CYCLE_1)
	s_and_not1_b32 vcc_lo, exec_lo, s0
	s_cbranch_vccnz .LBB118_127
; %bb.126:
	global_load_b32 v0, v[2:3], off
	s_waitcnt vmcnt(0)
	v_cvt_f64_f32_e32 v[0:1], v0
.LBB118_127:
	s_mov_b32 s0, 0
.LBB118_128:
	s_delay_alu instid0(SALU_CYCLE_1)
	s_and_not1_b32 vcc_lo, exec_lo, s0
	s_cbranch_vccnz .LBB118_130
; %bb.129:
	global_load_u16 v0, v[2:3], off
	s_waitcnt vmcnt(0)
	v_cvt_f32_f16_e32 v0, v0
	s_delay_alu instid0(VALU_DEP_1)
	v_cvt_f64_f32_e32 v[0:1], v0
.LBB118_130:
	s_cbranch_execnz .LBB118_150
.LBB118_131:
	v_cmp_gt_i16_e32 vcc_lo, 2, v4
	s_cbranch_vccnz .LBB118_135
; %bb.132:
	v_cmp_gt_i16_e32 vcc_lo, 3, v4
	s_cbranch_vccnz .LBB118_136
; %bb.133:
	v_cmp_lt_i16_e32 vcc_lo, 3, v4
	s_cbranch_vccz .LBB118_137
; %bb.134:
	global_load_b64 v[0:1], v[2:3], off
	s_mov_b32 s0, 0
	s_waitcnt vmcnt(0)
	v_cvt_f64_i32_e32 v[5:6], v1
	v_cvt_f64_u32_e32 v[0:1], v0
	s_delay_alu instid0(VALU_DEP_2) | instskip(NEXT) | instid1(VALU_DEP_1)
	v_ldexp_f64 v[5:6], v[5:6], 32
	v_add_f64 v[0:1], v[5:6], v[0:1]
	s_branch .LBB118_138
.LBB118_135:
	s_mov_b32 s0, -1
                                        ; implicit-def: $vgpr0_vgpr1
	s_branch .LBB118_144
.LBB118_136:
	s_mov_b32 s0, -1
                                        ; implicit-def: $vgpr0_vgpr1
	s_branch .LBB118_141
.LBB118_137:
	s_mov_b32 s0, -1
                                        ; implicit-def: $vgpr0_vgpr1
.LBB118_138:
	s_delay_alu instid0(SALU_CYCLE_1)
	s_and_not1_b32 vcc_lo, exec_lo, s0
	s_cbranch_vccnz .LBB118_140
; %bb.139:
	global_load_b32 v0, v[2:3], off
	s_waitcnt vmcnt(0)
	v_cvt_f64_i32_e32 v[0:1], v0
.LBB118_140:
	s_mov_b32 s0, 0
.LBB118_141:
	s_delay_alu instid0(SALU_CYCLE_1)
	s_and_not1_b32 vcc_lo, exec_lo, s0
	s_cbranch_vccnz .LBB118_143
; %bb.142:
	global_load_i16 v0, v[2:3], off
	s_waitcnt vmcnt(0)
	v_cvt_f64_i32_e32 v[0:1], v0
.LBB118_143:
	s_mov_b32 s0, 0
.LBB118_144:
	s_delay_alu instid0(SALU_CYCLE_1)
	s_and_not1_b32 vcc_lo, exec_lo, s0
	s_cbranch_vccnz .LBB118_150
; %bb.145:
	v_cmp_lt_i16_e32 vcc_lo, 0, v4
	s_mov_b32 s0, 0
	s_cbranch_vccz .LBB118_147
; %bb.146:
	global_load_i8 v0, v[2:3], off
	s_waitcnt vmcnt(0)
	v_cvt_f64_i32_e32 v[0:1], v0
	s_branch .LBB118_148
.LBB118_147:
	s_mov_b32 s0, -1
                                        ; implicit-def: $vgpr0_vgpr1
.LBB118_148:
	s_delay_alu instid0(SALU_CYCLE_1)
	s_and_not1_b32 vcc_lo, exec_lo, s0
	s_cbranch_vccnz .LBB118_150
; %bb.149:
	global_load_u8 v0, v[2:3], off
	s_waitcnt vmcnt(0)
	v_cvt_f64_u32_e32 v[0:1], v0
.LBB118_150:
	s_branch .LBB118_11
.LBB118_151:
	s_mov_b32 s0, 0
	s_mov_b32 s1, 0
	s_branch .LBB118_377
.LBB118_152:
	s_mov_b32 s1, -1
.LBB118_153:
	s_mov_b32 s0, 0
                                        ; implicit-def: $sgpr18
.LBB118_154:
	s_and_b32 vcc_lo, exec_lo, s20
	s_cbranch_vccz .LBB118_156
; %bb.155:
	v_cmp_eq_u16_e64 s0, 44, v4
	s_mov_b32 s1, -1
	s_or_b32 s18, s18, exec_lo
.LBB118_156:
	s_mov_b32 s20, 0
.LBB118_157:
	s_delay_alu instid0(SALU_CYCLE_1)
	s_and_b32 vcc_lo, exec_lo, s20
	s_cbranch_vccz .LBB118_161
; %bb.158:
	v_cmp_eq_u16_e32 vcc_lo, 29, v4
	s_cbranch_vccz .LBB118_160
; %bb.159:
	global_load_b64 v[5:6], v[2:3], off
	s_mov_b32 s0, -1
	s_mov_b32 s1, 0
	s_mov_b32 s20, 0
	s_waitcnt vmcnt(0)
	v_cmp_ne_u64_e32 vcc_lo, 0, v[5:6]
	s_and_b32 s18, vcc_lo, exec_lo
	s_branch .LBB118_162
.LBB118_160:
	s_mov_b32 s1, -1
                                        ; implicit-def: $sgpr18
.LBB118_161:
	s_mov_b32 s20, 0
.LBB118_162:
	s_delay_alu instid0(SALU_CYCLE_1)
	s_and_b32 vcc_lo, exec_lo, s20
	s_cbranch_vccz .LBB118_180
; %bb.163:
	v_cmp_gt_i16_e32 vcc_lo, 27, v4
	s_cbranch_vccnz .LBB118_166
; %bb.164:
	v_cmp_lt_i16_e32 vcc_lo, 27, v4
	s_cbranch_vccz .LBB118_167
; %bb.165:
	global_load_b32 v5, v[2:3], off
	s_mov_b32 s0, 0
	s_waitcnt vmcnt(0)
	v_cmp_ne_u32_e32 vcc_lo, 0, v5
	s_and_b32 s18, vcc_lo, exec_lo
	s_branch .LBB118_168
.LBB118_166:
	s_mov_b32 s0, -1
                                        ; implicit-def: $sgpr18
	s_branch .LBB118_171
.LBB118_167:
	s_mov_b32 s0, -1
                                        ; implicit-def: $sgpr18
.LBB118_168:
	s_delay_alu instid0(SALU_CYCLE_1)
	s_and_not1_b32 vcc_lo, exec_lo, s0
	s_cbranch_vccnz .LBB118_170
; %bb.169:
	global_load_u16 v5, v[2:3], off
	s_and_not1_b32 s0, s18, exec_lo
	s_waitcnt vmcnt(0)
	v_cmp_ne_u16_e32 vcc_lo, 0, v5
	s_and_b32 s18, vcc_lo, exec_lo
	s_delay_alu instid0(SALU_CYCLE_1)
	s_or_b32 s18, s0, s18
.LBB118_170:
	s_mov_b32 s0, 0
.LBB118_171:
	s_delay_alu instid0(SALU_CYCLE_1)
	s_and_not1_b32 vcc_lo, exec_lo, s0
	s_cbranch_vccnz .LBB118_179
; %bb.172:
	global_load_u8 v5, v[2:3], off
	s_mov_b32 s0, 0
	s_mov_b32 s20, exec_lo
                                        ; implicit-def: $sgpr18
	s_waitcnt vmcnt(0)
	v_cmpx_lt_i16_e32 0x7f, v5
	s_xor_b32 s20, exec_lo, s20
	s_cbranch_execz .LBB118_193
; %bb.173:
	s_mov_b32 s0, -1
	s_mov_b32 s24, exec_lo
                                        ; implicit-def: $sgpr18
	v_cmpx_eq_u16_e32 0x80, v5
; %bb.174:
	s_mov_b32 s18, -1
	s_xor_b32 s0, exec_lo, -1
; %bb.175:
	s_or_b32 exec_lo, exec_lo, s24
	s_delay_alu instid0(SALU_CYCLE_1)
	s_and_b32 s0, s0, exec_lo
	s_and_not1_saveexec_b32 s20, s20
	s_cbranch_execnz .LBB118_194
.LBB118_176:
	s_or_b32 exec_lo, exec_lo, s20
	s_and_saveexec_b32 s20, s0
	s_cbranch_execz .LBB118_178
.LBB118_177:
	v_and_b32_e32 v5, 0xffff, v5
	s_and_not1_b32 s0, s18, exec_lo
	s_delay_alu instid0(VALU_DEP_1) | instskip(NEXT) | instid1(VALU_DEP_1)
	v_and_b32_e32 v6, 7, v5
	v_clz_i32_u32_e32 v7, v6
	s_delay_alu instid0(VALU_DEP_1) | instskip(NEXT) | instid1(VALU_DEP_1)
	v_min_u32_e32 v7, 32, v7
	v_subrev_nc_u32_e32 v8, 28, v7
	v_sub_nc_u32_e32 v7, 29, v7
	s_delay_alu instid0(VALU_DEP_2) | instskip(SKIP_1) | instid1(VALU_DEP_2)
	v_lshlrev_b32_e32 v8, v8, v5
	v_bfe_u32 v5, v5, 3, 4
	v_and_b32_e32 v8, 7, v8
	s_delay_alu instid0(VALU_DEP_2) | instskip(NEXT) | instid1(VALU_DEP_2)
	v_cmp_eq_u32_e32 vcc_lo, 0, v5
	v_dual_cndmask_b32 v5, v5, v7 :: v_dual_cndmask_b32 v6, v6, v8
	s_delay_alu instid0(VALU_DEP_1) | instskip(NEXT) | instid1(VALU_DEP_2)
	v_lshl_add_u32 v5, v5, 23, 0x3b800000
	v_lshlrev_b32_e32 v6, 20, v6
	s_delay_alu instid0(VALU_DEP_1) | instskip(NEXT) | instid1(VALU_DEP_1)
	v_and_or_b32 v5, 0x7f800000, v5, v6
	v_cmp_ne_u32_e32 vcc_lo, 0, v5
	s_and_b32 s18, vcc_lo, exec_lo
	s_delay_alu instid0(SALU_CYCLE_1)
	s_or_b32 s18, s0, s18
.LBB118_178:
	s_or_b32 exec_lo, exec_lo, s20
.LBB118_179:
	s_mov_b32 s0, -1
.LBB118_180:
	s_mov_b32 s20, 0
.LBB118_181:
	s_delay_alu instid0(SALU_CYCLE_1)
	s_and_b32 vcc_lo, exec_lo, s20
	s_cbranch_vccz .LBB118_216
; %bb.182:
	v_cmp_lt_i16_e32 vcc_lo, 22, v4
	s_cbranch_vccz .LBB118_192
; %bb.183:
	v_cmp_gt_i16_e32 vcc_lo, 24, v4
	s_cbranch_vccnz .LBB118_195
; %bb.184:
	v_cmp_lt_i16_e32 vcc_lo, 24, v4
	s_cbranch_vccz .LBB118_196
; %bb.185:
	global_load_u8 v5, v[2:3], off
	s_mov_b32 s0, 0
	s_mov_b32 s20, exec_lo
                                        ; implicit-def: $sgpr18
	s_waitcnt vmcnt(0)
	v_cmpx_lt_i16_e32 0x7f, v5
	s_xor_b32 s20, exec_lo, s20
	s_cbranch_execz .LBB118_208
; %bb.186:
	s_mov_b32 s0, -1
	s_mov_b32 s24, exec_lo
                                        ; implicit-def: $sgpr18
	v_cmpx_eq_u16_e32 0x80, v5
; %bb.187:
	s_mov_b32 s18, -1
	s_xor_b32 s0, exec_lo, -1
; %bb.188:
	s_or_b32 exec_lo, exec_lo, s24
	s_delay_alu instid0(SALU_CYCLE_1)
	s_and_b32 s0, s0, exec_lo
	s_and_not1_saveexec_b32 s20, s20
	s_cbranch_execnz .LBB118_209
.LBB118_189:
	s_or_b32 exec_lo, exec_lo, s20
	s_and_saveexec_b32 s20, s0
	s_cbranch_execz .LBB118_191
.LBB118_190:
	v_and_b32_e32 v5, 0xffff, v5
	s_and_not1_b32 s0, s18, exec_lo
	s_delay_alu instid0(VALU_DEP_1) | instskip(NEXT) | instid1(VALU_DEP_1)
	v_and_b32_e32 v6, 3, v5
	v_clz_i32_u32_e32 v7, v6
	s_delay_alu instid0(VALU_DEP_1) | instskip(NEXT) | instid1(VALU_DEP_1)
	v_min_u32_e32 v7, 32, v7
	v_subrev_nc_u32_e32 v8, 29, v7
	v_sub_nc_u32_e32 v7, 30, v7
	s_delay_alu instid0(VALU_DEP_2) | instskip(SKIP_1) | instid1(VALU_DEP_2)
	v_lshlrev_b32_e32 v8, v8, v5
	v_bfe_u32 v5, v5, 2, 5
	v_and_b32_e32 v8, 3, v8
	s_delay_alu instid0(VALU_DEP_2) | instskip(NEXT) | instid1(VALU_DEP_2)
	v_cmp_eq_u32_e32 vcc_lo, 0, v5
	v_dual_cndmask_b32 v5, v5, v7 :: v_dual_cndmask_b32 v6, v6, v8
	s_delay_alu instid0(VALU_DEP_1) | instskip(NEXT) | instid1(VALU_DEP_2)
	v_lshl_add_u32 v5, v5, 23, 0x37800000
	v_lshlrev_b32_e32 v6, 21, v6
	s_delay_alu instid0(VALU_DEP_1) | instskip(NEXT) | instid1(VALU_DEP_1)
	v_and_or_b32 v5, 0x7f800000, v5, v6
	v_cmp_ne_u32_e32 vcc_lo, 0, v5
	s_and_b32 s18, vcc_lo, exec_lo
	s_delay_alu instid0(SALU_CYCLE_1)
	s_or_b32 s18, s0, s18
.LBB118_191:
	s_or_b32 exec_lo, exec_lo, s20
	s_mov_b32 s0, 0
	s_branch .LBB118_197
.LBB118_192:
	s_mov_b32 s20, -1
                                        ; implicit-def: $sgpr18
	s_branch .LBB118_203
.LBB118_193:
	s_and_not1_saveexec_b32 s20, s20
	s_cbranch_execz .LBB118_176
.LBB118_194:
	v_cmp_ne_u16_e32 vcc_lo, 0, v5
	s_and_not1_b32 s0, s0, exec_lo
	s_and_not1_b32 s18, s18, exec_lo
	s_and_b32 s24, vcc_lo, exec_lo
	s_delay_alu instid0(SALU_CYCLE_1)
	s_or_b32 s0, s0, s24
	s_or_b32 exec_lo, exec_lo, s20
	s_and_saveexec_b32 s20, s0
	s_cbranch_execnz .LBB118_177
	s_branch .LBB118_178
.LBB118_195:
	s_mov_b32 s0, -1
                                        ; implicit-def: $sgpr18
	s_branch .LBB118_200
.LBB118_196:
	s_mov_b32 s0, -1
                                        ; implicit-def: $sgpr18
.LBB118_197:
	s_delay_alu instid0(SALU_CYCLE_1)
	s_and_b32 vcc_lo, exec_lo, s0
	s_cbranch_vccz .LBB118_199
; %bb.198:
	global_load_u8 v5, v[2:3], off
	s_and_not1_b32 s18, s18, exec_lo
	s_waitcnt vmcnt(0)
	v_lshlrev_b32_e32 v5, 24, v5
	s_delay_alu instid0(VALU_DEP_1) | instskip(NEXT) | instid1(VALU_DEP_1)
	v_and_b32_e32 v5, 0x7f000000, v5
	v_clz_i32_u32_e32 v6, v5
	v_add_nc_u32_e32 v8, 0x1000000, v5
	v_cmp_ne_u32_e32 vcc_lo, 0, v5
	s_delay_alu instid0(VALU_DEP_3) | instskip(NEXT) | instid1(VALU_DEP_3)
	v_min_u32_e32 v6, 32, v6
	v_ashrrev_i32_e32 v8, 8, v8
	s_delay_alu instid0(VALU_DEP_2) | instskip(NEXT) | instid1(VALU_DEP_1)
	v_sub_nc_u32_e64 v6, v6, 4 clamp
	v_lshlrev_b32_e32 v7, v6, v5
	v_lshlrev_b32_e32 v6, 23, v6
	s_delay_alu instid0(VALU_DEP_2) | instskip(NEXT) | instid1(VALU_DEP_1)
	v_lshrrev_b32_e32 v7, 4, v7
	v_sub_nc_u32_e32 v6, v7, v6
	v_and_b32_e32 v7, 0x7f800000, v8
	s_delay_alu instid0(VALU_DEP_2) | instskip(NEXT) | instid1(VALU_DEP_1)
	v_add_nc_u32_e32 v6, 0x3c000000, v6
	v_and_or_b32 v6, 0x7ff00000, v6, v7
	s_delay_alu instid0(VALU_DEP_1) | instskip(NEXT) | instid1(VALU_DEP_1)
	v_cmp_ne_u32_e64 s0, 0, v6
	s_and_b32 s0, vcc_lo, s0
	s_delay_alu instid0(SALU_CYCLE_1) | instskip(NEXT) | instid1(SALU_CYCLE_1)
	s_and_b32 s0, s0, exec_lo
	s_or_b32 s18, s18, s0
.LBB118_199:
	s_mov_b32 s0, 0
.LBB118_200:
	s_delay_alu instid0(SALU_CYCLE_1)
	s_and_not1_b32 vcc_lo, exec_lo, s0
	s_cbranch_vccnz .LBB118_202
; %bb.201:
	global_load_u8 v5, v[2:3], off
	s_and_not1_b32 s0, s18, exec_lo
	s_waitcnt vmcnt(0)
	v_lshlrev_b32_e32 v6, 25, v5
	v_lshlrev_b32_e32 v5, 8, v5
	s_delay_alu instid0(VALU_DEP_2) | instskip(NEXT) | instid1(VALU_DEP_2)
	v_lshrrev_b32_e32 v7, 4, v6
	v_and_or_b32 v5, 0x7f00, v5, 0.5
	s_delay_alu instid0(VALU_DEP_2) | instskip(NEXT) | instid1(VALU_DEP_2)
	v_or_b32_e32 v7, 0x70000000, v7
	v_add_f32_e32 v5, -0.5, v5
	s_delay_alu instid0(VALU_DEP_2) | instskip(SKIP_1) | instid1(VALU_DEP_2)
	v_mul_f32_e32 v7, 0x7800000, v7
	v_cmp_gt_u32_e32 vcc_lo, 0x8000000, v6
	v_cndmask_b32_e32 v5, v7, v5, vcc_lo
	s_delay_alu instid0(VALU_DEP_1) | instskip(SKIP_1) | instid1(SALU_CYCLE_1)
	v_cmp_neq_f32_e32 vcc_lo, 0, v5
	s_and_b32 s18, vcc_lo, exec_lo
	s_or_b32 s18, s0, s18
.LBB118_202:
	s_mov_b32 s20, 0
	s_mov_b32 s0, -1
.LBB118_203:
	s_and_not1_b32 vcc_lo, exec_lo, s20
	s_cbranch_vccnz .LBB118_216
; %bb.204:
	v_cmp_lt_i16_e32 vcc_lo, 14, v4
	s_cbranch_vccz .LBB118_207
; %bb.205:
	v_cmp_eq_u16_e32 vcc_lo, 15, v4
	s_cbranch_vccz .LBB118_210
; %bb.206:
	global_load_u16 v5, v[2:3], off
	s_mov_b32 s1, 0
	s_mov_b32 s0, -1
	s_waitcnt vmcnt(0)
	v_and_b32_e32 v5, 0x7fff, v5
	s_delay_alu instid0(VALU_DEP_1)
	v_cmp_ne_u16_e32 vcc_lo, 0, v5
	s_and_b32 s18, vcc_lo, exec_lo
	s_branch .LBB118_211
.LBB118_207:
	s_mov_b32 s20, -1
                                        ; implicit-def: $sgpr18
	s_branch .LBB118_212
.LBB118_208:
	s_and_not1_saveexec_b32 s20, s20
	s_cbranch_execz .LBB118_189
.LBB118_209:
	v_cmp_ne_u16_e32 vcc_lo, 0, v5
	s_and_not1_b32 s0, s0, exec_lo
	s_and_not1_b32 s18, s18, exec_lo
	s_and_b32 s24, vcc_lo, exec_lo
	s_delay_alu instid0(SALU_CYCLE_1)
	s_or_b32 s0, s0, s24
	s_or_b32 exec_lo, exec_lo, s20
	s_and_saveexec_b32 s20, s0
	s_cbranch_execnz .LBB118_190
	s_branch .LBB118_191
.LBB118_210:
	s_mov_b32 s1, -1
                                        ; implicit-def: $sgpr18
.LBB118_211:
	s_mov_b32 s20, 0
.LBB118_212:
	s_delay_alu instid0(SALU_CYCLE_1)
	s_and_b32 vcc_lo, exec_lo, s20
	s_cbranch_vccz .LBB118_216
; %bb.213:
	v_cmp_eq_u16_e32 vcc_lo, 11, v4
	s_cbranch_vccz .LBB118_215
; %bb.214:
	global_load_u8 v5, v[2:3], off
	s_mov_b32 s1, 0
	s_mov_b32 s0, -1
	s_waitcnt vmcnt(0)
	v_cmp_ne_u16_e32 vcc_lo, 0, v5
	s_and_b32 s18, vcc_lo, exec_lo
	s_branch .LBB118_216
.LBB118_215:
	s_mov_b32 s1, -1
                                        ; implicit-def: $sgpr18
.LBB118_216:
	s_branch .LBB118_20
.LBB118_217:
	v_cmp_gt_i16_e32 vcc_lo, 5, v4
	s_cbranch_vccnz .LBB118_222
; %bb.218:
	v_cmp_gt_i16_e32 vcc_lo, 8, v4
	s_cbranch_vccnz .LBB118_223
; %bb.219:
	;; [unrolled: 3-line block ×3, first 2 shown]
	v_cmp_lt_i16_e32 vcc_lo, 9, v4
	s_cbranch_vccz .LBB118_225
; %bb.221:
	global_load_b128 v[5:8], v[2:3], off
	s_waitcnt vmcnt(0)
	v_cmp_neq_f64_e32 vcc_lo, 0, v[5:6]
	v_cmp_neq_f64_e64 s0, 0, v[7:8]
	s_delay_alu instid0(VALU_DEP_1)
	s_or_b32 s18, vcc_lo, s0
	s_mov_b32 s0, 0
	s_and_b32 s18, s18, exec_lo
	s_branch .LBB118_226
.LBB118_222:
	s_mov_b32 s0, -1
                                        ; implicit-def: $sgpr18
	s_branch .LBB118_244
.LBB118_223:
	s_mov_b32 s0, -1
                                        ; implicit-def: $sgpr18
	s_branch .LBB118_232
.LBB118_224:
	s_mov_b32 s0, -1
                                        ; implicit-def: $sgpr18
	s_branch .LBB118_229
.LBB118_225:
	s_mov_b32 s0, -1
                                        ; implicit-def: $sgpr18
.LBB118_226:
	s_delay_alu instid0(SALU_CYCLE_1)
	s_and_not1_b32 vcc_lo, exec_lo, s0
	s_cbranch_vccnz .LBB118_228
; %bb.227:
	global_load_b64 v[5:6], v[2:3], off
	s_and_not1_b32 s0, s18, exec_lo
	s_waitcnt vmcnt(0)
	v_or_b32_e32 v5, v5, v6
	s_delay_alu instid0(VALU_DEP_1) | instskip(NEXT) | instid1(VALU_DEP_1)
	v_and_b32_e32 v5, 0x7fffffff, v5
	v_cmp_ne_u32_e32 vcc_lo, 0, v5
	s_and_b32 s18, vcc_lo, exec_lo
	s_delay_alu instid0(SALU_CYCLE_1)
	s_or_b32 s18, s0, s18
.LBB118_228:
	s_mov_b32 s0, 0
.LBB118_229:
	s_delay_alu instid0(SALU_CYCLE_1)
	s_and_not1_b32 vcc_lo, exec_lo, s0
	s_cbranch_vccnz .LBB118_231
; %bb.230:
	global_load_b32 v5, v[2:3], off
	s_and_not1_b32 s0, s18, exec_lo
	s_waitcnt vmcnt(0)
	v_and_b32_e32 v5, 0x7fff7fff, v5
	s_delay_alu instid0(VALU_DEP_1) | instskip(SKIP_1) | instid1(SALU_CYCLE_1)
	v_cmp_ne_u32_e32 vcc_lo, 0, v5
	s_and_b32 s18, vcc_lo, exec_lo
	s_or_b32 s18, s0, s18
.LBB118_231:
	s_mov_b32 s0, 0
.LBB118_232:
	s_delay_alu instid0(SALU_CYCLE_1)
	s_and_not1_b32 vcc_lo, exec_lo, s0
	s_cbranch_vccnz .LBB118_243
; %bb.233:
	v_cmp_gt_i16_e32 vcc_lo, 6, v4
	s_cbranch_vccnz .LBB118_236
; %bb.234:
	v_cmp_lt_i16_e32 vcc_lo, 6, v4
	s_cbranch_vccz .LBB118_237
; %bb.235:
	global_load_b64 v[5:6], v[2:3], off
	s_mov_b32 s0, 0
	s_waitcnt vmcnt(0)
	v_cmp_neq_f64_e32 vcc_lo, 0, v[5:6]
	s_and_b32 s18, vcc_lo, exec_lo
	s_branch .LBB118_238
.LBB118_236:
	s_mov_b32 s0, -1
                                        ; implicit-def: $sgpr18
	s_branch .LBB118_241
.LBB118_237:
	s_mov_b32 s0, -1
                                        ; implicit-def: $sgpr18
.LBB118_238:
	s_delay_alu instid0(SALU_CYCLE_1)
	s_and_not1_b32 vcc_lo, exec_lo, s0
	s_cbranch_vccnz .LBB118_240
; %bb.239:
	global_load_b32 v5, v[2:3], off
	s_and_not1_b32 s0, s18, exec_lo
	s_waitcnt vmcnt(0)
	v_cmp_neq_f32_e32 vcc_lo, 0, v5
	s_and_b32 s18, vcc_lo, exec_lo
	s_delay_alu instid0(SALU_CYCLE_1)
	s_or_b32 s18, s0, s18
.LBB118_240:
	s_mov_b32 s0, 0
.LBB118_241:
	s_delay_alu instid0(SALU_CYCLE_1)
	s_and_not1_b32 vcc_lo, exec_lo, s0
	s_cbranch_vccnz .LBB118_243
; %bb.242:
	global_load_u16 v5, v[2:3], off
	s_and_not1_b32 s0, s18, exec_lo
	s_waitcnt vmcnt(0)
	v_and_b32_e32 v5, 0x7fff, v5
	s_delay_alu instid0(VALU_DEP_1) | instskip(SKIP_1) | instid1(SALU_CYCLE_1)
	v_cmp_ne_u16_e32 vcc_lo, 0, v5
	s_and_b32 s18, vcc_lo, exec_lo
	s_or_b32 s18, s0, s18
.LBB118_243:
	s_mov_b32 s0, 0
.LBB118_244:
	s_delay_alu instid0(SALU_CYCLE_1)
	s_and_not1_b32 vcc_lo, exec_lo, s0
	s_cbranch_vccnz .LBB118_264
; %bb.245:
	v_cmp_gt_i16_e32 vcc_lo, 2, v4
	s_cbranch_vccnz .LBB118_249
; %bb.246:
	v_cmp_gt_i16_e32 vcc_lo, 3, v4
	s_cbranch_vccnz .LBB118_250
; %bb.247:
	v_cmp_lt_i16_e32 vcc_lo, 3, v4
	s_cbranch_vccz .LBB118_251
; %bb.248:
	global_load_b64 v[5:6], v[2:3], off
	s_mov_b32 s0, 0
	s_waitcnt vmcnt(0)
	v_cmp_ne_u64_e32 vcc_lo, 0, v[5:6]
	s_and_b32 s18, vcc_lo, exec_lo
	s_branch .LBB118_252
.LBB118_249:
	s_mov_b32 s0, -1
                                        ; implicit-def: $sgpr18
	s_branch .LBB118_258
.LBB118_250:
	s_mov_b32 s0, -1
                                        ; implicit-def: $sgpr18
	s_branch .LBB118_255
.LBB118_251:
	s_mov_b32 s0, -1
                                        ; implicit-def: $sgpr18
.LBB118_252:
	s_delay_alu instid0(SALU_CYCLE_1)
	s_and_not1_b32 vcc_lo, exec_lo, s0
	s_cbranch_vccnz .LBB118_254
; %bb.253:
	global_load_b32 v5, v[2:3], off
	s_and_not1_b32 s0, s18, exec_lo
	s_waitcnt vmcnt(0)
	v_cmp_ne_u32_e32 vcc_lo, 0, v5
	s_and_b32 s18, vcc_lo, exec_lo
	s_delay_alu instid0(SALU_CYCLE_1)
	s_or_b32 s18, s0, s18
.LBB118_254:
	s_mov_b32 s0, 0
.LBB118_255:
	s_delay_alu instid0(SALU_CYCLE_1)
	s_and_not1_b32 vcc_lo, exec_lo, s0
	s_cbranch_vccnz .LBB118_257
; %bb.256:
	global_load_u16 v5, v[2:3], off
	s_and_not1_b32 s0, s18, exec_lo
	s_waitcnt vmcnt(0)
	v_cmp_ne_u16_e32 vcc_lo, 0, v5
	s_and_b32 s18, vcc_lo, exec_lo
	s_delay_alu instid0(SALU_CYCLE_1)
	s_or_b32 s18, s0, s18
.LBB118_257:
	s_mov_b32 s0, 0
.LBB118_258:
	s_delay_alu instid0(SALU_CYCLE_1)
	s_and_not1_b32 vcc_lo, exec_lo, s0
	s_cbranch_vccnz .LBB118_264
; %bb.259:
	v_cmp_lt_i16_e32 vcc_lo, 0, v4
	s_mov_b32 s0, 0
	s_cbranch_vccz .LBB118_261
; %bb.260:
	global_load_u8 v4, v[2:3], off
	s_waitcnt vmcnt(0)
	v_cmp_ne_u16_e32 vcc_lo, 0, v4
	s_and_b32 s18, vcc_lo, exec_lo
	s_branch .LBB118_262
.LBB118_261:
	s_mov_b32 s0, -1
                                        ; implicit-def: $sgpr18
.LBB118_262:
	s_delay_alu instid0(SALU_CYCLE_1)
	s_and_not1_b32 vcc_lo, exec_lo, s0
	s_cbranch_vccnz .LBB118_264
; %bb.263:
	global_load_u8 v2, v[2:3], off
	s_and_not1_b32 s0, s18, exec_lo
	s_waitcnt vmcnt(0)
	v_cmp_ne_u16_e32 vcc_lo, 0, v2
	s_and_b32 s18, vcc_lo, exec_lo
	s_delay_alu instid0(SALU_CYCLE_1)
	s_or_b32 s18, s0, s18
.LBB118_264:
	s_branch .LBB118_21
.LBB118_265:
	s_mov_b32 s0, 0
	s_branch .LBB118_377
.LBB118_266:
	s_mov_b32 s18, -1
	s_mov_b32 s0, 0
	s_mov_b32 s1, 0
.LBB118_267:
	s_and_b32 vcc_lo, exec_lo, s18
	s_cbranch_vccz .LBB118_272
; %bb.268:
	v_cmp_eq_u16_e32 vcc_lo, 44, v6
	s_mov_b32 s0, -1
	s_cbranch_vccz .LBB118_272
; %bb.269:
	v_cvt_f32_f64_e32 v2, v[0:1]
	v_mov_b32_e32 v3, 0xff
	s_mov_b32 s1, exec_lo
	s_delay_alu instid0(VALU_DEP_2) | instskip(NEXT) | instid1(VALU_DEP_1)
	v_bfe_u32 v7, v2, 23, 8
	v_cmpx_ne_u32_e32 0xff, v7
; %bb.270:
	v_and_b32_e32 v3, 0x400000, v2
	v_and_or_b32 v7, 0x3fffff, v2, v7
	v_lshrrev_b32_e32 v2, 23, v2
	s_delay_alu instid0(VALU_DEP_3) | instskip(NEXT) | instid1(VALU_DEP_3)
	v_cmp_ne_u32_e32 vcc_lo, 0, v3
	v_cmp_ne_u32_e64 s0, 0, v7
	s_delay_alu instid0(VALU_DEP_1) | instskip(NEXT) | instid1(SALU_CYCLE_1)
	s_and_b32 s0, vcc_lo, s0
	v_cndmask_b32_e64 v3, 0, 1, s0
	s_delay_alu instid0(VALU_DEP_1)
	v_add_nc_u32_e32 v3, v2, v3
; %bb.271:
	s_or_b32 exec_lo, exec_lo, s1
	s_mov_b32 s1, -1
	s_mov_b32 s0, 0
	global_store_b8 v[4:5], v3, off
.LBB118_272:
	s_mov_b32 s18, 0
.LBB118_273:
	s_delay_alu instid0(SALU_CYCLE_1)
	s_and_b32 vcc_lo, exec_lo, s18
	s_cbranch_vccz .LBB118_276
; %bb.274:
	v_cmp_eq_u16_e32 vcc_lo, 29, v6
	s_mov_b32 s0, -1
	s_cbranch_vccz .LBB118_276
; %bb.275:
	v_trunc_f64_e32 v[2:3], v[0:1]
	s_mov_b32 s1, -1
	s_mov_b32 s0, 0
	s_mov_b32 s18, 0
	s_delay_alu instid0(VALU_DEP_1) | instskip(NEXT) | instid1(VALU_DEP_1)
	v_ldexp_f64 v[7:8], v[2:3], 0xffffffe0
	v_floor_f64_e32 v[7:8], v[7:8]
	s_delay_alu instid0(VALU_DEP_1) | instskip(SKIP_1) | instid1(VALU_DEP_2)
	v_fma_f64 v[2:3], 0xc1f00000, v[7:8], v[2:3]
	v_cvt_u32_f64_e32 v8, v[7:8]
	v_cvt_u32_f64_e32 v7, v[2:3]
	global_store_b64 v[4:5], v[7:8], off
	s_branch .LBB118_277
.LBB118_276:
	s_mov_b32 s18, 0
.LBB118_277:
	s_delay_alu instid0(SALU_CYCLE_1)
	s_and_b32 vcc_lo, exec_lo, s18
	s_cbranch_vccz .LBB118_293
; %bb.278:
	v_cmp_gt_i16_e32 vcc_lo, 27, v6
	s_mov_b32 s1, -1
	s_cbranch_vccnz .LBB118_284
; %bb.279:
	v_cmp_lt_i16_e32 vcc_lo, 27, v6
	s_cbranch_vccz .LBB118_281
; %bb.280:
	v_cvt_u32_f64_e32 v2, v[0:1]
	s_mov_b32 s1, 0
	global_store_b32 v[4:5], v2, off
.LBB118_281:
	s_and_not1_b32 vcc_lo, exec_lo, s1
	s_cbranch_vccnz .LBB118_283
; %bb.282:
	v_cvt_u32_f64_e32 v2, v[0:1]
	global_store_b16 v[4:5], v2, off
.LBB118_283:
	s_mov_b32 s1, 0
.LBB118_284:
	s_delay_alu instid0(SALU_CYCLE_1)
	s_and_not1_b32 vcc_lo, exec_lo, s1
	s_cbranch_vccnz .LBB118_292
; %bb.285:
	s_delay_alu instid0(VALU_DEP_4) | instskip(SKIP_2) | instid1(VALU_DEP_2)
	v_cvt_f32_f64_e32 v2, v[0:1]
	v_mov_b32_e32 v7, 0x80
	s_mov_b32 s1, exec_lo
	v_and_b32_e32 v3, 0x7fffffff, v2
	s_delay_alu instid0(VALU_DEP_1)
	v_cmpx_gt_u32_e32 0x43800000, v3
	s_cbranch_execz .LBB118_291
; %bb.286:
	v_cmp_lt_u32_e32 vcc_lo, 0x3bffffff, v3
	s_mov_b32 s18, 0
                                        ; implicit-def: $vgpr3
	s_and_saveexec_b32 s20, vcc_lo
	s_delay_alu instid0(SALU_CYCLE_1)
	s_xor_b32 s20, exec_lo, s20
	s_cbranch_execz .LBB118_405
; %bb.287:
	v_bfe_u32 v3, v2, 20, 1
	s_mov_b32 s18, exec_lo
	s_delay_alu instid0(VALU_DEP_1) | instskip(NEXT) | instid1(VALU_DEP_1)
	v_add3_u32 v3, v2, v3, 0x487ffff
	v_lshrrev_b32_e32 v3, 20, v3
	s_or_saveexec_b32 s20, s20
                                        ; implicit-def: $sgpr24
	s_delay_alu instid0(SALU_CYCLE_1)
	s_xor_b32 exec_lo, exec_lo, s20
	s_cbranch_execnz .LBB118_406
.LBB118_288:
	s_or_b32 exec_lo, exec_lo, s20
	v_mov_b32_e32 v7, s24
	s_and_saveexec_b32 s20, s18
.LBB118_289:
	v_lshrrev_b32_e32 v2, 24, v2
	s_delay_alu instid0(VALU_DEP_1)
	v_and_or_b32 v7, 0x80, v2, v3
.LBB118_290:
	s_or_b32 exec_lo, exec_lo, s20
.LBB118_291:
	s_delay_alu instid0(SALU_CYCLE_1)
	s_or_b32 exec_lo, exec_lo, s1
	global_store_b8 v[4:5], v7, off
.LBB118_292:
	s_mov_b32 s1, -1
.LBB118_293:
	s_mov_b32 s18, 0
.LBB118_294:
	s_delay_alu instid0(SALU_CYCLE_1)
	s_and_b32 vcc_lo, exec_lo, s18
	s_cbranch_vccz .LBB118_335
; %bb.295:
	v_cmp_lt_i16_e32 vcc_lo, 22, v6
	s_mov_b32 s18, -1
	s_cbranch_vccz .LBB118_327
; %bb.296:
	v_cmp_gt_i16_e32 vcc_lo, 24, v6
	s_mov_b32 s1, -1
	s_cbranch_vccnz .LBB118_316
; %bb.297:
	v_cmp_lt_i16_e32 vcc_lo, 24, v6
	s_cbranch_vccz .LBB118_305
; %bb.298:
	v_cvt_f32_f64_e32 v2, v[0:1]
	v_mov_b32_e32 v7, 0x80
	s_mov_b32 s1, exec_lo
	s_delay_alu instid0(VALU_DEP_2) | instskip(NEXT) | instid1(VALU_DEP_1)
	v_and_b32_e32 v3, 0x7fffffff, v2
	v_cmpx_gt_u32_e32 0x47800000, v3
	s_cbranch_execz .LBB118_304
; %bb.299:
	v_cmp_lt_u32_e32 vcc_lo, 0x37ffffff, v3
	s_mov_b32 s18, 0
                                        ; implicit-def: $vgpr3
	s_and_saveexec_b32 s20, vcc_lo
	s_delay_alu instid0(SALU_CYCLE_1)
	s_xor_b32 s20, exec_lo, s20
	s_cbranch_execz .LBB118_524
; %bb.300:
	v_bfe_u32 v3, v2, 21, 1
	s_mov_b32 s18, exec_lo
	s_delay_alu instid0(VALU_DEP_1) | instskip(NEXT) | instid1(VALU_DEP_1)
	v_add3_u32 v3, v2, v3, 0x88fffff
	v_lshrrev_b32_e32 v3, 21, v3
	s_or_saveexec_b32 s20, s20
                                        ; implicit-def: $sgpr24
	s_delay_alu instid0(SALU_CYCLE_1)
	s_xor_b32 exec_lo, exec_lo, s20
	s_cbranch_execnz .LBB118_525
.LBB118_301:
	s_or_b32 exec_lo, exec_lo, s20
	v_mov_b32_e32 v7, s24
	s_and_saveexec_b32 s20, s18
.LBB118_302:
	v_lshrrev_b32_e32 v2, 24, v2
	s_delay_alu instid0(VALU_DEP_1)
	v_and_or_b32 v7, 0x80, v2, v3
.LBB118_303:
	s_or_b32 exec_lo, exec_lo, s20
.LBB118_304:
	s_delay_alu instid0(SALU_CYCLE_1)
	s_or_b32 exec_lo, exec_lo, s1
	s_mov_b32 s1, 0
	global_store_b8 v[4:5], v7, off
.LBB118_305:
	s_and_b32 vcc_lo, exec_lo, s1
	s_cbranch_vccz .LBB118_315
; %bb.306:
	v_cvt_f32_f64_e32 v2, v[0:1]
	s_mov_b32 s1, exec_lo
                                        ; implicit-def: $vgpr3
	s_delay_alu instid0(VALU_DEP_1) | instskip(NEXT) | instid1(VALU_DEP_1)
	v_and_b32_e32 v7, 0x7fffffff, v2
	v_cmpx_gt_u32_e32 0x43f00000, v7
	s_xor_b32 s1, exec_lo, s1
	s_cbranch_execz .LBB118_312
; %bb.307:
	s_mov_b32 s18, exec_lo
                                        ; implicit-def: $vgpr3
	v_cmpx_lt_u32_e32 0x3c7fffff, v7
	s_xor_b32 s18, exec_lo, s18
; %bb.308:
	v_bfe_u32 v3, v2, 20, 1
	s_delay_alu instid0(VALU_DEP_1) | instskip(NEXT) | instid1(VALU_DEP_1)
	v_add3_u32 v3, v2, v3, 0x407ffff
	v_and_b32_e32 v7, 0xff00000, v3
	v_lshrrev_b32_e32 v3, 20, v3
	s_delay_alu instid0(VALU_DEP_2) | instskip(NEXT) | instid1(VALU_DEP_2)
	v_cmp_ne_u32_e32 vcc_lo, 0x7f00000, v7
	v_cndmask_b32_e32 v3, 0x7e, v3, vcc_lo
; %bb.309:
	s_and_not1_saveexec_b32 s18, s18
; %bb.310:
	v_add_f32_e64 v3, 0x46800000, |v2|
; %bb.311:
	s_or_b32 exec_lo, exec_lo, s18
                                        ; implicit-def: $vgpr7
.LBB118_312:
	s_and_not1_saveexec_b32 s1, s1
; %bb.313:
	v_mov_b32_e32 v3, 0x7f
	v_cmp_lt_u32_e32 vcc_lo, 0x7f800000, v7
	s_delay_alu instid0(VALU_DEP_2)
	v_cndmask_b32_e32 v3, 0x7e, v3, vcc_lo
; %bb.314:
	s_or_b32 exec_lo, exec_lo, s1
	v_lshrrev_b32_e32 v2, 24, v2
	s_delay_alu instid0(VALU_DEP_1)
	v_and_or_b32 v2, 0x80, v2, v3
	global_store_b8 v[4:5], v2, off
.LBB118_315:
	s_mov_b32 s1, 0
.LBB118_316:
	s_delay_alu instid0(SALU_CYCLE_1)
	s_and_not1_b32 vcc_lo, exec_lo, s1
	s_cbranch_vccnz .LBB118_326
; %bb.317:
	s_delay_alu instid0(VALU_DEP_4) | instskip(SKIP_1) | instid1(VALU_DEP_1)
	v_cvt_f32_f64_e32 v2, v[0:1]
	s_mov_b32 s1, exec_lo
                                        ; implicit-def: $vgpr3
	v_and_b32_e32 v7, 0x7fffffff, v2
	s_delay_alu instid0(VALU_DEP_1)
	v_cmpx_gt_u32_e32 0x47800000, v7
	s_xor_b32 s1, exec_lo, s1
	s_cbranch_execz .LBB118_323
; %bb.318:
	s_mov_b32 s18, exec_lo
                                        ; implicit-def: $vgpr3
	v_cmpx_lt_u32_e32 0x387fffff, v7
	s_xor_b32 s18, exec_lo, s18
; %bb.319:
	v_bfe_u32 v3, v2, 21, 1
	s_delay_alu instid0(VALU_DEP_1) | instskip(NEXT) | instid1(VALU_DEP_1)
	v_add3_u32 v3, v2, v3, 0x80fffff
	v_lshrrev_b32_e32 v3, 21, v3
; %bb.320:
	s_and_not1_saveexec_b32 s18, s18
; %bb.321:
	v_add_f32_e64 v3, 0x43000000, |v2|
; %bb.322:
	s_or_b32 exec_lo, exec_lo, s18
                                        ; implicit-def: $vgpr7
.LBB118_323:
	s_and_not1_saveexec_b32 s1, s1
; %bb.324:
	v_mov_b32_e32 v3, 0x7f
	v_cmp_lt_u32_e32 vcc_lo, 0x7f800000, v7
	s_delay_alu instid0(VALU_DEP_2)
	v_cndmask_b32_e32 v3, 0x7c, v3, vcc_lo
; %bb.325:
	s_or_b32 exec_lo, exec_lo, s1
	v_lshrrev_b32_e32 v2, 24, v2
	s_delay_alu instid0(VALU_DEP_1)
	v_and_or_b32 v2, 0x80, v2, v3
	global_store_b8 v[4:5], v2, off
.LBB118_326:
	s_mov_b32 s18, 0
	s_mov_b32 s1, -1
.LBB118_327:
	s_and_not1_b32 vcc_lo, exec_lo, s18
	s_cbranch_vccnz .LBB118_335
; %bb.328:
	v_cmp_lt_i16_e32 vcc_lo, 14, v6
	s_mov_b32 s18, -1
	s_cbranch_vccz .LBB118_332
; %bb.329:
	v_cmp_eq_u16_e32 vcc_lo, 15, v6
	s_mov_b32 s0, -1
	s_cbranch_vccz .LBB118_331
; %bb.330:
	v_cvt_f32_f64_e32 v2, v[0:1]
	s_mov_b32 s1, -1
	s_mov_b32 s0, 0
	s_delay_alu instid0(VALU_DEP_1) | instskip(SKIP_1) | instid1(VALU_DEP_2)
	v_bfe_u32 v3, v2, 16, 1
	v_cmp_o_f32_e32 vcc_lo, v2, v2
	v_add3_u32 v3, v2, v3, 0x7fff
	s_delay_alu instid0(VALU_DEP_1) | instskip(NEXT) | instid1(VALU_DEP_1)
	v_lshrrev_b32_e32 v3, 16, v3
	v_cndmask_b32_e32 v2, 0x7fc0, v3, vcc_lo
	global_store_b16 v[4:5], v2, off
.LBB118_331:
	s_mov_b32 s18, 0
.LBB118_332:
	s_delay_alu instid0(SALU_CYCLE_1)
	s_and_b32 vcc_lo, exec_lo, s18
	s_cbranch_vccz .LBB118_335
; %bb.333:
	v_cmp_eq_u16_e32 vcc_lo, 11, v6
	s_mov_b32 s0, -1
	s_cbranch_vccz .LBB118_335
; %bb.334:
	v_cmp_neq_f64_e32 vcc_lo, 0, v[0:1]
	s_mov_b32 s1, -1
	s_mov_b32 s0, 0
	v_cndmask_b32_e64 v2, 0, 1, vcc_lo
	global_store_b8 v[4:5], v2, off
.LBB118_335:
	s_mov_b32 s18, 0
.LBB118_336:
	s_delay_alu instid0(SALU_CYCLE_1)
	s_and_b32 vcc_lo, exec_lo, s18
	s_cbranch_vccz .LBB118_375
; %bb.337:
	v_cmp_gt_i16_e32 vcc_lo, 5, v6
	s_mov_b32 s1, -1
	s_cbranch_vccnz .LBB118_358
; %bb.338:
	v_cmp_gt_i16_e32 vcc_lo, 8, v6
	s_cbranch_vccnz .LBB118_348
; %bb.339:
	v_cmp_gt_i16_e32 vcc_lo, 9, v6
	s_cbranch_vccnz .LBB118_345
; %bb.340:
	v_cmp_lt_i16_e32 vcc_lo, 9, v6
	s_cbranch_vccz .LBB118_342
; %bb.341:
	v_mov_b32_e32 v2, 0
	s_mov_b32 s1, 0
	s_delay_alu instid0(VALU_DEP_1)
	v_mov_b32_e32 v3, v2
	global_store_b128 v[4:5], v[0:3], off
.LBB118_342:
	s_and_not1_b32 vcc_lo, exec_lo, s1
	s_cbranch_vccnz .LBB118_344
; %bb.343:
	v_cvt_f32_f64_e32 v2, v[0:1]
	v_mov_b32_e32 v3, 0
	global_store_b64 v[4:5], v[2:3], off
.LBB118_344:
	s_mov_b32 s1, 0
.LBB118_345:
	s_delay_alu instid0(SALU_CYCLE_1)
	s_and_not1_b32 vcc_lo, exec_lo, s1
	s_cbranch_vccnz .LBB118_347
; %bb.346:
	s_delay_alu instid0(VALU_DEP_4) | instskip(NEXT) | instid1(VALU_DEP_1)
	v_cvt_f32_f64_e32 v2, v[0:1]
	v_cvt_f16_f32_e32 v2, v2
	s_delay_alu instid0(VALU_DEP_1)
	v_and_b32_e32 v2, 0xffff, v2
	global_store_b32 v[4:5], v2, off
.LBB118_347:
	s_mov_b32 s1, 0
.LBB118_348:
	s_delay_alu instid0(SALU_CYCLE_1)
	s_and_not1_b32 vcc_lo, exec_lo, s1
	s_cbranch_vccnz .LBB118_357
; %bb.349:
	v_cmp_gt_i16_e32 vcc_lo, 6, v6
	s_mov_b32 s1, -1
	s_cbranch_vccnz .LBB118_355
; %bb.350:
	v_cmp_lt_i16_e32 vcc_lo, 6, v6
	s_cbranch_vccz .LBB118_352
; %bb.351:
	s_mov_b32 s1, 0
	global_store_b64 v[4:5], v[0:1], off
.LBB118_352:
	s_and_not1_b32 vcc_lo, exec_lo, s1
	s_cbranch_vccnz .LBB118_354
; %bb.353:
	v_cvt_f32_f64_e32 v2, v[0:1]
	global_store_b32 v[4:5], v2, off
.LBB118_354:
	s_mov_b32 s1, 0
.LBB118_355:
	s_delay_alu instid0(SALU_CYCLE_1)
	s_and_not1_b32 vcc_lo, exec_lo, s1
	s_cbranch_vccnz .LBB118_357
; %bb.356:
	s_delay_alu instid0(VALU_DEP_4) | instskip(NEXT) | instid1(VALU_DEP_1)
	v_cvt_f32_f64_e32 v2, v[0:1]
	v_cvt_f16_f32_e32 v2, v2
	global_store_b16 v[4:5], v2, off
.LBB118_357:
	s_mov_b32 s1, 0
.LBB118_358:
	s_delay_alu instid0(SALU_CYCLE_1)
	s_and_not1_b32 vcc_lo, exec_lo, s1
	s_cbranch_vccnz .LBB118_374
; %bb.359:
	v_cmp_gt_i16_e32 vcc_lo, 2, v6
	s_mov_b32 s1, -1
	s_cbranch_vccnz .LBB118_369
; %bb.360:
	v_cmp_gt_i16_e32 vcc_lo, 3, v6
	s_cbranch_vccnz .LBB118_366
; %bb.361:
	v_cmp_lt_i16_e32 vcc_lo, 3, v6
	s_cbranch_vccz .LBB118_363
; %bb.362:
	v_trunc_f64_e32 v[2:3], v[0:1]
	s_mov_b32 s1, 0
	s_delay_alu instid0(VALU_DEP_1) | instskip(NEXT) | instid1(VALU_DEP_1)
	v_ldexp_f64 v[7:8], v[2:3], 0xffffffe0
	v_floor_f64_e32 v[7:8], v[7:8]
	s_delay_alu instid0(VALU_DEP_1) | instskip(SKIP_1) | instid1(VALU_DEP_2)
	v_fma_f64 v[2:3], 0xc1f00000, v[7:8], v[2:3]
	v_cvt_i32_f64_e32 v8, v[7:8]
	v_cvt_u32_f64_e32 v7, v[2:3]
	global_store_b64 v[4:5], v[7:8], off
.LBB118_363:
	s_and_not1_b32 vcc_lo, exec_lo, s1
	s_cbranch_vccnz .LBB118_365
; %bb.364:
	v_cvt_i32_f64_e32 v2, v[0:1]
	global_store_b32 v[4:5], v2, off
.LBB118_365:
	s_mov_b32 s1, 0
.LBB118_366:
	s_delay_alu instid0(SALU_CYCLE_1)
	s_and_not1_b32 vcc_lo, exec_lo, s1
	s_cbranch_vccnz .LBB118_368
; %bb.367:
	s_delay_alu instid0(VALU_DEP_4)
	v_cvt_i32_f64_e32 v2, v[0:1]
	global_store_b16 v[4:5], v2, off
.LBB118_368:
	s_mov_b32 s1, 0
.LBB118_369:
	s_delay_alu instid0(SALU_CYCLE_1)
	s_and_not1_b32 vcc_lo, exec_lo, s1
	s_cbranch_vccnz .LBB118_374
; %bb.370:
	v_cmp_lt_i16_e32 vcc_lo, 0, v6
	s_mov_b32 s1, -1
	s_cbranch_vccz .LBB118_372
; %bb.371:
	s_delay_alu instid0(VALU_DEP_4)
	v_cvt_i32_f64_e32 v2, v[0:1]
	s_mov_b32 s1, 0
	global_store_b8 v[4:5], v2, off
.LBB118_372:
	s_and_not1_b32 vcc_lo, exec_lo, s1
	s_cbranch_vccnz .LBB118_374
; %bb.373:
	s_delay_alu instid0(VALU_DEP_4) | instskip(NEXT) | instid1(VALU_DEP_1)
	v_trunc_f64_e32 v[0:1], v[0:1]
	v_ldexp_f64 v[2:3], v[0:1], 0xffffffe0
	s_delay_alu instid0(VALU_DEP_1) | instskip(NEXT) | instid1(VALU_DEP_1)
	v_floor_f64_e32 v[2:3], v[2:3]
	v_fma_f64 v[0:1], 0xc1f00000, v[2:3], v[0:1]
	s_delay_alu instid0(VALU_DEP_1)
	v_cvt_u32_f64_e32 v0, v[0:1]
	global_store_b8 v[4:5], v0, off
.LBB118_374:
	s_mov_b32 s1, -1
.LBB118_375:
	s_delay_alu instid0(SALU_CYCLE_1)
	s_and_not1_b32 vcc_lo, exec_lo, s1
	s_mov_b32 s1, 0
	s_cbranch_vccnz .LBB118_377
; %bb.376:
	v_add_nc_u32_e32 v10, 0x80, v10
	s_mov_b32 s24, -1
	s_branch .LBB118_378
.LBB118_377:
	s_mov_b32 s24, 0
                                        ; implicit-def: $vgpr10
.LBB118_378:
	s_and_b32 s18, s0, exec_lo
	s_and_b32 s20, s1, exec_lo
	;; [unrolled: 1-line block ×3, first 2 shown]
	s_or_not1_b32 s1, s24, exec_lo
.LBB118_379:
	s_or_b32 exec_lo, exec_lo, s22
	s_mov_b32 s24, 0
	s_mov_b32 s0, 0
                                        ; implicit-def: $vgpr4
                                        ; implicit-def: $vgpr0_vgpr1
                                        ; implicit-def: $vgpr2_vgpr3
	s_and_saveexec_b32 s22, s1
	s_cbranch_execz .LBB118_1241
; %bb.380:
	s_mov_b32 s28, -1
	s_mov_b32 s23, s21
	s_mov_b32 s25, s20
	;; [unrolled: 1-line block ×3, first 2 shown]
	s_mov_b32 s26, exec_lo
	v_cmpx_gt_i32_e64 s19, v10
	s_cbranch_execz .LBB118_767
; %bb.381:
	s_waitcnt vmcnt(0)
	v_mul_lo_u32 v0, v10, s9
	v_and_b32_e64 v4, 0xff, s16
	s_delay_alu instid0(VALU_DEP_1) | instskip(NEXT) | instid1(VALU_DEP_3)
	v_cmp_gt_i16_e32 vcc_lo, 11, v4
	v_ashrrev_i32_e32 v1, 31, v0
	v_add_co_u32 v2, s0, s6, v0
	s_delay_alu instid0(VALU_DEP_1)
	v_add_co_ci_u32_e64 v3, s0, s7, v1, s0
	s_cbranch_vccnz .LBB118_388
; %bb.382:
	v_cmp_lt_i16_e32 vcc_lo, 25, v4
	s_cbranch_vccz .LBB118_397
; %bb.383:
	v_cmp_lt_i16_e32 vcc_lo, 28, v4
	s_cbranch_vccz .LBB118_399
; %bb.384:
	v_cmp_lt_i16_e32 vcc_lo, 43, v4
	s_cbranch_vccz .LBB118_401
; %bb.385:
	v_cmp_lt_i16_e32 vcc_lo, 45, v4
	s_cbranch_vccz .LBB118_403
; %bb.386:
	v_cmp_eq_u16_e32 vcc_lo, 46, v4
	s_mov_b32 s1, 0
	s_cbranch_vccz .LBB118_407
; %bb.387:
	global_load_b32 v0, v[2:3], off
	s_mov_b32 s0, -1
	s_mov_b32 s23, 0
	s_waitcnt vmcnt(0)
	v_lshlrev_b32_e32 v0, 16, v0
	s_delay_alu instid0(VALU_DEP_1)
	v_cvt_f64_f32_e32 v[0:1], v0
	s_branch .LBB118_409
.LBB118_388:
	s_mov_b32 s0, 0
	s_mov_b32 s23, s21
                                        ; implicit-def: $vgpr0_vgpr1
	s_cbranch_execnz .LBB118_475
.LBB118_389:
	s_and_not1_b32 vcc_lo, exec_lo, s0
	s_cbranch_vccnz .LBB118_523
.LBB118_390:
	v_mul_lo_u32 v2, v10, s10
	v_and_b32_e64 v4, 0xff, s11
	s_delay_alu instid0(VALU_DEP_1) | instskip(NEXT) | instid1(VALU_DEP_3)
	v_cmp_gt_i16_e32 vcc_lo, 11, v4
	v_ashrrev_i32_e32 v3, 31, v2
	v_add_co_u32 v2, s0, s12, v2
	s_delay_alu instid0(VALU_DEP_1)
	v_add_co_ci_u32_e64 v3, s0, s13, v3, s0
	s_cbranch_vccnz .LBB118_398
; %bb.391:
	v_cmp_lt_i16_e32 vcc_lo, 25, v4
	s_cbranch_vccz .LBB118_400
; %bb.392:
	v_cmp_lt_i16_e32 vcc_lo, 28, v4
	s_cbranch_vccz .LBB118_402
	;; [unrolled: 3-line block ×4, first 2 shown]
; %bb.395:
	v_cmp_eq_u16_e32 vcc_lo, 46, v4
	s_mov_b32 s25, 0
	s_cbranch_vccz .LBB118_526
; %bb.396:
	global_load_b32 v5, v[2:3], off
	s_mov_b32 s1, 0
	s_mov_b32 s0, -1
	s_waitcnt vmcnt(0)
	v_and_b32_e32 v5, 0x7fff7fff, v5
	s_delay_alu instid0(VALU_DEP_1)
	v_cmp_ne_u32_e32 vcc_lo, 0, v5
	s_and_b32 s24, vcc_lo, exec_lo
	s_branch .LBB118_528
.LBB118_397:
	s_mov_b32 s1, -1
	s_mov_b32 s0, 0
	s_mov_b32 s23, s21
                                        ; implicit-def: $vgpr0_vgpr1
	s_branch .LBB118_441
.LBB118_398:
	s_mov_b32 s25, -1
	s_mov_b32 s0, 0
	s_mov_b32 s1, s20
                                        ; implicit-def: $sgpr24
	s_branch .LBB118_591
.LBB118_399:
	s_mov_b32 s1, -1
	s_mov_b32 s0, 0
	s_mov_b32 s23, s21
                                        ; implicit-def: $vgpr0_vgpr1
	s_branch .LBB118_420
.LBB118_400:
	s_mov_b32 s25, -1
	s_mov_b32 s0, 0
	s_mov_b32 s1, s20
                                        ; implicit-def: $sgpr24
	s_branch .LBB118_555
.LBB118_401:
	s_mov_b32 s1, -1
	s_mov_b32 s0, 0
	s_mov_b32 s23, s21
                                        ; implicit-def: $vgpr0_vgpr1
	s_branch .LBB118_415
.LBB118_402:
	s_mov_b32 s25, -1
	s_mov_b32 s0, 0
	s_mov_b32 s1, s20
                                        ; implicit-def: $sgpr24
	s_branch .LBB118_536
.LBB118_403:
	s_mov_b32 s1, -1
	s_mov_b32 s0, 0
	s_mov_b32 s23, s21
	s_branch .LBB118_408
.LBB118_404:
	s_mov_b32 s25, -1
	s_mov_b32 s0, 0
	s_mov_b32 s1, s20
                                        ; implicit-def: $sgpr24
	s_branch .LBB118_531
.LBB118_405:
	s_or_saveexec_b32 s20, s20
                                        ; implicit-def: $sgpr24
	s_delay_alu instid0(SALU_CYCLE_1)
	s_xor_b32 exec_lo, exec_lo, s20
	s_cbranch_execz .LBB118_288
.LBB118_406:
	v_add_f32_e64 v3, 0x46000000, |v2|
	s_and_not1_b32 s18, s18, exec_lo
	s_mov_b32 s24, 0
	s_delay_alu instid0(VALU_DEP_1) | instskip(NEXT) | instid1(VALU_DEP_1)
	v_and_b32_e32 v3, 0xff, v3
	v_cmp_ne_u32_e32 vcc_lo, 0, v3
	s_and_b32 s25, vcc_lo, exec_lo
	s_delay_alu instid0(SALU_CYCLE_1)
	s_or_b32 s18, s18, s25
	s_or_b32 exec_lo, exec_lo, s20
	v_mov_b32_e32 v7, s24
	s_and_saveexec_b32 s20, s18
	s_cbranch_execnz .LBB118_289
	s_branch .LBB118_290
.LBB118_407:
	s_mov_b32 s23, -1
	s_mov_b32 s0, 0
.LBB118_408:
                                        ; implicit-def: $vgpr0_vgpr1
.LBB118_409:
	s_and_b32 vcc_lo, exec_lo, s1
	s_cbranch_vccz .LBB118_414
; %bb.410:
	v_cmp_eq_u16_e32 vcc_lo, 44, v4
	s_cbranch_vccz .LBB118_413
; %bb.411:
	global_load_u8 v5, v[2:3], off
	s_mov_b32 s23, 0
	s_mov_b32 s0, -1
	s_waitcnt vmcnt(0)
	v_lshlrev_b32_e32 v0, 23, v5
	v_cmp_ne_u32_e32 vcc_lo, 0xff, v5
	s_delay_alu instid0(VALU_DEP_2) | instskip(NEXT) | instid1(VALU_DEP_1)
	v_cvt_f64_f32_e32 v[0:1], v0
	v_cndmask_b32_e32 v0, 0x20000000, v0, vcc_lo
	s_delay_alu instid0(VALU_DEP_2) | instskip(SKIP_1) | instid1(VALU_DEP_2)
	v_cndmask_b32_e32 v1, 0x7ff80000, v1, vcc_lo
	v_cmp_ne_u32_e32 vcc_lo, 0, v5
	v_cndmask_b32_e32 v1, 0x38000000, v1, vcc_lo
	s_delay_alu instid0(VALU_DEP_4)
	v_cndmask_b32_e32 v0, 0, v0, vcc_lo
	s_branch .LBB118_414
.LBB118_412:
	s_mov_b32 s25, -1
	s_mov_b32 s0, 0
	s_mov_b32 s1, s20
	s_branch .LBB118_527
.LBB118_413:
	s_mov_b32 s23, -1
                                        ; implicit-def: $vgpr0_vgpr1
.LBB118_414:
	s_mov_b32 s1, 0
.LBB118_415:
	s_delay_alu instid0(SALU_CYCLE_1)
	s_and_b32 vcc_lo, exec_lo, s1
	s_cbranch_vccz .LBB118_419
; %bb.416:
	v_cmp_eq_u16_e32 vcc_lo, 29, v4
	s_cbranch_vccz .LBB118_418
; %bb.417:
	global_load_b64 v[0:1], v[2:3], off
	s_mov_b32 s0, -1
	s_mov_b32 s23, 0
	s_mov_b32 s1, 0
	s_waitcnt vmcnt(0)
	v_cvt_f64_u32_e32 v[5:6], v1
	v_cvt_f64_u32_e32 v[0:1], v0
	s_delay_alu instid0(VALU_DEP_2) | instskip(NEXT) | instid1(VALU_DEP_1)
	v_ldexp_f64 v[5:6], v[5:6], 32
	v_add_f64 v[0:1], v[5:6], v[0:1]
	s_branch .LBB118_420
.LBB118_418:
	s_mov_b32 s23, -1
                                        ; implicit-def: $vgpr0_vgpr1
.LBB118_419:
	s_mov_b32 s1, 0
.LBB118_420:
	s_delay_alu instid0(SALU_CYCLE_1)
	s_and_b32 vcc_lo, exec_lo, s1
	s_cbranch_vccz .LBB118_440
; %bb.421:
	v_cmp_gt_i16_e32 vcc_lo, 27, v4
	s_cbranch_vccnz .LBB118_424
; %bb.422:
	v_cmp_lt_i16_e32 vcc_lo, 27, v4
	s_cbranch_vccz .LBB118_425
; %bb.423:
	global_load_b32 v0, v[2:3], off
	s_mov_b32 s0, 0
	s_waitcnt vmcnt(0)
	v_cvt_f64_u32_e32 v[0:1], v0
	s_branch .LBB118_426
.LBB118_424:
	s_mov_b32 s0, -1
                                        ; implicit-def: $vgpr0_vgpr1
	s_branch .LBB118_429
.LBB118_425:
	s_mov_b32 s0, -1
                                        ; implicit-def: $vgpr0_vgpr1
.LBB118_426:
	s_delay_alu instid0(SALU_CYCLE_1)
	s_and_not1_b32 vcc_lo, exec_lo, s0
	s_cbranch_vccnz .LBB118_428
; %bb.427:
	global_load_u16 v0, v[2:3], off
	s_waitcnt vmcnt(0)
	v_cvt_f64_u32_e32 v[0:1], v0
.LBB118_428:
	s_mov_b32 s0, 0
.LBB118_429:
	s_delay_alu instid0(SALU_CYCLE_1)
	s_and_not1_b32 vcc_lo, exec_lo, s0
	s_cbranch_vccnz .LBB118_439
; %bb.430:
	global_load_u8 v5, v[2:3], off
	s_mov_b32 s24, 0
	s_mov_b32 s25, exec_lo
                                        ; implicit-def: $sgpr0_sgpr1
	s_waitcnt vmcnt(0)
	v_cmpx_lt_i16_e32 0x7f, v5
	s_xor_b32 s25, exec_lo, s25
	s_cbranch_execz .LBB118_434
; %bb.431:
	s_mov_b32 s27, -1
	s_mov_b32 s24, exec_lo
                                        ; implicit-def: $sgpr0_sgpr1
	v_cmpx_eq_u16_e32 0x80, v5
; %bb.432:
	s_mov_b32 s1, 0x7ff80000
	s_brev_b32 s0, 4
	s_xor_b32 s27, exec_lo, -1
; %bb.433:
	s_or_b32 exec_lo, exec_lo, s24
	s_delay_alu instid0(SALU_CYCLE_1)
	s_and_b32 s24, s27, exec_lo
.LBB118_434:
	s_or_saveexec_b32 s25, s25
	v_dual_mov_b32 v0, s0 :: v_dual_mov_b32 v1, s1
	s_xor_b32 exec_lo, exec_lo, s25
; %bb.435:
	v_cmp_ne_u16_e32 vcc_lo, 0, v5
	v_mov_b32_e32 v0, 0
	v_mov_b32_e32 v1, 0
	s_and_not1_b32 s0, s24, exec_lo
	s_and_b32 s1, vcc_lo, exec_lo
	s_delay_alu instid0(SALU_CYCLE_1)
	s_or_b32 s24, s0, s1
; %bb.436:
	s_or_b32 exec_lo, exec_lo, s25
	s_and_saveexec_b32 s0, s24
	s_cbranch_execz .LBB118_438
; %bb.437:
	v_and_b32_e32 v0, 0xffff, v5
	v_lshlrev_b32_e32 v5, 24, v5
	s_delay_alu instid0(VALU_DEP_2) | instskip(NEXT) | instid1(VALU_DEP_2)
	v_and_b32_e32 v1, 7, v0
	v_and_b32_e32 v5, 0x80000000, v5
	s_delay_alu instid0(VALU_DEP_2) | instskip(NEXT) | instid1(VALU_DEP_1)
	v_clz_i32_u32_e32 v6, v1
	v_min_u32_e32 v6, 32, v6
	s_delay_alu instid0(VALU_DEP_1) | instskip(SKIP_1) | instid1(VALU_DEP_2)
	v_subrev_nc_u32_e32 v7, 28, v6
	v_sub_nc_u32_e32 v6, 29, v6
	v_lshlrev_b32_e32 v7, v7, v0
	v_bfe_u32 v0, v0, 3, 4
	s_delay_alu instid0(VALU_DEP_2) | instskip(NEXT) | instid1(VALU_DEP_2)
	v_and_b32_e32 v7, 7, v7
	v_cmp_eq_u32_e32 vcc_lo, 0, v0
	s_delay_alu instid0(VALU_DEP_2) | instskip(NEXT) | instid1(VALU_DEP_1)
	v_dual_cndmask_b32 v0, v0, v6 :: v_dual_cndmask_b32 v1, v1, v7
	v_lshl_add_u32 v0, v0, 23, 0x3b800000
	s_delay_alu instid0(VALU_DEP_2) | instskip(NEXT) | instid1(VALU_DEP_1)
	v_lshlrev_b32_e32 v1, 20, v1
	v_or3_b32 v0, v5, v0, v1
	s_delay_alu instid0(VALU_DEP_1)
	v_cvt_f64_f32_e32 v[0:1], v0
.LBB118_438:
	s_or_b32 exec_lo, exec_lo, s0
.LBB118_439:
	s_mov_b32 s0, -1
.LBB118_440:
	s_mov_b32 s1, 0
.LBB118_441:
	s_delay_alu instid0(SALU_CYCLE_1)
	s_and_b32 vcc_lo, exec_lo, s1
	s_cbranch_vccz .LBB118_474
; %bb.442:
	v_cmp_lt_i16_e32 vcc_lo, 22, v4
	s_cbranch_vccz .LBB118_454
; %bb.443:
	v_cmp_gt_i16_e32 vcc_lo, 24, v4
	s_cbranch_vccnz .LBB118_455
; %bb.444:
	v_cmp_lt_i16_e32 vcc_lo, 24, v4
	s_cbranch_vccz .LBB118_456
; %bb.445:
	global_load_u8 v5, v[2:3], off
	s_mov_b32 s24, 0
	s_mov_b32 s25, exec_lo
                                        ; implicit-def: $sgpr0_sgpr1
	s_waitcnt vmcnt(0)
	v_cmpx_lt_i16_e32 0x7f, v5
	s_xor_b32 s25, exec_lo, s25
	s_cbranch_execz .LBB118_449
; %bb.446:
	s_mov_b32 s27, -1
	s_mov_b32 s24, exec_lo
                                        ; implicit-def: $sgpr0_sgpr1
	v_cmpx_eq_u16_e32 0x80, v5
; %bb.447:
	s_mov_b32 s1, 0x7ff80000
	s_brev_b32 s0, 4
	s_xor_b32 s27, exec_lo, -1
; %bb.448:
	s_or_b32 exec_lo, exec_lo, s24
	s_delay_alu instid0(SALU_CYCLE_1)
	s_and_b32 s24, s27, exec_lo
.LBB118_449:
	s_or_saveexec_b32 s25, s25
	v_dual_mov_b32 v0, s0 :: v_dual_mov_b32 v1, s1
	s_xor_b32 exec_lo, exec_lo, s25
; %bb.450:
	v_cmp_ne_u16_e32 vcc_lo, 0, v5
	v_mov_b32_e32 v0, 0
	v_mov_b32_e32 v1, 0
	s_and_not1_b32 s0, s24, exec_lo
	s_and_b32 s1, vcc_lo, exec_lo
	s_delay_alu instid0(SALU_CYCLE_1)
	s_or_b32 s24, s0, s1
; %bb.451:
	s_or_b32 exec_lo, exec_lo, s25
	s_and_saveexec_b32 s0, s24
	s_cbranch_execz .LBB118_453
; %bb.452:
	v_and_b32_e32 v0, 0xffff, v5
	v_lshlrev_b32_e32 v5, 24, v5
	s_delay_alu instid0(VALU_DEP_2) | instskip(NEXT) | instid1(VALU_DEP_2)
	v_and_b32_e32 v1, 3, v0
	v_and_b32_e32 v5, 0x80000000, v5
	s_delay_alu instid0(VALU_DEP_2) | instskip(NEXT) | instid1(VALU_DEP_1)
	v_clz_i32_u32_e32 v6, v1
	v_min_u32_e32 v6, 32, v6
	s_delay_alu instid0(VALU_DEP_1) | instskip(SKIP_1) | instid1(VALU_DEP_2)
	v_subrev_nc_u32_e32 v7, 29, v6
	v_sub_nc_u32_e32 v6, 30, v6
	v_lshlrev_b32_e32 v7, v7, v0
	v_bfe_u32 v0, v0, 2, 5
	s_delay_alu instid0(VALU_DEP_2) | instskip(NEXT) | instid1(VALU_DEP_2)
	v_and_b32_e32 v7, 3, v7
	v_cmp_eq_u32_e32 vcc_lo, 0, v0
	s_delay_alu instid0(VALU_DEP_2) | instskip(NEXT) | instid1(VALU_DEP_1)
	v_dual_cndmask_b32 v0, v0, v6 :: v_dual_cndmask_b32 v1, v1, v7
	v_lshl_add_u32 v0, v0, 23, 0x37800000
	s_delay_alu instid0(VALU_DEP_2) | instskip(NEXT) | instid1(VALU_DEP_1)
	v_lshlrev_b32_e32 v1, 21, v1
	v_or3_b32 v0, v5, v0, v1
	s_delay_alu instid0(VALU_DEP_1)
	v_cvt_f64_f32_e32 v[0:1], v0
.LBB118_453:
	s_or_b32 exec_lo, exec_lo, s0
	s_mov_b32 s0, 0
	s_branch .LBB118_457
.LBB118_454:
	s_mov_b32 s1, -1
                                        ; implicit-def: $vgpr0_vgpr1
	s_branch .LBB118_463
.LBB118_455:
	s_mov_b32 s0, -1
                                        ; implicit-def: $vgpr0_vgpr1
	s_branch .LBB118_460
.LBB118_456:
	s_mov_b32 s0, -1
                                        ; implicit-def: $vgpr0_vgpr1
.LBB118_457:
	s_delay_alu instid0(SALU_CYCLE_1)
	s_and_b32 vcc_lo, exec_lo, s0
	s_cbranch_vccz .LBB118_459
; %bb.458:
	global_load_u8 v0, v[2:3], off
	s_waitcnt vmcnt(0)
	v_lshlrev_b32_e32 v0, 24, v0
	s_delay_alu instid0(VALU_DEP_1) | instskip(NEXT) | instid1(VALU_DEP_1)
	v_and_b32_e32 v1, 0x7f000000, v0
	v_clz_i32_u32_e32 v5, v1
	v_add_nc_u32_e32 v7, 0x1000000, v1
	v_cmp_ne_u32_e32 vcc_lo, 0, v1
	s_delay_alu instid0(VALU_DEP_3) | instskip(NEXT) | instid1(VALU_DEP_1)
	v_min_u32_e32 v5, 32, v5
	v_sub_nc_u32_e64 v5, v5, 4 clamp
	s_delay_alu instid0(VALU_DEP_1) | instskip(SKIP_1) | instid1(VALU_DEP_2)
	v_lshlrev_b32_e32 v6, v5, v1
	v_lshlrev_b32_e32 v5, 23, v5
	v_lshrrev_b32_e32 v6, 4, v6
	s_delay_alu instid0(VALU_DEP_1) | instskip(SKIP_1) | instid1(VALU_DEP_2)
	v_sub_nc_u32_e32 v5, v6, v5
	v_ashrrev_i32_e32 v6, 8, v7
	v_add_nc_u32_e32 v5, 0x3c000000, v5
	s_delay_alu instid0(VALU_DEP_1) | instskip(NEXT) | instid1(VALU_DEP_1)
	v_and_or_b32 v5, 0x7f800000, v6, v5
	v_cndmask_b32_e32 v1, 0, v5, vcc_lo
	s_delay_alu instid0(VALU_DEP_1) | instskip(NEXT) | instid1(VALU_DEP_1)
	v_and_or_b32 v0, 0x80000000, v0, v1
	v_cvt_f64_f32_e32 v[0:1], v0
.LBB118_459:
	s_mov_b32 s0, 0
.LBB118_460:
	s_delay_alu instid0(SALU_CYCLE_1)
	s_and_not1_b32 vcc_lo, exec_lo, s0
	s_cbranch_vccnz .LBB118_462
; %bb.461:
	global_load_u8 v0, v[2:3], off
	s_waitcnt vmcnt(0)
	v_lshlrev_b32_e32 v1, 25, v0
	v_lshlrev_b16 v0, 8, v0
	s_delay_alu instid0(VALU_DEP_1) | instskip(SKIP_1) | instid1(VALU_DEP_2)
	v_and_or_b32 v6, 0x7f00, v0, 0.5
	v_bfe_i32 v0, v0, 0, 16
	v_add_f32_e32 v6, -0.5, v6
	v_lshrrev_b32_e32 v5, 4, v1
	v_cmp_gt_u32_e32 vcc_lo, 0x8000000, v1
	s_delay_alu instid0(VALU_DEP_2) | instskip(NEXT) | instid1(VALU_DEP_1)
	v_or_b32_e32 v5, 0x70000000, v5
	v_mul_f32_e32 v5, 0x7800000, v5
	s_delay_alu instid0(VALU_DEP_1) | instskip(NEXT) | instid1(VALU_DEP_1)
	v_cndmask_b32_e32 v1, v5, v6, vcc_lo
	v_and_or_b32 v0, 0x80000000, v0, v1
	s_delay_alu instid0(VALU_DEP_1)
	v_cvt_f64_f32_e32 v[0:1], v0
.LBB118_462:
	s_mov_b32 s1, 0
	s_mov_b32 s0, -1
.LBB118_463:
	s_and_not1_b32 vcc_lo, exec_lo, s1
	s_cbranch_vccnz .LBB118_474
; %bb.464:
	v_cmp_lt_i16_e32 vcc_lo, 14, v4
	s_cbranch_vccz .LBB118_467
; %bb.465:
	v_cmp_eq_u16_e32 vcc_lo, 15, v4
	s_cbranch_vccz .LBB118_468
; %bb.466:
	global_load_u16 v0, v[2:3], off
	s_mov_b32 s0, -1
	s_mov_b32 s23, 0
	s_waitcnt vmcnt(0)
	v_lshlrev_b32_e32 v0, 16, v0
	s_delay_alu instid0(VALU_DEP_1)
	v_cvt_f64_f32_e32 v[0:1], v0
	s_branch .LBB118_469
.LBB118_467:
	s_mov_b32 s1, -1
                                        ; implicit-def: $vgpr0_vgpr1
	s_branch .LBB118_470
.LBB118_468:
	s_mov_b32 s23, -1
                                        ; implicit-def: $vgpr0_vgpr1
.LBB118_469:
	s_mov_b32 s1, 0
.LBB118_470:
	s_delay_alu instid0(SALU_CYCLE_1)
	s_and_b32 vcc_lo, exec_lo, s1
	s_cbranch_vccz .LBB118_474
; %bb.471:
	v_cmp_eq_u16_e32 vcc_lo, 11, v4
	s_cbranch_vccz .LBB118_473
; %bb.472:
	global_load_u8 v0, v[2:3], off
	s_mov_b32 s23, 0
	s_mov_b32 s0, -1
	s_waitcnt vmcnt(0)
	v_cmp_ne_u16_e32 vcc_lo, 0, v0
	v_mov_b32_e32 v0, 0
	v_cndmask_b32_e64 v1, 0, 0x3ff00000, vcc_lo
	s_branch .LBB118_474
.LBB118_473:
	s_mov_b32 s23, -1
                                        ; implicit-def: $vgpr0_vgpr1
.LBB118_474:
	s_branch .LBB118_389
.LBB118_475:
	v_cmp_gt_i16_e32 vcc_lo, 5, v4
	s_cbranch_vccnz .LBB118_480
; %bb.476:
	v_cmp_gt_i16_e32 vcc_lo, 8, v4
	s_cbranch_vccnz .LBB118_481
; %bb.477:
	v_cmp_gt_i16_e32 vcc_lo, 9, v4
	s_cbranch_vccnz .LBB118_482
; %bb.478:
	v_cmp_lt_i16_e32 vcc_lo, 9, v4
	s_cbranch_vccz .LBB118_483
; %bb.479:
	global_load_b64 v[0:1], v[2:3], off
	s_mov_b32 s0, 0
	s_branch .LBB118_484
.LBB118_480:
	s_mov_b32 s0, -1
                                        ; implicit-def: $vgpr0_vgpr1
	s_branch .LBB118_502
.LBB118_481:
	s_mov_b32 s0, -1
                                        ; implicit-def: $vgpr0_vgpr1
	s_branch .LBB118_490
.LBB118_482:
	s_mov_b32 s0, -1
                                        ; implicit-def: $vgpr0_vgpr1
	s_branch .LBB118_487
.LBB118_483:
	s_mov_b32 s0, -1
                                        ; implicit-def: $vgpr0_vgpr1
.LBB118_484:
	s_delay_alu instid0(SALU_CYCLE_1)
	s_and_not1_b32 vcc_lo, exec_lo, s0
	s_cbranch_vccnz .LBB118_486
; %bb.485:
	global_load_b32 v0, v[2:3], off
	s_waitcnt vmcnt(0)
	v_cvt_f64_f32_e32 v[0:1], v0
.LBB118_486:
	s_mov_b32 s0, 0
.LBB118_487:
	s_delay_alu instid0(SALU_CYCLE_1)
	s_and_not1_b32 vcc_lo, exec_lo, s0
	s_cbranch_vccnz .LBB118_489
; %bb.488:
	global_load_b32 v0, v[2:3], off
	s_waitcnt vmcnt(0)
	v_cvt_f32_f16_e32 v0, v0
	s_delay_alu instid0(VALU_DEP_1)
	v_cvt_f64_f32_e32 v[0:1], v0
.LBB118_489:
	s_mov_b32 s0, 0
.LBB118_490:
	s_delay_alu instid0(SALU_CYCLE_1)
	s_and_not1_b32 vcc_lo, exec_lo, s0
	s_cbranch_vccnz .LBB118_501
; %bb.491:
	v_cmp_gt_i16_e32 vcc_lo, 6, v4
	s_cbranch_vccnz .LBB118_494
; %bb.492:
	v_cmp_lt_i16_e32 vcc_lo, 6, v4
	s_cbranch_vccz .LBB118_495
; %bb.493:
	global_load_b64 v[0:1], v[2:3], off
	s_mov_b32 s0, 0
	s_branch .LBB118_496
.LBB118_494:
	s_mov_b32 s0, -1
                                        ; implicit-def: $vgpr0_vgpr1
	s_branch .LBB118_499
.LBB118_495:
	s_mov_b32 s0, -1
                                        ; implicit-def: $vgpr0_vgpr1
.LBB118_496:
	s_delay_alu instid0(SALU_CYCLE_1)
	s_and_not1_b32 vcc_lo, exec_lo, s0
	s_cbranch_vccnz .LBB118_498
; %bb.497:
	global_load_b32 v0, v[2:3], off
	s_waitcnt vmcnt(0)
	v_cvt_f64_f32_e32 v[0:1], v0
.LBB118_498:
	s_mov_b32 s0, 0
.LBB118_499:
	s_delay_alu instid0(SALU_CYCLE_1)
	s_and_not1_b32 vcc_lo, exec_lo, s0
	s_cbranch_vccnz .LBB118_501
; %bb.500:
	global_load_u16 v0, v[2:3], off
	s_waitcnt vmcnt(0)
	v_cvt_f32_f16_e32 v0, v0
	s_delay_alu instid0(VALU_DEP_1)
	v_cvt_f64_f32_e32 v[0:1], v0
.LBB118_501:
	s_mov_b32 s0, 0
.LBB118_502:
	s_delay_alu instid0(SALU_CYCLE_1)
	s_and_not1_b32 vcc_lo, exec_lo, s0
	s_cbranch_vccnz .LBB118_522
; %bb.503:
	v_cmp_gt_i16_e32 vcc_lo, 2, v4
	s_cbranch_vccnz .LBB118_507
; %bb.504:
	v_cmp_gt_i16_e32 vcc_lo, 3, v4
	s_cbranch_vccnz .LBB118_508
; %bb.505:
	v_cmp_lt_i16_e32 vcc_lo, 3, v4
	s_cbranch_vccz .LBB118_509
; %bb.506:
	global_load_b64 v[0:1], v[2:3], off
	s_mov_b32 s0, 0
	s_waitcnt vmcnt(0)
	v_cvt_f64_i32_e32 v[5:6], v1
	v_cvt_f64_u32_e32 v[0:1], v0
	s_delay_alu instid0(VALU_DEP_2) | instskip(NEXT) | instid1(VALU_DEP_1)
	v_ldexp_f64 v[5:6], v[5:6], 32
	v_add_f64 v[0:1], v[5:6], v[0:1]
	s_branch .LBB118_510
.LBB118_507:
	s_mov_b32 s0, -1
                                        ; implicit-def: $vgpr0_vgpr1
	s_branch .LBB118_516
.LBB118_508:
	s_mov_b32 s0, -1
                                        ; implicit-def: $vgpr0_vgpr1
	s_branch .LBB118_513
.LBB118_509:
	s_mov_b32 s0, -1
                                        ; implicit-def: $vgpr0_vgpr1
.LBB118_510:
	s_delay_alu instid0(SALU_CYCLE_1)
	s_and_not1_b32 vcc_lo, exec_lo, s0
	s_cbranch_vccnz .LBB118_512
; %bb.511:
	global_load_b32 v0, v[2:3], off
	s_waitcnt vmcnt(0)
	v_cvt_f64_i32_e32 v[0:1], v0
.LBB118_512:
	s_mov_b32 s0, 0
.LBB118_513:
	s_delay_alu instid0(SALU_CYCLE_1)
	s_and_not1_b32 vcc_lo, exec_lo, s0
	s_cbranch_vccnz .LBB118_515
; %bb.514:
	global_load_i16 v0, v[2:3], off
	s_waitcnt vmcnt(0)
	v_cvt_f64_i32_e32 v[0:1], v0
.LBB118_515:
	s_mov_b32 s0, 0
.LBB118_516:
	s_delay_alu instid0(SALU_CYCLE_1)
	s_and_not1_b32 vcc_lo, exec_lo, s0
	s_cbranch_vccnz .LBB118_522
; %bb.517:
	v_cmp_lt_i16_e32 vcc_lo, 0, v4
	s_mov_b32 s0, 0
	s_cbranch_vccz .LBB118_519
; %bb.518:
	global_load_i8 v0, v[2:3], off
	s_waitcnt vmcnt(0)
	v_cvt_f64_i32_e32 v[0:1], v0
	s_branch .LBB118_520
.LBB118_519:
	s_mov_b32 s0, -1
                                        ; implicit-def: $vgpr0_vgpr1
.LBB118_520:
	s_delay_alu instid0(SALU_CYCLE_1)
	s_and_not1_b32 vcc_lo, exec_lo, s0
	s_cbranch_vccnz .LBB118_522
; %bb.521:
	global_load_u8 v0, v[2:3], off
	s_waitcnt vmcnt(0)
	v_cvt_f64_u32_e32 v[0:1], v0
.LBB118_522:
	s_branch .LBB118_390
.LBB118_523:
	s_mov_b32 s27, 0
	s_mov_b32 s0, s18
	s_mov_b32 s1, s20
	s_branch .LBB118_765
.LBB118_524:
	s_or_saveexec_b32 s20, s20
                                        ; implicit-def: $sgpr24
	s_delay_alu instid0(SALU_CYCLE_1)
	s_xor_b32 exec_lo, exec_lo, s20
	s_cbranch_execz .LBB118_301
.LBB118_525:
	v_add_f32_e64 v3, 0x42800000, |v2|
	s_and_not1_b32 s18, s18, exec_lo
	s_mov_b32 s24, 0
	s_delay_alu instid0(VALU_DEP_1) | instskip(NEXT) | instid1(VALU_DEP_1)
	v_and_b32_e32 v3, 0xff, v3
	v_cmp_ne_u32_e32 vcc_lo, 0, v3
	s_and_b32 s25, vcc_lo, exec_lo
	s_delay_alu instid0(SALU_CYCLE_1)
	s_or_b32 s18, s18, s25
	s_or_b32 exec_lo, exec_lo, s20
	v_mov_b32_e32 v7, s24
	s_and_saveexec_b32 s20, s18
	s_cbranch_execnz .LBB118_302
	s_branch .LBB118_303
.LBB118_526:
	s_mov_b32 s1, -1
	s_mov_b32 s0, 0
.LBB118_527:
                                        ; implicit-def: $sgpr24
.LBB118_528:
	s_and_b32 vcc_lo, exec_lo, s25
	s_cbranch_vccz .LBB118_530
; %bb.529:
	v_cmp_eq_u16_e64 s0, 44, v4
	s_or_b32 s24, s24, exec_lo
	s_or_b32 s1, s1, exec_lo
.LBB118_530:
	s_mov_b32 s25, 0
.LBB118_531:
	s_delay_alu instid0(SALU_CYCLE_1)
	s_and_b32 vcc_lo, exec_lo, s25
	s_cbranch_vccz .LBB118_535
; %bb.532:
	v_cmp_eq_u16_e32 vcc_lo, 29, v4
	s_cbranch_vccz .LBB118_534
; %bb.533:
	global_load_b64 v[5:6], v[2:3], off
	s_mov_b32 s0, -1
	s_mov_b32 s1, 0
	s_mov_b32 s25, 0
	s_waitcnt vmcnt(0)
	v_cmp_ne_u64_e32 vcc_lo, 0, v[5:6]
	s_and_b32 s24, vcc_lo, exec_lo
	s_branch .LBB118_536
.LBB118_534:
	s_mov_b32 s1, -1
                                        ; implicit-def: $sgpr24
.LBB118_535:
	s_mov_b32 s25, 0
.LBB118_536:
	s_delay_alu instid0(SALU_CYCLE_1)
	s_and_b32 vcc_lo, exec_lo, s25
	s_cbranch_vccz .LBB118_554
; %bb.537:
	v_cmp_gt_i16_e32 vcc_lo, 27, v4
	s_cbranch_vccnz .LBB118_540
; %bb.538:
	v_cmp_lt_i16_e32 vcc_lo, 27, v4
	s_cbranch_vccz .LBB118_541
; %bb.539:
	global_load_b32 v5, v[2:3], off
	s_mov_b32 s0, 0
	s_waitcnt vmcnt(0)
	v_cmp_ne_u32_e32 vcc_lo, 0, v5
	s_and_b32 s24, vcc_lo, exec_lo
	s_branch .LBB118_542
.LBB118_540:
	s_mov_b32 s0, -1
                                        ; implicit-def: $sgpr24
	s_branch .LBB118_545
.LBB118_541:
	s_mov_b32 s0, -1
                                        ; implicit-def: $sgpr24
.LBB118_542:
	s_delay_alu instid0(SALU_CYCLE_1)
	s_and_not1_b32 vcc_lo, exec_lo, s0
	s_cbranch_vccnz .LBB118_544
; %bb.543:
	global_load_u16 v5, v[2:3], off
	s_and_not1_b32 s0, s24, exec_lo
	s_waitcnt vmcnt(0)
	v_cmp_ne_u16_e32 vcc_lo, 0, v5
	s_and_b32 s24, vcc_lo, exec_lo
	s_delay_alu instid0(SALU_CYCLE_1)
	s_or_b32 s24, s0, s24
.LBB118_544:
	s_mov_b32 s0, 0
.LBB118_545:
	s_delay_alu instid0(SALU_CYCLE_1)
	s_and_not1_b32 vcc_lo, exec_lo, s0
	s_cbranch_vccnz .LBB118_553
; %bb.546:
	global_load_u8 v5, v[2:3], off
	s_mov_b32 s0, 0
	s_mov_b32 s25, exec_lo
                                        ; implicit-def: $sgpr24
	s_waitcnt vmcnt(0)
	v_cmpx_lt_i16_e32 0x7f, v5
	s_xor_b32 s25, exec_lo, s25
	s_cbranch_execz .LBB118_567
; %bb.547:
	s_mov_b32 s0, -1
	s_mov_b32 s27, exec_lo
                                        ; implicit-def: $sgpr24
	v_cmpx_eq_u16_e32 0x80, v5
; %bb.548:
	s_mov_b32 s24, -1
	s_xor_b32 s0, exec_lo, -1
; %bb.549:
	s_or_b32 exec_lo, exec_lo, s27
	s_delay_alu instid0(SALU_CYCLE_1)
	s_and_b32 s0, s0, exec_lo
	s_and_not1_saveexec_b32 s25, s25
	s_cbranch_execnz .LBB118_568
.LBB118_550:
	s_or_b32 exec_lo, exec_lo, s25
	s_and_saveexec_b32 s25, s0
	s_cbranch_execz .LBB118_552
.LBB118_551:
	v_and_b32_e32 v5, 0xffff, v5
	s_and_not1_b32 s0, s24, exec_lo
	s_delay_alu instid0(VALU_DEP_1) | instskip(NEXT) | instid1(VALU_DEP_1)
	v_and_b32_e32 v6, 7, v5
	v_clz_i32_u32_e32 v7, v6
	s_delay_alu instid0(VALU_DEP_1) | instskip(NEXT) | instid1(VALU_DEP_1)
	v_min_u32_e32 v7, 32, v7
	v_subrev_nc_u32_e32 v8, 28, v7
	v_sub_nc_u32_e32 v7, 29, v7
	s_delay_alu instid0(VALU_DEP_2) | instskip(SKIP_1) | instid1(VALU_DEP_2)
	v_lshlrev_b32_e32 v8, v8, v5
	v_bfe_u32 v5, v5, 3, 4
	v_and_b32_e32 v8, 7, v8
	s_delay_alu instid0(VALU_DEP_2) | instskip(NEXT) | instid1(VALU_DEP_2)
	v_cmp_eq_u32_e32 vcc_lo, 0, v5
	v_dual_cndmask_b32 v5, v5, v7 :: v_dual_cndmask_b32 v6, v6, v8
	s_delay_alu instid0(VALU_DEP_1) | instskip(NEXT) | instid1(VALU_DEP_2)
	v_lshl_add_u32 v5, v5, 23, 0x3b800000
	v_lshlrev_b32_e32 v6, 20, v6
	s_delay_alu instid0(VALU_DEP_1) | instskip(NEXT) | instid1(VALU_DEP_1)
	v_and_or_b32 v5, 0x7f800000, v5, v6
	v_cmp_ne_u32_e32 vcc_lo, 0, v5
	s_and_b32 s24, vcc_lo, exec_lo
	s_delay_alu instid0(SALU_CYCLE_1)
	s_or_b32 s24, s0, s24
.LBB118_552:
	s_or_b32 exec_lo, exec_lo, s25
.LBB118_553:
	s_mov_b32 s0, -1
.LBB118_554:
	s_mov_b32 s25, 0
.LBB118_555:
	s_delay_alu instid0(SALU_CYCLE_1)
	s_and_b32 vcc_lo, exec_lo, s25
	s_cbranch_vccz .LBB118_590
; %bb.556:
	v_cmp_lt_i16_e32 vcc_lo, 22, v4
	s_cbranch_vccz .LBB118_566
; %bb.557:
	v_cmp_gt_i16_e32 vcc_lo, 24, v4
	s_cbranch_vccnz .LBB118_569
; %bb.558:
	v_cmp_lt_i16_e32 vcc_lo, 24, v4
	s_cbranch_vccz .LBB118_570
; %bb.559:
	global_load_u8 v5, v[2:3], off
	s_mov_b32 s0, 0
	s_mov_b32 s25, exec_lo
                                        ; implicit-def: $sgpr24
	s_waitcnt vmcnt(0)
	v_cmpx_lt_i16_e32 0x7f, v5
	s_xor_b32 s25, exec_lo, s25
	s_cbranch_execz .LBB118_582
; %bb.560:
	s_mov_b32 s0, -1
	s_mov_b32 s27, exec_lo
                                        ; implicit-def: $sgpr24
	v_cmpx_eq_u16_e32 0x80, v5
; %bb.561:
	s_mov_b32 s24, -1
	s_xor_b32 s0, exec_lo, -1
; %bb.562:
	s_or_b32 exec_lo, exec_lo, s27
	s_delay_alu instid0(SALU_CYCLE_1)
	s_and_b32 s0, s0, exec_lo
	s_and_not1_saveexec_b32 s25, s25
	s_cbranch_execnz .LBB118_583
.LBB118_563:
	s_or_b32 exec_lo, exec_lo, s25
	s_and_saveexec_b32 s25, s0
	s_cbranch_execz .LBB118_565
.LBB118_564:
	v_and_b32_e32 v5, 0xffff, v5
	s_and_not1_b32 s0, s24, exec_lo
	s_delay_alu instid0(VALU_DEP_1) | instskip(NEXT) | instid1(VALU_DEP_1)
	v_and_b32_e32 v6, 3, v5
	v_clz_i32_u32_e32 v7, v6
	s_delay_alu instid0(VALU_DEP_1) | instskip(NEXT) | instid1(VALU_DEP_1)
	v_min_u32_e32 v7, 32, v7
	v_subrev_nc_u32_e32 v8, 29, v7
	v_sub_nc_u32_e32 v7, 30, v7
	s_delay_alu instid0(VALU_DEP_2) | instskip(SKIP_1) | instid1(VALU_DEP_2)
	v_lshlrev_b32_e32 v8, v8, v5
	v_bfe_u32 v5, v5, 2, 5
	v_and_b32_e32 v8, 3, v8
	s_delay_alu instid0(VALU_DEP_2) | instskip(NEXT) | instid1(VALU_DEP_2)
	v_cmp_eq_u32_e32 vcc_lo, 0, v5
	v_dual_cndmask_b32 v5, v5, v7 :: v_dual_cndmask_b32 v6, v6, v8
	s_delay_alu instid0(VALU_DEP_1) | instskip(NEXT) | instid1(VALU_DEP_2)
	v_lshl_add_u32 v5, v5, 23, 0x37800000
	v_lshlrev_b32_e32 v6, 21, v6
	s_delay_alu instid0(VALU_DEP_1) | instskip(NEXT) | instid1(VALU_DEP_1)
	v_and_or_b32 v5, 0x7f800000, v5, v6
	v_cmp_ne_u32_e32 vcc_lo, 0, v5
	s_and_b32 s24, vcc_lo, exec_lo
	s_delay_alu instid0(SALU_CYCLE_1)
	s_or_b32 s24, s0, s24
.LBB118_565:
	s_or_b32 exec_lo, exec_lo, s25
	s_mov_b32 s0, 0
	s_branch .LBB118_571
.LBB118_566:
	s_mov_b32 s25, -1
                                        ; implicit-def: $sgpr24
	s_branch .LBB118_577
.LBB118_567:
	s_and_not1_saveexec_b32 s25, s25
	s_cbranch_execz .LBB118_550
.LBB118_568:
	v_cmp_ne_u16_e32 vcc_lo, 0, v5
	s_and_not1_b32 s0, s0, exec_lo
	s_and_not1_b32 s24, s24, exec_lo
	s_and_b32 s27, vcc_lo, exec_lo
	s_delay_alu instid0(SALU_CYCLE_1)
	s_or_b32 s0, s0, s27
	s_or_b32 exec_lo, exec_lo, s25
	s_and_saveexec_b32 s25, s0
	s_cbranch_execnz .LBB118_551
	s_branch .LBB118_552
.LBB118_569:
	s_mov_b32 s0, -1
                                        ; implicit-def: $sgpr24
	s_branch .LBB118_574
.LBB118_570:
	s_mov_b32 s0, -1
                                        ; implicit-def: $sgpr24
.LBB118_571:
	s_delay_alu instid0(SALU_CYCLE_1)
	s_and_b32 vcc_lo, exec_lo, s0
	s_cbranch_vccz .LBB118_573
; %bb.572:
	global_load_u8 v5, v[2:3], off
	s_and_not1_b32 s24, s24, exec_lo
	s_waitcnt vmcnt(0)
	v_lshlrev_b32_e32 v5, 24, v5
	s_delay_alu instid0(VALU_DEP_1) | instskip(NEXT) | instid1(VALU_DEP_1)
	v_and_b32_e32 v5, 0x7f000000, v5
	v_clz_i32_u32_e32 v6, v5
	v_add_nc_u32_e32 v8, 0x1000000, v5
	v_cmp_ne_u32_e32 vcc_lo, 0, v5
	s_delay_alu instid0(VALU_DEP_3) | instskip(NEXT) | instid1(VALU_DEP_3)
	v_min_u32_e32 v6, 32, v6
	v_ashrrev_i32_e32 v8, 8, v8
	s_delay_alu instid0(VALU_DEP_2) | instskip(NEXT) | instid1(VALU_DEP_1)
	v_sub_nc_u32_e64 v6, v6, 4 clamp
	v_lshlrev_b32_e32 v7, v6, v5
	v_lshlrev_b32_e32 v6, 23, v6
	s_delay_alu instid0(VALU_DEP_2) | instskip(NEXT) | instid1(VALU_DEP_1)
	v_lshrrev_b32_e32 v7, 4, v7
	v_sub_nc_u32_e32 v6, v7, v6
	v_and_b32_e32 v7, 0x7f800000, v8
	s_delay_alu instid0(VALU_DEP_2) | instskip(NEXT) | instid1(VALU_DEP_1)
	v_add_nc_u32_e32 v6, 0x3c000000, v6
	v_and_or_b32 v6, 0x7ff00000, v6, v7
	s_delay_alu instid0(VALU_DEP_1) | instskip(NEXT) | instid1(VALU_DEP_1)
	v_cmp_ne_u32_e64 s0, 0, v6
	s_and_b32 s0, vcc_lo, s0
	s_delay_alu instid0(SALU_CYCLE_1) | instskip(NEXT) | instid1(SALU_CYCLE_1)
	s_and_b32 s0, s0, exec_lo
	s_or_b32 s24, s24, s0
.LBB118_573:
	s_mov_b32 s0, 0
.LBB118_574:
	s_delay_alu instid0(SALU_CYCLE_1)
	s_and_not1_b32 vcc_lo, exec_lo, s0
	s_cbranch_vccnz .LBB118_576
; %bb.575:
	global_load_u8 v5, v[2:3], off
	s_and_not1_b32 s0, s24, exec_lo
	s_waitcnt vmcnt(0)
	v_lshlrev_b32_e32 v6, 25, v5
	v_lshlrev_b32_e32 v5, 8, v5
	s_delay_alu instid0(VALU_DEP_2) | instskip(NEXT) | instid1(VALU_DEP_2)
	v_lshrrev_b32_e32 v7, 4, v6
	v_and_or_b32 v5, 0x7f00, v5, 0.5
	s_delay_alu instid0(VALU_DEP_2) | instskip(NEXT) | instid1(VALU_DEP_2)
	v_or_b32_e32 v7, 0x70000000, v7
	v_add_f32_e32 v5, -0.5, v5
	s_delay_alu instid0(VALU_DEP_2) | instskip(SKIP_1) | instid1(VALU_DEP_2)
	v_mul_f32_e32 v7, 0x7800000, v7
	v_cmp_gt_u32_e32 vcc_lo, 0x8000000, v6
	v_cndmask_b32_e32 v5, v7, v5, vcc_lo
	s_delay_alu instid0(VALU_DEP_1) | instskip(SKIP_1) | instid1(SALU_CYCLE_1)
	v_cmp_neq_f32_e32 vcc_lo, 0, v5
	s_and_b32 s24, vcc_lo, exec_lo
	s_or_b32 s24, s0, s24
.LBB118_576:
	s_mov_b32 s25, 0
	s_mov_b32 s0, -1
.LBB118_577:
	s_and_not1_b32 vcc_lo, exec_lo, s25
	s_cbranch_vccnz .LBB118_590
; %bb.578:
	v_cmp_lt_i16_e32 vcc_lo, 14, v4
	s_cbranch_vccz .LBB118_581
; %bb.579:
	v_cmp_eq_u16_e32 vcc_lo, 15, v4
	s_cbranch_vccz .LBB118_584
; %bb.580:
	global_load_u16 v5, v[2:3], off
	s_mov_b32 s1, 0
	s_mov_b32 s0, -1
	s_waitcnt vmcnt(0)
	v_and_b32_e32 v5, 0x7fff, v5
	s_delay_alu instid0(VALU_DEP_1)
	v_cmp_ne_u16_e32 vcc_lo, 0, v5
	s_and_b32 s24, vcc_lo, exec_lo
	s_branch .LBB118_585
.LBB118_581:
	s_mov_b32 s25, -1
                                        ; implicit-def: $sgpr24
	s_branch .LBB118_586
.LBB118_582:
	s_and_not1_saveexec_b32 s25, s25
	s_cbranch_execz .LBB118_563
.LBB118_583:
	v_cmp_ne_u16_e32 vcc_lo, 0, v5
	s_and_not1_b32 s0, s0, exec_lo
	s_and_not1_b32 s24, s24, exec_lo
	s_and_b32 s27, vcc_lo, exec_lo
	s_delay_alu instid0(SALU_CYCLE_1)
	s_or_b32 s0, s0, s27
	s_or_b32 exec_lo, exec_lo, s25
	s_and_saveexec_b32 s25, s0
	s_cbranch_execnz .LBB118_564
	s_branch .LBB118_565
.LBB118_584:
	s_mov_b32 s1, -1
                                        ; implicit-def: $sgpr24
.LBB118_585:
	s_mov_b32 s25, 0
.LBB118_586:
	s_delay_alu instid0(SALU_CYCLE_1)
	s_and_b32 vcc_lo, exec_lo, s25
	s_cbranch_vccz .LBB118_590
; %bb.587:
	v_cmp_eq_u16_e32 vcc_lo, 11, v4
	s_cbranch_vccz .LBB118_589
; %bb.588:
	global_load_u8 v5, v[2:3], off
	s_mov_b32 s1, 0
	s_mov_b32 s0, -1
	s_waitcnt vmcnt(0)
	v_cmp_ne_u16_e32 vcc_lo, 0, v5
	s_and_b32 s24, vcc_lo, exec_lo
	s_branch .LBB118_590
.LBB118_589:
	s_mov_b32 s1, -1
                                        ; implicit-def: $sgpr24
.LBB118_590:
	s_mov_b32 s25, 0
.LBB118_591:
	s_delay_alu instid0(SALU_CYCLE_1)
	s_and_b32 vcc_lo, exec_lo, s25
	s_cbranch_vccz .LBB118_640
; %bb.592:
	v_cmp_gt_i16_e32 vcc_lo, 5, v4
	s_cbranch_vccnz .LBB118_597
; %bb.593:
	v_cmp_gt_i16_e32 vcc_lo, 8, v4
	s_cbranch_vccnz .LBB118_598
	;; [unrolled: 3-line block ×3, first 2 shown]
; %bb.595:
	v_cmp_lt_i16_e32 vcc_lo, 9, v4
	s_cbranch_vccz .LBB118_600
; %bb.596:
	global_load_b128 v[5:8], v[2:3], off
	s_waitcnt vmcnt(0)
	v_cmp_neq_f64_e32 vcc_lo, 0, v[5:6]
	v_cmp_neq_f64_e64 s0, 0, v[7:8]
	s_delay_alu instid0(VALU_DEP_1)
	s_or_b32 s24, vcc_lo, s0
	s_mov_b32 s0, 0
	s_and_b32 s24, s24, exec_lo
	s_branch .LBB118_601
.LBB118_597:
	s_mov_b32 s0, -1
                                        ; implicit-def: $sgpr24
	s_branch .LBB118_619
.LBB118_598:
	s_mov_b32 s0, -1
                                        ; implicit-def: $sgpr24
	s_branch .LBB118_607
.LBB118_599:
	s_mov_b32 s0, -1
                                        ; implicit-def: $sgpr24
	s_branch .LBB118_604
.LBB118_600:
	s_mov_b32 s0, -1
                                        ; implicit-def: $sgpr24
.LBB118_601:
	s_delay_alu instid0(SALU_CYCLE_1)
	s_and_not1_b32 vcc_lo, exec_lo, s0
	s_cbranch_vccnz .LBB118_603
; %bb.602:
	global_load_b64 v[5:6], v[2:3], off
	s_and_not1_b32 s0, s24, exec_lo
	s_waitcnt vmcnt(0)
	v_or_b32_e32 v5, v5, v6
	s_delay_alu instid0(VALU_DEP_1) | instskip(NEXT) | instid1(VALU_DEP_1)
	v_and_b32_e32 v5, 0x7fffffff, v5
	v_cmp_ne_u32_e32 vcc_lo, 0, v5
	s_and_b32 s24, vcc_lo, exec_lo
	s_delay_alu instid0(SALU_CYCLE_1)
	s_or_b32 s24, s0, s24
.LBB118_603:
	s_mov_b32 s0, 0
.LBB118_604:
	s_delay_alu instid0(SALU_CYCLE_1)
	s_and_not1_b32 vcc_lo, exec_lo, s0
	s_cbranch_vccnz .LBB118_606
; %bb.605:
	global_load_b32 v5, v[2:3], off
	s_and_not1_b32 s0, s24, exec_lo
	s_waitcnt vmcnt(0)
	v_and_b32_e32 v5, 0x7fff7fff, v5
	s_delay_alu instid0(VALU_DEP_1) | instskip(SKIP_1) | instid1(SALU_CYCLE_1)
	v_cmp_ne_u32_e32 vcc_lo, 0, v5
	s_and_b32 s24, vcc_lo, exec_lo
	s_or_b32 s24, s0, s24
.LBB118_606:
	s_mov_b32 s0, 0
.LBB118_607:
	s_delay_alu instid0(SALU_CYCLE_1)
	s_and_not1_b32 vcc_lo, exec_lo, s0
	s_cbranch_vccnz .LBB118_618
; %bb.608:
	v_cmp_gt_i16_e32 vcc_lo, 6, v4
	s_cbranch_vccnz .LBB118_611
; %bb.609:
	v_cmp_lt_i16_e32 vcc_lo, 6, v4
	s_cbranch_vccz .LBB118_612
; %bb.610:
	global_load_b64 v[5:6], v[2:3], off
	s_mov_b32 s0, 0
	s_waitcnt vmcnt(0)
	v_cmp_neq_f64_e32 vcc_lo, 0, v[5:6]
	s_and_b32 s24, vcc_lo, exec_lo
	s_branch .LBB118_613
.LBB118_611:
	s_mov_b32 s0, -1
                                        ; implicit-def: $sgpr24
	s_branch .LBB118_616
.LBB118_612:
	s_mov_b32 s0, -1
                                        ; implicit-def: $sgpr24
.LBB118_613:
	s_delay_alu instid0(SALU_CYCLE_1)
	s_and_not1_b32 vcc_lo, exec_lo, s0
	s_cbranch_vccnz .LBB118_615
; %bb.614:
	global_load_b32 v5, v[2:3], off
	s_and_not1_b32 s0, s24, exec_lo
	s_waitcnt vmcnt(0)
	v_cmp_neq_f32_e32 vcc_lo, 0, v5
	s_and_b32 s24, vcc_lo, exec_lo
	s_delay_alu instid0(SALU_CYCLE_1)
	s_or_b32 s24, s0, s24
.LBB118_615:
	s_mov_b32 s0, 0
.LBB118_616:
	s_delay_alu instid0(SALU_CYCLE_1)
	s_and_not1_b32 vcc_lo, exec_lo, s0
	s_cbranch_vccnz .LBB118_618
; %bb.617:
	global_load_u16 v5, v[2:3], off
	s_and_not1_b32 s0, s24, exec_lo
	s_waitcnt vmcnt(0)
	v_and_b32_e32 v5, 0x7fff, v5
	s_delay_alu instid0(VALU_DEP_1) | instskip(SKIP_1) | instid1(SALU_CYCLE_1)
	v_cmp_ne_u16_e32 vcc_lo, 0, v5
	s_and_b32 s24, vcc_lo, exec_lo
	s_or_b32 s24, s0, s24
.LBB118_618:
	s_mov_b32 s0, 0
.LBB118_619:
	s_delay_alu instid0(SALU_CYCLE_1)
	s_and_not1_b32 vcc_lo, exec_lo, s0
	s_cbranch_vccnz .LBB118_639
; %bb.620:
	v_cmp_gt_i16_e32 vcc_lo, 2, v4
	s_cbranch_vccnz .LBB118_624
; %bb.621:
	v_cmp_gt_i16_e32 vcc_lo, 3, v4
	s_cbranch_vccnz .LBB118_625
; %bb.622:
	v_cmp_lt_i16_e32 vcc_lo, 3, v4
	s_cbranch_vccz .LBB118_626
; %bb.623:
	global_load_b64 v[5:6], v[2:3], off
	s_mov_b32 s0, 0
	s_waitcnt vmcnt(0)
	v_cmp_ne_u64_e32 vcc_lo, 0, v[5:6]
	s_and_b32 s24, vcc_lo, exec_lo
	s_branch .LBB118_627
.LBB118_624:
	s_mov_b32 s0, -1
                                        ; implicit-def: $sgpr24
	s_branch .LBB118_633
.LBB118_625:
	s_mov_b32 s0, -1
                                        ; implicit-def: $sgpr24
	s_branch .LBB118_630
.LBB118_626:
	s_mov_b32 s0, -1
                                        ; implicit-def: $sgpr24
.LBB118_627:
	s_delay_alu instid0(SALU_CYCLE_1)
	s_and_not1_b32 vcc_lo, exec_lo, s0
	s_cbranch_vccnz .LBB118_629
; %bb.628:
	global_load_b32 v5, v[2:3], off
	s_and_not1_b32 s0, s24, exec_lo
	s_waitcnt vmcnt(0)
	v_cmp_ne_u32_e32 vcc_lo, 0, v5
	s_and_b32 s24, vcc_lo, exec_lo
	s_delay_alu instid0(SALU_CYCLE_1)
	s_or_b32 s24, s0, s24
.LBB118_629:
	s_mov_b32 s0, 0
.LBB118_630:
	s_delay_alu instid0(SALU_CYCLE_1)
	s_and_not1_b32 vcc_lo, exec_lo, s0
	s_cbranch_vccnz .LBB118_632
; %bb.631:
	global_load_u16 v5, v[2:3], off
	s_and_not1_b32 s0, s24, exec_lo
	s_waitcnt vmcnt(0)
	v_cmp_ne_u16_e32 vcc_lo, 0, v5
	s_and_b32 s24, vcc_lo, exec_lo
	s_delay_alu instid0(SALU_CYCLE_1)
	s_or_b32 s24, s0, s24
.LBB118_632:
	s_mov_b32 s0, 0
.LBB118_633:
	s_delay_alu instid0(SALU_CYCLE_1)
	s_and_not1_b32 vcc_lo, exec_lo, s0
	s_cbranch_vccnz .LBB118_639
; %bb.634:
	v_cmp_lt_i16_e32 vcc_lo, 0, v4
	s_mov_b32 s0, 0
	s_cbranch_vccz .LBB118_636
; %bb.635:
	global_load_u8 v4, v[2:3], off
	s_waitcnt vmcnt(0)
	v_cmp_ne_u16_e32 vcc_lo, 0, v4
	s_and_b32 s24, vcc_lo, exec_lo
	s_branch .LBB118_637
.LBB118_636:
	s_mov_b32 s0, -1
                                        ; implicit-def: $sgpr24
.LBB118_637:
	s_delay_alu instid0(SALU_CYCLE_1)
	s_and_not1_b32 vcc_lo, exec_lo, s0
	s_cbranch_vccnz .LBB118_639
; %bb.638:
	global_load_u8 v2, v[2:3], off
	s_and_not1_b32 s0, s24, exec_lo
	s_waitcnt vmcnt(0)
	v_cmp_ne_u16_e32 vcc_lo, 0, v2
	s_and_b32 s24, vcc_lo, exec_lo
	s_delay_alu instid0(SALU_CYCLE_1)
	s_or_b32 s24, s0, s24
.LBB118_639:
	s_mov_b32 s0, -1
.LBB118_640:
	s_delay_alu instid0(SALU_CYCLE_1)
	s_and_not1_b32 vcc_lo, exec_lo, s0
	s_cbranch_vccnz .LBB118_648
; %bb.641:
	v_cndmask_b32_e64 v2, 0, 1, s24
	v_and_b32_e64 v6, 0xff, s14
	s_delay_alu instid0(VALU_DEP_2) | instskip(NEXT) | instid1(VALU_DEP_2)
	v_cvt_f64_u32_e32 v[2:3], v2
	v_cmp_gt_i16_e32 vcc_lo, 11, v6
	s_and_b32 vcc_lo, exec_lo, vcc_lo
	s_waitcnt vmcnt(0)
	s_delay_alu instid0(VALU_DEP_2) | instskip(SKIP_1) | instid1(VALU_DEP_1)
	v_mul_f64 v[0:1], v[0:1], v[2:3]
	v_mul_lo_u32 v2, v10, s8
	v_ashrrev_i32_e32 v3, 31, v2
	v_add_co_u32 v4, s0, s4, v2
	s_delay_alu instid0(VALU_DEP_1)
	v_add_co_ci_u32_e64 v5, s0, s5, v3, s0
	v_mul_f64 v[0:1], s[2:3], v[0:1]
	s_cbranch_vccnz .LBB118_649
; %bb.642:
	v_cmp_lt_i16_e32 vcc_lo, 25, v6
	s_cbranch_vccz .LBB118_650
; %bb.643:
	v_cmp_lt_i16_e32 vcc_lo, 28, v6
	s_cbranch_vccz .LBB118_651
	;; [unrolled: 3-line block ×4, first 2 shown]
; %bb.646:
	v_cmp_eq_u16_e32 vcc_lo, 46, v6
	s_mov_b32 s24, 0
	s_mov_b32 s0, -1
	s_mov_b32 s1, 0
	s_cbranch_vccz .LBB118_654
; %bb.647:
	v_cvt_f32_f64_e32 v2, v[0:1]
	s_mov_b32 s1, -1
	s_mov_b32 s0, 0
	s_delay_alu instid0(VALU_DEP_1) | instskip(SKIP_1) | instid1(VALU_DEP_2)
	v_bfe_u32 v3, v2, 16, 1
	v_cmp_o_f32_e32 vcc_lo, v2, v2
	v_add3_u32 v3, v2, v3, 0x7fff
	s_delay_alu instid0(VALU_DEP_1) | instskip(NEXT) | instid1(VALU_DEP_1)
	v_lshrrev_b32_e32 v3, 16, v3
	v_cndmask_b32_e32 v2, 0x7fc0, v3, vcc_lo
	global_store_b32 v[4:5], v2, off
	s_branch .LBB118_654
.LBB118_648:
	s_mov_b32 s27, 0
	s_mov_b32 s0, s18
	s_branch .LBB118_765
.LBB118_649:
	s_mov_b32 s24, -1
	s_mov_b32 s1, 0
	s_mov_b32 s0, s18
	s_branch .LBB118_723
.LBB118_650:
	s_mov_b32 s24, -1
	s_mov_b32 s1, 0
	s_mov_b32 s0, s18
	s_branch .LBB118_681
.LBB118_651:
	s_mov_b32 s24, -1
	s_mov_b32 s1, 0
	s_mov_b32 s0, s18
	s_branch .LBB118_664
.LBB118_652:
	s_mov_b32 s24, -1
	s_mov_b32 s1, 0
	s_mov_b32 s0, s18
	s_branch .LBB118_660
.LBB118_653:
	s_mov_b32 s24, -1
	s_mov_b32 s1, 0
	s_mov_b32 s0, s18
.LBB118_654:
	s_and_b32 vcc_lo, exec_lo, s24
	s_cbranch_vccz .LBB118_659
; %bb.655:
	v_cmp_eq_u16_e32 vcc_lo, 44, v6
	s_mov_b32 s0, -1
	s_cbranch_vccz .LBB118_659
; %bb.656:
	v_cvt_f32_f64_e32 v2, v[0:1]
	v_mov_b32_e32 v3, 0xff
	s_mov_b32 s1, exec_lo
	s_delay_alu instid0(VALU_DEP_2) | instskip(NEXT) | instid1(VALU_DEP_1)
	v_bfe_u32 v7, v2, 23, 8
	v_cmpx_ne_u32_e32 0xff, v7
; %bb.657:
	v_and_b32_e32 v3, 0x400000, v2
	v_and_or_b32 v7, 0x3fffff, v2, v7
	v_lshrrev_b32_e32 v2, 23, v2
	s_delay_alu instid0(VALU_DEP_3) | instskip(NEXT) | instid1(VALU_DEP_3)
	v_cmp_ne_u32_e32 vcc_lo, 0, v3
	v_cmp_ne_u32_e64 s0, 0, v7
	s_delay_alu instid0(VALU_DEP_1) | instskip(NEXT) | instid1(SALU_CYCLE_1)
	s_and_b32 s0, vcc_lo, s0
	v_cndmask_b32_e64 v3, 0, 1, s0
	s_delay_alu instid0(VALU_DEP_1)
	v_add_nc_u32_e32 v3, v2, v3
; %bb.658:
	s_or_b32 exec_lo, exec_lo, s1
	s_mov_b32 s1, -1
	s_mov_b32 s0, 0
	global_store_b8 v[4:5], v3, off
.LBB118_659:
	s_mov_b32 s24, 0
.LBB118_660:
	s_delay_alu instid0(SALU_CYCLE_1)
	s_and_b32 vcc_lo, exec_lo, s24
	s_cbranch_vccz .LBB118_663
; %bb.661:
	v_cmp_eq_u16_e32 vcc_lo, 29, v6
	s_mov_b32 s0, -1
	s_cbranch_vccz .LBB118_663
; %bb.662:
	v_trunc_f64_e32 v[2:3], v[0:1]
	s_mov_b32 s1, -1
	s_mov_b32 s0, 0
	s_mov_b32 s24, 0
	s_delay_alu instid0(VALU_DEP_1) | instskip(NEXT) | instid1(VALU_DEP_1)
	v_ldexp_f64 v[7:8], v[2:3], 0xffffffe0
	v_floor_f64_e32 v[7:8], v[7:8]
	s_delay_alu instid0(VALU_DEP_1) | instskip(SKIP_1) | instid1(VALU_DEP_2)
	v_fma_f64 v[2:3], 0xc1f00000, v[7:8], v[2:3]
	v_cvt_u32_f64_e32 v8, v[7:8]
	v_cvt_u32_f64_e32 v7, v[2:3]
	global_store_b64 v[4:5], v[7:8], off
	s_branch .LBB118_664
.LBB118_663:
	s_mov_b32 s24, 0
.LBB118_664:
	s_delay_alu instid0(SALU_CYCLE_1)
	s_and_b32 vcc_lo, exec_lo, s24
	s_cbranch_vccz .LBB118_680
; %bb.665:
	v_cmp_gt_i16_e32 vcc_lo, 27, v6
	s_mov_b32 s1, -1
	s_cbranch_vccnz .LBB118_671
; %bb.666:
	v_cmp_lt_i16_e32 vcc_lo, 27, v6
	s_cbranch_vccz .LBB118_668
; %bb.667:
	v_cvt_u32_f64_e32 v2, v[0:1]
	s_mov_b32 s1, 0
	global_store_b32 v[4:5], v2, off
.LBB118_668:
	s_and_not1_b32 vcc_lo, exec_lo, s1
	s_cbranch_vccnz .LBB118_670
; %bb.669:
	v_cvt_u32_f64_e32 v2, v[0:1]
	global_store_b16 v[4:5], v2, off
.LBB118_670:
	s_mov_b32 s1, 0
.LBB118_671:
	s_delay_alu instid0(SALU_CYCLE_1)
	s_and_not1_b32 vcc_lo, exec_lo, s1
	s_cbranch_vccnz .LBB118_679
; %bb.672:
	s_delay_alu instid0(VALU_DEP_4) | instskip(SKIP_2) | instid1(VALU_DEP_2)
	v_cvt_f32_f64_e32 v2, v[0:1]
	v_mov_b32_e32 v7, 0x80
	s_mov_b32 s1, exec_lo
	v_and_b32_e32 v3, 0x7fffffff, v2
	s_delay_alu instid0(VALU_DEP_1)
	v_cmpx_gt_u32_e32 0x43800000, v3
	s_cbranch_execz .LBB118_678
; %bb.673:
	v_cmp_lt_u32_e32 vcc_lo, 0x3bffffff, v3
	s_mov_b32 s24, 0
                                        ; implicit-def: $vgpr3
	s_and_saveexec_b32 s25, vcc_lo
	s_delay_alu instid0(SALU_CYCLE_1)
	s_xor_b32 s25, exec_lo, s25
	s_cbranch_execz .LBB118_781
; %bb.674:
	v_bfe_u32 v3, v2, 20, 1
	s_mov_b32 s24, exec_lo
	s_delay_alu instid0(VALU_DEP_1) | instskip(NEXT) | instid1(VALU_DEP_1)
	v_add3_u32 v3, v2, v3, 0x487ffff
	v_lshrrev_b32_e32 v3, 20, v3
	s_or_saveexec_b32 s25, s25
                                        ; implicit-def: $sgpr27
	s_delay_alu instid0(SALU_CYCLE_1)
	s_xor_b32 exec_lo, exec_lo, s25
	s_cbranch_execnz .LBB118_782
.LBB118_675:
	s_or_b32 exec_lo, exec_lo, s25
	v_mov_b32_e32 v7, s27
	s_and_saveexec_b32 s25, s24
.LBB118_676:
	v_lshrrev_b32_e32 v2, 24, v2
	s_delay_alu instid0(VALU_DEP_1)
	v_and_or_b32 v7, 0x80, v2, v3
.LBB118_677:
	s_or_b32 exec_lo, exec_lo, s25
.LBB118_678:
	s_delay_alu instid0(SALU_CYCLE_1)
	s_or_b32 exec_lo, exec_lo, s1
	global_store_b8 v[4:5], v7, off
.LBB118_679:
	s_mov_b32 s1, -1
.LBB118_680:
	s_mov_b32 s24, 0
.LBB118_681:
	s_delay_alu instid0(SALU_CYCLE_1)
	s_and_b32 vcc_lo, exec_lo, s24
	s_cbranch_vccz .LBB118_722
; %bb.682:
	v_cmp_lt_i16_e32 vcc_lo, 22, v6
	s_mov_b32 s24, -1
	s_cbranch_vccz .LBB118_714
; %bb.683:
	v_cmp_gt_i16_e32 vcc_lo, 24, v6
	s_mov_b32 s1, -1
	s_cbranch_vccnz .LBB118_703
; %bb.684:
	v_cmp_lt_i16_e32 vcc_lo, 24, v6
	s_cbranch_vccz .LBB118_692
; %bb.685:
	v_cvt_f32_f64_e32 v2, v[0:1]
	v_mov_b32_e32 v7, 0x80
	s_mov_b32 s1, exec_lo
	s_delay_alu instid0(VALU_DEP_2) | instskip(NEXT) | instid1(VALU_DEP_1)
	v_and_b32_e32 v3, 0x7fffffff, v2
	v_cmpx_gt_u32_e32 0x47800000, v3
	s_cbranch_execz .LBB118_691
; %bb.686:
	v_cmp_lt_u32_e32 vcc_lo, 0x37ffffff, v3
	s_mov_b32 s24, 0
                                        ; implicit-def: $vgpr3
	s_and_saveexec_b32 s25, vcc_lo
	s_delay_alu instid0(SALU_CYCLE_1)
	s_xor_b32 s25, exec_lo, s25
	s_cbranch_execz .LBB118_913
; %bb.687:
	v_bfe_u32 v3, v2, 21, 1
	s_mov_b32 s24, exec_lo
	s_delay_alu instid0(VALU_DEP_1) | instskip(NEXT) | instid1(VALU_DEP_1)
	v_add3_u32 v3, v2, v3, 0x88fffff
	v_lshrrev_b32_e32 v3, 21, v3
	s_or_saveexec_b32 s25, s25
                                        ; implicit-def: $sgpr27
	s_delay_alu instid0(SALU_CYCLE_1)
	s_xor_b32 exec_lo, exec_lo, s25
	s_cbranch_execnz .LBB118_914
.LBB118_688:
	s_or_b32 exec_lo, exec_lo, s25
	v_mov_b32_e32 v7, s27
	s_and_saveexec_b32 s25, s24
.LBB118_689:
	v_lshrrev_b32_e32 v2, 24, v2
	s_delay_alu instid0(VALU_DEP_1)
	v_and_or_b32 v7, 0x80, v2, v3
.LBB118_690:
	s_or_b32 exec_lo, exec_lo, s25
.LBB118_691:
	s_delay_alu instid0(SALU_CYCLE_1)
	s_or_b32 exec_lo, exec_lo, s1
	s_mov_b32 s1, 0
	global_store_b8 v[4:5], v7, off
.LBB118_692:
	s_and_b32 vcc_lo, exec_lo, s1
	s_cbranch_vccz .LBB118_702
; %bb.693:
	v_cvt_f32_f64_e32 v2, v[0:1]
	s_mov_b32 s1, exec_lo
                                        ; implicit-def: $vgpr3
	s_delay_alu instid0(VALU_DEP_1) | instskip(NEXT) | instid1(VALU_DEP_1)
	v_and_b32_e32 v7, 0x7fffffff, v2
	v_cmpx_gt_u32_e32 0x43f00000, v7
	s_xor_b32 s1, exec_lo, s1
	s_cbranch_execz .LBB118_699
; %bb.694:
	s_mov_b32 s24, exec_lo
                                        ; implicit-def: $vgpr3
	v_cmpx_lt_u32_e32 0x3c7fffff, v7
	s_xor_b32 s24, exec_lo, s24
; %bb.695:
	v_bfe_u32 v3, v2, 20, 1
	s_delay_alu instid0(VALU_DEP_1) | instskip(NEXT) | instid1(VALU_DEP_1)
	v_add3_u32 v3, v2, v3, 0x407ffff
	v_and_b32_e32 v7, 0xff00000, v3
	v_lshrrev_b32_e32 v3, 20, v3
	s_delay_alu instid0(VALU_DEP_2) | instskip(NEXT) | instid1(VALU_DEP_2)
	v_cmp_ne_u32_e32 vcc_lo, 0x7f00000, v7
	v_cndmask_b32_e32 v3, 0x7e, v3, vcc_lo
; %bb.696:
	s_and_not1_saveexec_b32 s24, s24
; %bb.697:
	v_add_f32_e64 v3, 0x46800000, |v2|
; %bb.698:
	s_or_b32 exec_lo, exec_lo, s24
                                        ; implicit-def: $vgpr7
.LBB118_699:
	s_and_not1_saveexec_b32 s1, s1
; %bb.700:
	v_mov_b32_e32 v3, 0x7f
	v_cmp_lt_u32_e32 vcc_lo, 0x7f800000, v7
	s_delay_alu instid0(VALU_DEP_2)
	v_cndmask_b32_e32 v3, 0x7e, v3, vcc_lo
; %bb.701:
	s_or_b32 exec_lo, exec_lo, s1
	v_lshrrev_b32_e32 v2, 24, v2
	s_delay_alu instid0(VALU_DEP_1)
	v_and_or_b32 v2, 0x80, v2, v3
	global_store_b8 v[4:5], v2, off
.LBB118_702:
	s_mov_b32 s1, 0
.LBB118_703:
	s_delay_alu instid0(SALU_CYCLE_1)
	s_and_not1_b32 vcc_lo, exec_lo, s1
	s_cbranch_vccnz .LBB118_713
; %bb.704:
	s_delay_alu instid0(VALU_DEP_4) | instskip(SKIP_1) | instid1(VALU_DEP_1)
	v_cvt_f32_f64_e32 v2, v[0:1]
	s_mov_b32 s1, exec_lo
                                        ; implicit-def: $vgpr3
	v_and_b32_e32 v7, 0x7fffffff, v2
	s_delay_alu instid0(VALU_DEP_1)
	v_cmpx_gt_u32_e32 0x47800000, v7
	s_xor_b32 s1, exec_lo, s1
	s_cbranch_execz .LBB118_710
; %bb.705:
	s_mov_b32 s24, exec_lo
                                        ; implicit-def: $vgpr3
	v_cmpx_lt_u32_e32 0x387fffff, v7
	s_xor_b32 s24, exec_lo, s24
; %bb.706:
	v_bfe_u32 v3, v2, 21, 1
	s_delay_alu instid0(VALU_DEP_1) | instskip(NEXT) | instid1(VALU_DEP_1)
	v_add3_u32 v3, v2, v3, 0x80fffff
	v_lshrrev_b32_e32 v3, 21, v3
; %bb.707:
	s_and_not1_saveexec_b32 s24, s24
; %bb.708:
	v_add_f32_e64 v3, 0x43000000, |v2|
; %bb.709:
	s_or_b32 exec_lo, exec_lo, s24
                                        ; implicit-def: $vgpr7
.LBB118_710:
	s_and_not1_saveexec_b32 s1, s1
; %bb.711:
	v_mov_b32_e32 v3, 0x7f
	v_cmp_lt_u32_e32 vcc_lo, 0x7f800000, v7
	s_delay_alu instid0(VALU_DEP_2)
	v_cndmask_b32_e32 v3, 0x7c, v3, vcc_lo
; %bb.712:
	s_or_b32 exec_lo, exec_lo, s1
	v_lshrrev_b32_e32 v2, 24, v2
	s_delay_alu instid0(VALU_DEP_1)
	v_and_or_b32 v2, 0x80, v2, v3
	global_store_b8 v[4:5], v2, off
.LBB118_713:
	s_mov_b32 s24, 0
	s_mov_b32 s1, -1
.LBB118_714:
	s_and_not1_b32 vcc_lo, exec_lo, s24
	s_cbranch_vccnz .LBB118_722
; %bb.715:
	v_cmp_lt_i16_e32 vcc_lo, 14, v6
	s_mov_b32 s24, -1
	s_cbranch_vccz .LBB118_719
; %bb.716:
	v_cmp_eq_u16_e32 vcc_lo, 15, v6
	s_mov_b32 s0, -1
	s_cbranch_vccz .LBB118_718
; %bb.717:
	v_cvt_f32_f64_e32 v2, v[0:1]
	s_mov_b32 s1, -1
	s_mov_b32 s0, 0
	s_delay_alu instid0(VALU_DEP_1) | instskip(SKIP_1) | instid1(VALU_DEP_2)
	v_bfe_u32 v3, v2, 16, 1
	v_cmp_o_f32_e32 vcc_lo, v2, v2
	v_add3_u32 v3, v2, v3, 0x7fff
	s_delay_alu instid0(VALU_DEP_1) | instskip(NEXT) | instid1(VALU_DEP_1)
	v_lshrrev_b32_e32 v3, 16, v3
	v_cndmask_b32_e32 v2, 0x7fc0, v3, vcc_lo
	global_store_b16 v[4:5], v2, off
.LBB118_718:
	s_mov_b32 s24, 0
.LBB118_719:
	s_delay_alu instid0(SALU_CYCLE_1)
	s_and_b32 vcc_lo, exec_lo, s24
	s_cbranch_vccz .LBB118_722
; %bb.720:
	v_cmp_eq_u16_e32 vcc_lo, 11, v6
	s_mov_b32 s0, -1
	s_cbranch_vccz .LBB118_722
; %bb.721:
	v_cmp_neq_f64_e32 vcc_lo, 0, v[0:1]
	s_mov_b32 s1, -1
	s_mov_b32 s0, 0
	v_cndmask_b32_e64 v2, 0, 1, vcc_lo
	global_store_b8 v[4:5], v2, off
.LBB118_722:
	s_mov_b32 s24, 0
.LBB118_723:
	s_delay_alu instid0(SALU_CYCLE_1)
	s_and_b32 vcc_lo, exec_lo, s24
	s_cbranch_vccz .LBB118_762
; %bb.724:
	v_cmp_gt_i16_e32 vcc_lo, 5, v6
	s_mov_b32 s1, -1
	s_cbranch_vccnz .LBB118_745
; %bb.725:
	v_cmp_gt_i16_e32 vcc_lo, 8, v6
	s_cbranch_vccnz .LBB118_735
; %bb.726:
	v_cmp_gt_i16_e32 vcc_lo, 9, v6
	s_cbranch_vccnz .LBB118_732
; %bb.727:
	v_cmp_lt_i16_e32 vcc_lo, 9, v6
	s_cbranch_vccz .LBB118_729
; %bb.728:
	v_mov_b32_e32 v2, 0
	s_mov_b32 s1, 0
	s_delay_alu instid0(VALU_DEP_1)
	v_mov_b32_e32 v3, v2
	global_store_b128 v[4:5], v[0:3], off
.LBB118_729:
	s_and_not1_b32 vcc_lo, exec_lo, s1
	s_cbranch_vccnz .LBB118_731
; %bb.730:
	v_cvt_f32_f64_e32 v2, v[0:1]
	v_mov_b32_e32 v3, 0
	global_store_b64 v[4:5], v[2:3], off
.LBB118_731:
	s_mov_b32 s1, 0
.LBB118_732:
	s_delay_alu instid0(SALU_CYCLE_1)
	s_and_not1_b32 vcc_lo, exec_lo, s1
	s_cbranch_vccnz .LBB118_734
; %bb.733:
	s_delay_alu instid0(VALU_DEP_4) | instskip(NEXT) | instid1(VALU_DEP_1)
	v_cvt_f32_f64_e32 v2, v[0:1]
	v_cvt_f16_f32_e32 v2, v2
	s_delay_alu instid0(VALU_DEP_1)
	v_and_b32_e32 v2, 0xffff, v2
	global_store_b32 v[4:5], v2, off
.LBB118_734:
	s_mov_b32 s1, 0
.LBB118_735:
	s_delay_alu instid0(SALU_CYCLE_1)
	s_and_not1_b32 vcc_lo, exec_lo, s1
	s_cbranch_vccnz .LBB118_744
; %bb.736:
	v_cmp_gt_i16_e32 vcc_lo, 6, v6
	s_mov_b32 s1, -1
	s_cbranch_vccnz .LBB118_742
; %bb.737:
	v_cmp_lt_i16_e32 vcc_lo, 6, v6
	s_cbranch_vccz .LBB118_739
; %bb.738:
	s_mov_b32 s1, 0
	global_store_b64 v[4:5], v[0:1], off
.LBB118_739:
	s_and_not1_b32 vcc_lo, exec_lo, s1
	s_cbranch_vccnz .LBB118_741
; %bb.740:
	v_cvt_f32_f64_e32 v2, v[0:1]
	global_store_b32 v[4:5], v2, off
.LBB118_741:
	s_mov_b32 s1, 0
.LBB118_742:
	s_delay_alu instid0(SALU_CYCLE_1)
	s_and_not1_b32 vcc_lo, exec_lo, s1
	s_cbranch_vccnz .LBB118_744
; %bb.743:
	s_delay_alu instid0(VALU_DEP_4) | instskip(NEXT) | instid1(VALU_DEP_1)
	v_cvt_f32_f64_e32 v2, v[0:1]
	v_cvt_f16_f32_e32 v2, v2
	global_store_b16 v[4:5], v2, off
.LBB118_744:
	s_mov_b32 s1, 0
.LBB118_745:
	s_delay_alu instid0(SALU_CYCLE_1)
	s_and_not1_b32 vcc_lo, exec_lo, s1
	s_cbranch_vccnz .LBB118_761
; %bb.746:
	v_cmp_gt_i16_e32 vcc_lo, 2, v6
	s_mov_b32 s1, -1
	s_cbranch_vccnz .LBB118_756
; %bb.747:
	v_cmp_gt_i16_e32 vcc_lo, 3, v6
	s_cbranch_vccnz .LBB118_753
; %bb.748:
	v_cmp_lt_i16_e32 vcc_lo, 3, v6
	s_cbranch_vccz .LBB118_750
; %bb.749:
	v_trunc_f64_e32 v[2:3], v[0:1]
	s_mov_b32 s1, 0
	s_delay_alu instid0(VALU_DEP_1) | instskip(NEXT) | instid1(VALU_DEP_1)
	v_ldexp_f64 v[7:8], v[2:3], 0xffffffe0
	v_floor_f64_e32 v[7:8], v[7:8]
	s_delay_alu instid0(VALU_DEP_1) | instskip(SKIP_1) | instid1(VALU_DEP_2)
	v_fma_f64 v[2:3], 0xc1f00000, v[7:8], v[2:3]
	v_cvt_i32_f64_e32 v8, v[7:8]
	v_cvt_u32_f64_e32 v7, v[2:3]
	global_store_b64 v[4:5], v[7:8], off
.LBB118_750:
	s_and_not1_b32 vcc_lo, exec_lo, s1
	s_cbranch_vccnz .LBB118_752
; %bb.751:
	v_cvt_i32_f64_e32 v2, v[0:1]
	global_store_b32 v[4:5], v2, off
.LBB118_752:
	s_mov_b32 s1, 0
.LBB118_753:
	s_delay_alu instid0(SALU_CYCLE_1)
	s_and_not1_b32 vcc_lo, exec_lo, s1
	s_cbranch_vccnz .LBB118_755
; %bb.754:
	s_delay_alu instid0(VALU_DEP_4)
	v_cvt_i32_f64_e32 v2, v[0:1]
	global_store_b16 v[4:5], v2, off
.LBB118_755:
	s_mov_b32 s1, 0
.LBB118_756:
	s_delay_alu instid0(SALU_CYCLE_1)
	s_and_not1_b32 vcc_lo, exec_lo, s1
	s_cbranch_vccnz .LBB118_761
; %bb.757:
	v_cmp_lt_i16_e32 vcc_lo, 0, v6
	s_mov_b32 s1, -1
	s_cbranch_vccz .LBB118_759
; %bb.758:
	s_delay_alu instid0(VALU_DEP_4)
	v_cvt_i32_f64_e32 v2, v[0:1]
	s_mov_b32 s1, 0
	global_store_b8 v[4:5], v2, off
.LBB118_759:
	s_and_not1_b32 vcc_lo, exec_lo, s1
	s_cbranch_vccnz .LBB118_761
; %bb.760:
	s_delay_alu instid0(VALU_DEP_4) | instskip(NEXT) | instid1(VALU_DEP_1)
	v_trunc_f64_e32 v[0:1], v[0:1]
	v_ldexp_f64 v[2:3], v[0:1], 0xffffffe0
	s_delay_alu instid0(VALU_DEP_1) | instskip(NEXT) | instid1(VALU_DEP_1)
	v_floor_f64_e32 v[2:3], v[2:3]
	v_fma_f64 v[0:1], 0xc1f00000, v[2:3], v[0:1]
	s_delay_alu instid0(VALU_DEP_1)
	v_cvt_u32_f64_e32 v0, v[0:1]
	global_store_b8 v[4:5], v0, off
.LBB118_761:
	s_mov_b32 s1, -1
.LBB118_762:
	s_delay_alu instid0(SALU_CYCLE_1)
	s_and_not1_b32 vcc_lo, exec_lo, s1
	s_mov_b32 s1, 0
	s_cbranch_vccnz .LBB118_764
; %bb.763:
	v_add_nc_u32_e32 v10, 0x80, v10
	s_mov_b32 s27, -1
	s_branch .LBB118_766
.LBB118_764:
	s_mov_b32 s27, 0
.LBB118_765:
                                        ; implicit-def: $vgpr10
.LBB118_766:
	s_and_not1_b32 s24, s18, exec_lo
	s_and_b32 s0, s0, exec_lo
	s_and_b32 s1, s1, exec_lo
	s_or_b32 s24, s24, s0
	s_and_not1_b32 s0, s20, exec_lo
	s_and_not1_b32 s28, s21, exec_lo
	s_and_b32 s23, s23, exec_lo
	s_or_b32 s25, s0, s1
	s_or_b32 s23, s28, s23
	s_or_not1_b32 s28, s27, exec_lo
.LBB118_767:
	s_or_b32 exec_lo, exec_lo, s26
	s_mov_b32 s1, 0
	s_mov_b32 s27, 0
	;; [unrolled: 1-line block ×3, first 2 shown]
                                        ; implicit-def: $vgpr4
                                        ; implicit-def: $vgpr0_vgpr1
                                        ; implicit-def: $vgpr2_vgpr3
	s_and_saveexec_b32 s26, s28
	s_cbranch_execz .LBB118_1240
; %bb.768:
	s_mov_b32 s33, -1
	s_mov_b32 s28, s23
	s_mov_b32 s30, s25
	;; [unrolled: 1-line block ×3, first 2 shown]
	s_mov_b32 s27, exec_lo
	v_cmpx_gt_i32_e64 s19, v10
	s_cbranch_execz .LBB118_1156
; %bb.769:
	s_waitcnt vmcnt(0)
	v_mul_lo_u32 v0, v10, s9
	v_and_b32_e64 v4, 0xff, s16
	s_delay_alu instid0(VALU_DEP_1) | instskip(NEXT) | instid1(VALU_DEP_3)
	v_cmp_gt_i16_e32 vcc_lo, 11, v4
	v_ashrrev_i32_e32 v1, 31, v0
	v_add_co_u32 v2, s0, s6, v0
	s_delay_alu instid0(VALU_DEP_1)
	v_add_co_ci_u32_e64 v3, s0, s7, v1, s0
	s_cbranch_vccnz .LBB118_776
; %bb.770:
	v_cmp_lt_i16_e32 vcc_lo, 25, v4
	s_cbranch_vccz .LBB118_777
; %bb.771:
	v_cmp_lt_i16_e32 vcc_lo, 28, v4
	s_cbranch_vccz .LBB118_778
	;; [unrolled: 3-line block ×4, first 2 shown]
; %bb.774:
	v_cmp_eq_u16_e32 vcc_lo, 46, v4
	s_cbranch_vccz .LBB118_783
; %bb.775:
	global_load_b32 v0, v[2:3], off
	s_mov_b32 s0, -1
	s_mov_b32 s28, 0
	s_waitcnt vmcnt(0)
	v_lshlrev_b32_e32 v0, 16, v0
	s_delay_alu instid0(VALU_DEP_1)
	v_cvt_f64_f32_e32 v[0:1], v0
	s_branch .LBB118_785
.LBB118_776:
	s_mov_b32 s1, -1
	s_mov_b32 s0, 0
	s_mov_b32 s28, s23
                                        ; implicit-def: $vgpr0_vgpr1
	s_branch .LBB118_850
.LBB118_777:
	s_mov_b32 s1, -1
	s_mov_b32 s0, 0
	s_mov_b32 s28, s23
                                        ; implicit-def: $vgpr0_vgpr1
	s_branch .LBB118_816
.LBB118_778:
	s_mov_b32 s1, -1
	s_mov_b32 s0, 0
	s_mov_b32 s28, s23
                                        ; implicit-def: $vgpr0_vgpr1
	s_branch .LBB118_795
.LBB118_779:
	s_mov_b32 s1, -1
	s_mov_b32 s0, 0
	s_mov_b32 s28, s23
                                        ; implicit-def: $vgpr0_vgpr1
	s_branch .LBB118_790
.LBB118_780:
	s_mov_b32 s1, -1
	s_mov_b32 s0, 0
	s_mov_b32 s28, s23
	s_branch .LBB118_784
.LBB118_781:
	s_or_saveexec_b32 s25, s25
                                        ; implicit-def: $sgpr27
	s_delay_alu instid0(SALU_CYCLE_1)
	s_xor_b32 exec_lo, exec_lo, s25
	s_cbranch_execz .LBB118_675
.LBB118_782:
	v_add_f32_e64 v3, 0x46000000, |v2|
	s_and_not1_b32 s24, s24, exec_lo
	s_mov_b32 s27, 0
	s_delay_alu instid0(VALU_DEP_1) | instskip(NEXT) | instid1(VALU_DEP_1)
	v_and_b32_e32 v3, 0xff, v3
	v_cmp_ne_u32_e32 vcc_lo, 0, v3
	s_and_b32 s28, vcc_lo, exec_lo
	s_delay_alu instid0(SALU_CYCLE_1)
	s_or_b32 s24, s24, s28
	s_or_b32 exec_lo, exec_lo, s25
	v_mov_b32_e32 v7, s27
	s_and_saveexec_b32 s25, s24
	s_cbranch_execnz .LBB118_676
	s_branch .LBB118_677
.LBB118_783:
	s_mov_b32 s28, -1
	s_mov_b32 s0, 0
.LBB118_784:
                                        ; implicit-def: $vgpr0_vgpr1
.LBB118_785:
	s_and_b32 vcc_lo, exec_lo, s1
	s_cbranch_vccz .LBB118_789
; %bb.786:
	v_cmp_eq_u16_e32 vcc_lo, 44, v4
	s_cbranch_vccz .LBB118_788
; %bb.787:
	global_load_u8 v5, v[2:3], off
	s_mov_b32 s28, 0
	s_mov_b32 s0, -1
	s_waitcnt vmcnt(0)
	v_lshlrev_b32_e32 v0, 23, v5
	v_cmp_ne_u32_e32 vcc_lo, 0xff, v5
	s_delay_alu instid0(VALU_DEP_2) | instskip(NEXT) | instid1(VALU_DEP_1)
	v_cvt_f64_f32_e32 v[0:1], v0
	v_cndmask_b32_e32 v0, 0x20000000, v0, vcc_lo
	s_delay_alu instid0(VALU_DEP_2) | instskip(SKIP_1) | instid1(VALU_DEP_2)
	v_cndmask_b32_e32 v1, 0x7ff80000, v1, vcc_lo
	v_cmp_ne_u32_e32 vcc_lo, 0, v5
	v_cndmask_b32_e32 v1, 0x38000000, v1, vcc_lo
	s_delay_alu instid0(VALU_DEP_4)
	v_cndmask_b32_e32 v0, 0, v0, vcc_lo
	s_branch .LBB118_789
.LBB118_788:
	s_mov_b32 s28, -1
                                        ; implicit-def: $vgpr0_vgpr1
.LBB118_789:
	s_mov_b32 s1, 0
.LBB118_790:
	s_delay_alu instid0(SALU_CYCLE_1)
	s_and_b32 vcc_lo, exec_lo, s1
	s_cbranch_vccz .LBB118_794
; %bb.791:
	v_cmp_eq_u16_e32 vcc_lo, 29, v4
	s_cbranch_vccz .LBB118_793
; %bb.792:
	global_load_b64 v[0:1], v[2:3], off
	s_mov_b32 s0, -1
	s_mov_b32 s28, 0
	s_mov_b32 s1, 0
	s_waitcnt vmcnt(0)
	v_cvt_f64_u32_e32 v[5:6], v1
	v_cvt_f64_u32_e32 v[0:1], v0
	s_delay_alu instid0(VALU_DEP_2) | instskip(NEXT) | instid1(VALU_DEP_1)
	v_ldexp_f64 v[5:6], v[5:6], 32
	v_add_f64 v[0:1], v[5:6], v[0:1]
	s_branch .LBB118_795
.LBB118_793:
	s_mov_b32 s28, -1
                                        ; implicit-def: $vgpr0_vgpr1
.LBB118_794:
	s_mov_b32 s1, 0
.LBB118_795:
	s_delay_alu instid0(SALU_CYCLE_1)
	s_and_b32 vcc_lo, exec_lo, s1
	s_cbranch_vccz .LBB118_815
; %bb.796:
	v_cmp_gt_i16_e32 vcc_lo, 27, v4
	s_cbranch_vccnz .LBB118_799
; %bb.797:
	v_cmp_lt_i16_e32 vcc_lo, 27, v4
	s_cbranch_vccz .LBB118_800
; %bb.798:
	global_load_b32 v0, v[2:3], off
	s_mov_b32 s0, 0
	s_waitcnt vmcnt(0)
	v_cvt_f64_u32_e32 v[0:1], v0
	s_branch .LBB118_801
.LBB118_799:
	s_mov_b32 s0, -1
                                        ; implicit-def: $vgpr0_vgpr1
	s_branch .LBB118_804
.LBB118_800:
	s_mov_b32 s0, -1
                                        ; implicit-def: $vgpr0_vgpr1
.LBB118_801:
	s_delay_alu instid0(SALU_CYCLE_1)
	s_and_not1_b32 vcc_lo, exec_lo, s0
	s_cbranch_vccnz .LBB118_803
; %bb.802:
	global_load_u16 v0, v[2:3], off
	s_waitcnt vmcnt(0)
	v_cvt_f64_u32_e32 v[0:1], v0
.LBB118_803:
	s_mov_b32 s0, 0
.LBB118_804:
	s_delay_alu instid0(SALU_CYCLE_1)
	s_and_not1_b32 vcc_lo, exec_lo, s0
	s_cbranch_vccnz .LBB118_814
; %bb.805:
	global_load_u8 v5, v[2:3], off
	s_mov_b32 s29, 0
	s_mov_b32 s30, exec_lo
                                        ; implicit-def: $sgpr0_sgpr1
	s_waitcnt vmcnt(0)
	v_cmpx_lt_i16_e32 0x7f, v5
	s_xor_b32 s30, exec_lo, s30
	s_cbranch_execz .LBB118_809
; %bb.806:
	s_mov_b32 s31, -1
	s_mov_b32 s29, exec_lo
                                        ; implicit-def: $sgpr0_sgpr1
	v_cmpx_eq_u16_e32 0x80, v5
; %bb.807:
	s_mov_b32 s1, 0x7ff80000
	s_brev_b32 s0, 4
	s_xor_b32 s31, exec_lo, -1
; %bb.808:
	s_or_b32 exec_lo, exec_lo, s29
	s_delay_alu instid0(SALU_CYCLE_1)
	s_and_b32 s29, s31, exec_lo
.LBB118_809:
	s_or_saveexec_b32 s30, s30
	v_dual_mov_b32 v0, s0 :: v_dual_mov_b32 v1, s1
	s_xor_b32 exec_lo, exec_lo, s30
; %bb.810:
	v_cmp_ne_u16_e32 vcc_lo, 0, v5
	v_mov_b32_e32 v0, 0
	v_mov_b32_e32 v1, 0
	s_and_not1_b32 s0, s29, exec_lo
	s_and_b32 s1, vcc_lo, exec_lo
	s_delay_alu instid0(SALU_CYCLE_1)
	s_or_b32 s29, s0, s1
; %bb.811:
	s_or_b32 exec_lo, exec_lo, s30
	s_and_saveexec_b32 s0, s29
	s_cbranch_execz .LBB118_813
; %bb.812:
	v_and_b32_e32 v0, 0xffff, v5
	v_lshlrev_b32_e32 v5, 24, v5
	s_delay_alu instid0(VALU_DEP_2) | instskip(NEXT) | instid1(VALU_DEP_2)
	v_and_b32_e32 v1, 7, v0
	v_and_b32_e32 v5, 0x80000000, v5
	s_delay_alu instid0(VALU_DEP_2) | instskip(NEXT) | instid1(VALU_DEP_1)
	v_clz_i32_u32_e32 v6, v1
	v_min_u32_e32 v6, 32, v6
	s_delay_alu instid0(VALU_DEP_1) | instskip(SKIP_1) | instid1(VALU_DEP_2)
	v_subrev_nc_u32_e32 v7, 28, v6
	v_sub_nc_u32_e32 v6, 29, v6
	v_lshlrev_b32_e32 v7, v7, v0
	v_bfe_u32 v0, v0, 3, 4
	s_delay_alu instid0(VALU_DEP_2) | instskip(NEXT) | instid1(VALU_DEP_2)
	v_and_b32_e32 v7, 7, v7
	v_cmp_eq_u32_e32 vcc_lo, 0, v0
	s_delay_alu instid0(VALU_DEP_2) | instskip(NEXT) | instid1(VALU_DEP_1)
	v_dual_cndmask_b32 v0, v0, v6 :: v_dual_cndmask_b32 v1, v1, v7
	v_lshl_add_u32 v0, v0, 23, 0x3b800000
	s_delay_alu instid0(VALU_DEP_2) | instskip(NEXT) | instid1(VALU_DEP_1)
	v_lshlrev_b32_e32 v1, 20, v1
	v_or3_b32 v0, v5, v0, v1
	s_delay_alu instid0(VALU_DEP_1)
	v_cvt_f64_f32_e32 v[0:1], v0
.LBB118_813:
	s_or_b32 exec_lo, exec_lo, s0
.LBB118_814:
	s_mov_b32 s0, -1
.LBB118_815:
	s_mov_b32 s1, 0
.LBB118_816:
	s_delay_alu instid0(SALU_CYCLE_1)
	s_and_b32 vcc_lo, exec_lo, s1
	s_cbranch_vccz .LBB118_849
; %bb.817:
	v_cmp_lt_i16_e32 vcc_lo, 22, v4
	s_cbranch_vccz .LBB118_829
; %bb.818:
	v_cmp_gt_i16_e32 vcc_lo, 24, v4
	s_cbranch_vccnz .LBB118_830
; %bb.819:
	v_cmp_lt_i16_e32 vcc_lo, 24, v4
	s_cbranch_vccz .LBB118_831
; %bb.820:
	global_load_u8 v5, v[2:3], off
	s_mov_b32 s29, 0
	s_mov_b32 s30, exec_lo
                                        ; implicit-def: $sgpr0_sgpr1
	s_waitcnt vmcnt(0)
	v_cmpx_lt_i16_e32 0x7f, v5
	s_xor_b32 s30, exec_lo, s30
	s_cbranch_execz .LBB118_824
; %bb.821:
	s_mov_b32 s31, -1
	s_mov_b32 s29, exec_lo
                                        ; implicit-def: $sgpr0_sgpr1
	v_cmpx_eq_u16_e32 0x80, v5
; %bb.822:
	s_mov_b32 s1, 0x7ff80000
	s_brev_b32 s0, 4
	s_xor_b32 s31, exec_lo, -1
; %bb.823:
	s_or_b32 exec_lo, exec_lo, s29
	s_delay_alu instid0(SALU_CYCLE_1)
	s_and_b32 s29, s31, exec_lo
.LBB118_824:
	s_or_saveexec_b32 s30, s30
	v_dual_mov_b32 v0, s0 :: v_dual_mov_b32 v1, s1
	s_xor_b32 exec_lo, exec_lo, s30
; %bb.825:
	v_cmp_ne_u16_e32 vcc_lo, 0, v5
	v_mov_b32_e32 v0, 0
	v_mov_b32_e32 v1, 0
	s_and_not1_b32 s0, s29, exec_lo
	s_and_b32 s1, vcc_lo, exec_lo
	s_delay_alu instid0(SALU_CYCLE_1)
	s_or_b32 s29, s0, s1
; %bb.826:
	s_or_b32 exec_lo, exec_lo, s30
	s_and_saveexec_b32 s0, s29
	s_cbranch_execz .LBB118_828
; %bb.827:
	v_and_b32_e32 v0, 0xffff, v5
	v_lshlrev_b32_e32 v5, 24, v5
	s_delay_alu instid0(VALU_DEP_2) | instskip(NEXT) | instid1(VALU_DEP_2)
	v_and_b32_e32 v1, 3, v0
	v_and_b32_e32 v5, 0x80000000, v5
	s_delay_alu instid0(VALU_DEP_2) | instskip(NEXT) | instid1(VALU_DEP_1)
	v_clz_i32_u32_e32 v6, v1
	v_min_u32_e32 v6, 32, v6
	s_delay_alu instid0(VALU_DEP_1) | instskip(SKIP_1) | instid1(VALU_DEP_2)
	v_subrev_nc_u32_e32 v7, 29, v6
	v_sub_nc_u32_e32 v6, 30, v6
	v_lshlrev_b32_e32 v7, v7, v0
	v_bfe_u32 v0, v0, 2, 5
	s_delay_alu instid0(VALU_DEP_2) | instskip(NEXT) | instid1(VALU_DEP_2)
	v_and_b32_e32 v7, 3, v7
	v_cmp_eq_u32_e32 vcc_lo, 0, v0
	s_delay_alu instid0(VALU_DEP_2) | instskip(NEXT) | instid1(VALU_DEP_1)
	v_dual_cndmask_b32 v0, v0, v6 :: v_dual_cndmask_b32 v1, v1, v7
	v_lshl_add_u32 v0, v0, 23, 0x37800000
	s_delay_alu instid0(VALU_DEP_2) | instskip(NEXT) | instid1(VALU_DEP_1)
	v_lshlrev_b32_e32 v1, 21, v1
	v_or3_b32 v0, v5, v0, v1
	s_delay_alu instid0(VALU_DEP_1)
	v_cvt_f64_f32_e32 v[0:1], v0
.LBB118_828:
	s_or_b32 exec_lo, exec_lo, s0
	s_mov_b32 s0, 0
	s_branch .LBB118_832
.LBB118_829:
	s_mov_b32 s1, -1
                                        ; implicit-def: $vgpr0_vgpr1
	s_branch .LBB118_838
.LBB118_830:
	s_mov_b32 s0, -1
                                        ; implicit-def: $vgpr0_vgpr1
	s_branch .LBB118_835
.LBB118_831:
	s_mov_b32 s0, -1
                                        ; implicit-def: $vgpr0_vgpr1
.LBB118_832:
	s_delay_alu instid0(SALU_CYCLE_1)
	s_and_b32 vcc_lo, exec_lo, s0
	s_cbranch_vccz .LBB118_834
; %bb.833:
	global_load_u8 v0, v[2:3], off
	s_waitcnt vmcnt(0)
	v_lshlrev_b32_e32 v0, 24, v0
	s_delay_alu instid0(VALU_DEP_1) | instskip(NEXT) | instid1(VALU_DEP_1)
	v_and_b32_e32 v1, 0x7f000000, v0
	v_clz_i32_u32_e32 v5, v1
	v_add_nc_u32_e32 v7, 0x1000000, v1
	v_cmp_ne_u32_e32 vcc_lo, 0, v1
	s_delay_alu instid0(VALU_DEP_3) | instskip(NEXT) | instid1(VALU_DEP_1)
	v_min_u32_e32 v5, 32, v5
	v_sub_nc_u32_e64 v5, v5, 4 clamp
	s_delay_alu instid0(VALU_DEP_1) | instskip(SKIP_1) | instid1(VALU_DEP_2)
	v_lshlrev_b32_e32 v6, v5, v1
	v_lshlrev_b32_e32 v5, 23, v5
	v_lshrrev_b32_e32 v6, 4, v6
	s_delay_alu instid0(VALU_DEP_1) | instskip(SKIP_1) | instid1(VALU_DEP_2)
	v_sub_nc_u32_e32 v5, v6, v5
	v_ashrrev_i32_e32 v6, 8, v7
	v_add_nc_u32_e32 v5, 0x3c000000, v5
	s_delay_alu instid0(VALU_DEP_1) | instskip(NEXT) | instid1(VALU_DEP_1)
	v_and_or_b32 v5, 0x7f800000, v6, v5
	v_cndmask_b32_e32 v1, 0, v5, vcc_lo
	s_delay_alu instid0(VALU_DEP_1) | instskip(NEXT) | instid1(VALU_DEP_1)
	v_and_or_b32 v0, 0x80000000, v0, v1
	v_cvt_f64_f32_e32 v[0:1], v0
.LBB118_834:
	s_mov_b32 s0, 0
.LBB118_835:
	s_delay_alu instid0(SALU_CYCLE_1)
	s_and_not1_b32 vcc_lo, exec_lo, s0
	s_cbranch_vccnz .LBB118_837
; %bb.836:
	global_load_u8 v0, v[2:3], off
	s_waitcnt vmcnt(0)
	v_lshlrev_b32_e32 v1, 25, v0
	v_lshlrev_b16 v0, 8, v0
	s_delay_alu instid0(VALU_DEP_1) | instskip(SKIP_1) | instid1(VALU_DEP_2)
	v_and_or_b32 v6, 0x7f00, v0, 0.5
	v_bfe_i32 v0, v0, 0, 16
	v_add_f32_e32 v6, -0.5, v6
	v_lshrrev_b32_e32 v5, 4, v1
	v_cmp_gt_u32_e32 vcc_lo, 0x8000000, v1
	s_delay_alu instid0(VALU_DEP_2) | instskip(NEXT) | instid1(VALU_DEP_1)
	v_or_b32_e32 v5, 0x70000000, v5
	v_mul_f32_e32 v5, 0x7800000, v5
	s_delay_alu instid0(VALU_DEP_1) | instskip(NEXT) | instid1(VALU_DEP_1)
	v_cndmask_b32_e32 v1, v5, v6, vcc_lo
	v_and_or_b32 v0, 0x80000000, v0, v1
	s_delay_alu instid0(VALU_DEP_1)
	v_cvt_f64_f32_e32 v[0:1], v0
.LBB118_837:
	s_mov_b32 s1, 0
	s_mov_b32 s0, -1
.LBB118_838:
	s_and_not1_b32 vcc_lo, exec_lo, s1
	s_cbranch_vccnz .LBB118_849
; %bb.839:
	v_cmp_lt_i16_e32 vcc_lo, 14, v4
	s_cbranch_vccz .LBB118_842
; %bb.840:
	v_cmp_eq_u16_e32 vcc_lo, 15, v4
	s_cbranch_vccz .LBB118_843
; %bb.841:
	global_load_u16 v0, v[2:3], off
	s_mov_b32 s0, -1
	s_mov_b32 s28, 0
	s_waitcnt vmcnt(0)
	v_lshlrev_b32_e32 v0, 16, v0
	s_delay_alu instid0(VALU_DEP_1)
	v_cvt_f64_f32_e32 v[0:1], v0
	s_branch .LBB118_844
.LBB118_842:
	s_mov_b32 s1, -1
                                        ; implicit-def: $vgpr0_vgpr1
	s_branch .LBB118_845
.LBB118_843:
	s_mov_b32 s28, -1
                                        ; implicit-def: $vgpr0_vgpr1
.LBB118_844:
	s_mov_b32 s1, 0
.LBB118_845:
	s_delay_alu instid0(SALU_CYCLE_1)
	s_and_b32 vcc_lo, exec_lo, s1
	s_cbranch_vccz .LBB118_849
; %bb.846:
	v_cmp_eq_u16_e32 vcc_lo, 11, v4
	s_cbranch_vccz .LBB118_848
; %bb.847:
	global_load_u8 v0, v[2:3], off
	s_mov_b32 s28, 0
	s_mov_b32 s0, -1
	s_waitcnt vmcnt(0)
	v_cmp_ne_u16_e32 vcc_lo, 0, v0
	v_mov_b32_e32 v0, 0
	v_cndmask_b32_e64 v1, 0, 0x3ff00000, vcc_lo
	s_branch .LBB118_849
.LBB118_848:
	s_mov_b32 s28, -1
                                        ; implicit-def: $vgpr0_vgpr1
.LBB118_849:
	s_mov_b32 s1, 0
.LBB118_850:
	s_delay_alu instid0(SALU_CYCLE_1)
	s_and_b32 vcc_lo, exec_lo, s1
	s_cbranch_vccz .LBB118_899
; %bb.851:
	v_cmp_gt_i16_e32 vcc_lo, 5, v4
	s_cbranch_vccnz .LBB118_856
; %bb.852:
	v_cmp_gt_i16_e32 vcc_lo, 8, v4
	s_cbranch_vccnz .LBB118_857
	;; [unrolled: 3-line block ×3, first 2 shown]
; %bb.854:
	v_cmp_lt_i16_e32 vcc_lo, 9, v4
	s_cbranch_vccz .LBB118_859
; %bb.855:
	global_load_b64 v[0:1], v[2:3], off
	s_mov_b32 s0, 0
	s_branch .LBB118_860
.LBB118_856:
	s_mov_b32 s0, -1
                                        ; implicit-def: $vgpr0_vgpr1
	s_branch .LBB118_878
.LBB118_857:
	s_mov_b32 s0, -1
                                        ; implicit-def: $vgpr0_vgpr1
	s_branch .LBB118_866
.LBB118_858:
	s_mov_b32 s0, -1
                                        ; implicit-def: $vgpr0_vgpr1
	s_branch .LBB118_863
.LBB118_859:
	s_mov_b32 s0, -1
                                        ; implicit-def: $vgpr0_vgpr1
.LBB118_860:
	s_delay_alu instid0(SALU_CYCLE_1)
	s_and_not1_b32 vcc_lo, exec_lo, s0
	s_cbranch_vccnz .LBB118_862
; %bb.861:
	global_load_b32 v0, v[2:3], off
	s_waitcnt vmcnt(0)
	v_cvt_f64_f32_e32 v[0:1], v0
.LBB118_862:
	s_mov_b32 s0, 0
.LBB118_863:
	s_delay_alu instid0(SALU_CYCLE_1)
	s_and_not1_b32 vcc_lo, exec_lo, s0
	s_cbranch_vccnz .LBB118_865
; %bb.864:
	global_load_b32 v0, v[2:3], off
	s_waitcnt vmcnt(0)
	v_cvt_f32_f16_e32 v0, v0
	s_delay_alu instid0(VALU_DEP_1)
	v_cvt_f64_f32_e32 v[0:1], v0
.LBB118_865:
	s_mov_b32 s0, 0
.LBB118_866:
	s_delay_alu instid0(SALU_CYCLE_1)
	s_and_not1_b32 vcc_lo, exec_lo, s0
	s_cbranch_vccnz .LBB118_877
; %bb.867:
	v_cmp_gt_i16_e32 vcc_lo, 6, v4
	s_cbranch_vccnz .LBB118_870
; %bb.868:
	v_cmp_lt_i16_e32 vcc_lo, 6, v4
	s_cbranch_vccz .LBB118_871
; %bb.869:
	global_load_b64 v[0:1], v[2:3], off
	s_mov_b32 s0, 0
	s_branch .LBB118_872
.LBB118_870:
	s_mov_b32 s0, -1
                                        ; implicit-def: $vgpr0_vgpr1
	s_branch .LBB118_875
.LBB118_871:
	s_mov_b32 s0, -1
                                        ; implicit-def: $vgpr0_vgpr1
.LBB118_872:
	s_delay_alu instid0(SALU_CYCLE_1)
	s_and_not1_b32 vcc_lo, exec_lo, s0
	s_cbranch_vccnz .LBB118_874
; %bb.873:
	global_load_b32 v0, v[2:3], off
	s_waitcnt vmcnt(0)
	v_cvt_f64_f32_e32 v[0:1], v0
.LBB118_874:
	s_mov_b32 s0, 0
.LBB118_875:
	s_delay_alu instid0(SALU_CYCLE_1)
	s_and_not1_b32 vcc_lo, exec_lo, s0
	s_cbranch_vccnz .LBB118_877
; %bb.876:
	global_load_u16 v0, v[2:3], off
	s_waitcnt vmcnt(0)
	v_cvt_f32_f16_e32 v0, v0
	s_delay_alu instid0(VALU_DEP_1)
	v_cvt_f64_f32_e32 v[0:1], v0
.LBB118_877:
	s_mov_b32 s0, 0
.LBB118_878:
	s_delay_alu instid0(SALU_CYCLE_1)
	s_and_not1_b32 vcc_lo, exec_lo, s0
	s_cbranch_vccnz .LBB118_898
; %bb.879:
	v_cmp_gt_i16_e32 vcc_lo, 2, v4
	s_cbranch_vccnz .LBB118_883
; %bb.880:
	v_cmp_gt_i16_e32 vcc_lo, 3, v4
	s_cbranch_vccnz .LBB118_884
; %bb.881:
	v_cmp_lt_i16_e32 vcc_lo, 3, v4
	s_cbranch_vccz .LBB118_885
; %bb.882:
	global_load_b64 v[0:1], v[2:3], off
	s_mov_b32 s0, 0
	s_waitcnt vmcnt(0)
	v_cvt_f64_i32_e32 v[5:6], v1
	v_cvt_f64_u32_e32 v[0:1], v0
	s_delay_alu instid0(VALU_DEP_2) | instskip(NEXT) | instid1(VALU_DEP_1)
	v_ldexp_f64 v[5:6], v[5:6], 32
	v_add_f64 v[0:1], v[5:6], v[0:1]
	s_branch .LBB118_886
.LBB118_883:
	s_mov_b32 s0, -1
                                        ; implicit-def: $vgpr0_vgpr1
	s_branch .LBB118_892
.LBB118_884:
	s_mov_b32 s0, -1
                                        ; implicit-def: $vgpr0_vgpr1
	s_branch .LBB118_889
.LBB118_885:
	s_mov_b32 s0, -1
                                        ; implicit-def: $vgpr0_vgpr1
.LBB118_886:
	s_delay_alu instid0(SALU_CYCLE_1)
	s_and_not1_b32 vcc_lo, exec_lo, s0
	s_cbranch_vccnz .LBB118_888
; %bb.887:
	global_load_b32 v0, v[2:3], off
	s_waitcnt vmcnt(0)
	v_cvt_f64_i32_e32 v[0:1], v0
.LBB118_888:
	s_mov_b32 s0, 0
.LBB118_889:
	s_delay_alu instid0(SALU_CYCLE_1)
	s_and_not1_b32 vcc_lo, exec_lo, s0
	s_cbranch_vccnz .LBB118_891
; %bb.890:
	global_load_i16 v0, v[2:3], off
	s_waitcnt vmcnt(0)
	v_cvt_f64_i32_e32 v[0:1], v0
.LBB118_891:
	s_mov_b32 s0, 0
.LBB118_892:
	s_delay_alu instid0(SALU_CYCLE_1)
	s_and_not1_b32 vcc_lo, exec_lo, s0
	s_cbranch_vccnz .LBB118_898
; %bb.893:
	v_cmp_lt_i16_e32 vcc_lo, 0, v4
	s_mov_b32 s0, 0
	s_cbranch_vccz .LBB118_895
; %bb.894:
	global_load_i8 v0, v[2:3], off
	s_waitcnt vmcnt(0)
	v_cvt_f64_i32_e32 v[0:1], v0
	s_branch .LBB118_896
.LBB118_895:
	s_mov_b32 s0, -1
                                        ; implicit-def: $vgpr0_vgpr1
.LBB118_896:
	s_delay_alu instid0(SALU_CYCLE_1)
	s_and_not1_b32 vcc_lo, exec_lo, s0
	s_cbranch_vccnz .LBB118_898
; %bb.897:
	global_load_u8 v0, v[2:3], off
	s_waitcnt vmcnt(0)
	v_cvt_f64_u32_e32 v[0:1], v0
.LBB118_898:
	s_mov_b32 s0, -1
.LBB118_899:
	s_delay_alu instid0(SALU_CYCLE_1)
	s_and_not1_b32 vcc_lo, exec_lo, s0
	s_cbranch_vccnz .LBB118_907
; %bb.900:
	v_mul_lo_u32 v2, v10, s10
	v_and_b32_e64 v4, 0xff, s11
	s_delay_alu instid0(VALU_DEP_1) | instskip(NEXT) | instid1(VALU_DEP_3)
	v_cmp_gt_i16_e32 vcc_lo, 11, v4
	v_ashrrev_i32_e32 v3, 31, v2
	v_add_co_u32 v2, s0, s12, v2
	s_delay_alu instid0(VALU_DEP_1)
	v_add_co_ci_u32_e64 v3, s0, s13, v3, s0
	s_cbranch_vccnz .LBB118_908
; %bb.901:
	v_cmp_lt_i16_e32 vcc_lo, 25, v4
	s_cbranch_vccz .LBB118_909
; %bb.902:
	v_cmp_lt_i16_e32 vcc_lo, 28, v4
	s_cbranch_vccz .LBB118_910
	;; [unrolled: 3-line block ×4, first 2 shown]
; %bb.905:
	v_cmp_eq_u16_e32 vcc_lo, 46, v4
	s_mov_b32 s30, 0
	s_cbranch_vccz .LBB118_915
; %bb.906:
	global_load_b32 v5, v[2:3], off
	s_mov_b32 s1, 0
	s_mov_b32 s0, -1
	s_waitcnt vmcnt(0)
	v_and_b32_e32 v5, 0x7fff7fff, v5
	s_delay_alu instid0(VALU_DEP_1)
	v_cmp_ne_u32_e32 vcc_lo, 0, v5
	s_and_b32 s29, vcc_lo, exec_lo
	s_branch .LBB118_917
.LBB118_907:
	s_mov_b32 s31, 0
	s_mov_b32 s0, s24
	;; [unrolled: 1-line block ×3, first 2 shown]
	s_branch .LBB118_1154
.LBB118_908:
	s_mov_b32 s30, -1
	s_mov_b32 s0, 0
	s_mov_b32 s1, s25
                                        ; implicit-def: $sgpr29
	s_branch .LBB118_980
.LBB118_909:
	s_mov_b32 s30, -1
	s_mov_b32 s0, 0
	s_mov_b32 s1, s25
                                        ; implicit-def: $sgpr29
	s_branch .LBB118_944
.LBB118_910:
	s_mov_b32 s30, -1
	s_mov_b32 s0, 0
	s_mov_b32 s1, s25
                                        ; implicit-def: $sgpr29
	s_branch .LBB118_925
.LBB118_911:
	s_mov_b32 s30, -1
	s_mov_b32 s0, 0
	s_mov_b32 s1, s25
                                        ; implicit-def: $sgpr29
	s_branch .LBB118_920
.LBB118_912:
	s_mov_b32 s30, -1
	s_mov_b32 s0, 0
	s_mov_b32 s1, s25
	s_branch .LBB118_916
.LBB118_913:
	s_or_saveexec_b32 s25, s25
                                        ; implicit-def: $sgpr27
	s_delay_alu instid0(SALU_CYCLE_1)
	s_xor_b32 exec_lo, exec_lo, s25
	s_cbranch_execz .LBB118_688
.LBB118_914:
	v_add_f32_e64 v3, 0x42800000, |v2|
	s_and_not1_b32 s24, s24, exec_lo
	s_mov_b32 s27, 0
	s_delay_alu instid0(VALU_DEP_1) | instskip(NEXT) | instid1(VALU_DEP_1)
	v_and_b32_e32 v3, 0xff, v3
	v_cmp_ne_u32_e32 vcc_lo, 0, v3
	s_and_b32 s28, vcc_lo, exec_lo
	s_delay_alu instid0(SALU_CYCLE_1)
	s_or_b32 s24, s24, s28
	s_or_b32 exec_lo, exec_lo, s25
	v_mov_b32_e32 v7, s27
	s_and_saveexec_b32 s25, s24
	s_cbranch_execnz .LBB118_689
	s_branch .LBB118_690
.LBB118_915:
	s_mov_b32 s1, -1
	s_mov_b32 s0, 0
.LBB118_916:
                                        ; implicit-def: $sgpr29
.LBB118_917:
	s_and_b32 vcc_lo, exec_lo, s30
	s_cbranch_vccz .LBB118_919
; %bb.918:
	v_cmp_eq_u16_e64 s0, 44, v4
	s_or_b32 s29, s29, exec_lo
	s_or_b32 s1, s1, exec_lo
.LBB118_919:
	s_mov_b32 s30, 0
.LBB118_920:
	s_delay_alu instid0(SALU_CYCLE_1)
	s_and_b32 vcc_lo, exec_lo, s30
	s_cbranch_vccz .LBB118_924
; %bb.921:
	v_cmp_eq_u16_e32 vcc_lo, 29, v4
	s_cbranch_vccz .LBB118_923
; %bb.922:
	global_load_b64 v[5:6], v[2:3], off
	s_mov_b32 s0, -1
	s_mov_b32 s1, 0
	s_mov_b32 s30, 0
	s_waitcnt vmcnt(0)
	v_cmp_ne_u64_e32 vcc_lo, 0, v[5:6]
	s_and_b32 s29, vcc_lo, exec_lo
	s_branch .LBB118_925
.LBB118_923:
	s_mov_b32 s1, -1
                                        ; implicit-def: $sgpr29
.LBB118_924:
	s_mov_b32 s30, 0
.LBB118_925:
	s_delay_alu instid0(SALU_CYCLE_1)
	s_and_b32 vcc_lo, exec_lo, s30
	s_cbranch_vccz .LBB118_943
; %bb.926:
	v_cmp_gt_i16_e32 vcc_lo, 27, v4
	s_cbranch_vccnz .LBB118_929
; %bb.927:
	v_cmp_lt_i16_e32 vcc_lo, 27, v4
	s_cbranch_vccz .LBB118_930
; %bb.928:
	global_load_b32 v5, v[2:3], off
	s_mov_b32 s0, 0
	s_waitcnt vmcnt(0)
	v_cmp_ne_u32_e32 vcc_lo, 0, v5
	s_and_b32 s29, vcc_lo, exec_lo
	s_branch .LBB118_931
.LBB118_929:
	s_mov_b32 s0, -1
                                        ; implicit-def: $sgpr29
	s_branch .LBB118_934
.LBB118_930:
	s_mov_b32 s0, -1
                                        ; implicit-def: $sgpr29
.LBB118_931:
	s_delay_alu instid0(SALU_CYCLE_1)
	s_and_not1_b32 vcc_lo, exec_lo, s0
	s_cbranch_vccnz .LBB118_933
; %bb.932:
	global_load_u16 v5, v[2:3], off
	s_and_not1_b32 s0, s29, exec_lo
	s_waitcnt vmcnt(0)
	v_cmp_ne_u16_e32 vcc_lo, 0, v5
	s_and_b32 s29, vcc_lo, exec_lo
	s_delay_alu instid0(SALU_CYCLE_1)
	s_or_b32 s29, s0, s29
.LBB118_933:
	s_mov_b32 s0, 0
.LBB118_934:
	s_delay_alu instid0(SALU_CYCLE_1)
	s_and_not1_b32 vcc_lo, exec_lo, s0
	s_cbranch_vccnz .LBB118_942
; %bb.935:
	global_load_u8 v5, v[2:3], off
	s_mov_b32 s0, 0
	s_mov_b32 s30, exec_lo
                                        ; implicit-def: $sgpr29
	s_waitcnt vmcnt(0)
	v_cmpx_lt_i16_e32 0x7f, v5
	s_xor_b32 s30, exec_lo, s30
	s_cbranch_execz .LBB118_956
; %bb.936:
	s_mov_b32 s0, -1
	s_mov_b32 s31, exec_lo
                                        ; implicit-def: $sgpr29
	v_cmpx_eq_u16_e32 0x80, v5
; %bb.937:
	s_mov_b32 s29, -1
	s_xor_b32 s0, exec_lo, -1
; %bb.938:
	s_or_b32 exec_lo, exec_lo, s31
	s_delay_alu instid0(SALU_CYCLE_1)
	s_and_b32 s0, s0, exec_lo
	s_and_not1_saveexec_b32 s30, s30
	s_cbranch_execnz .LBB118_957
.LBB118_939:
	s_or_b32 exec_lo, exec_lo, s30
	s_and_saveexec_b32 s30, s0
	s_cbranch_execz .LBB118_941
.LBB118_940:
	v_and_b32_e32 v5, 0xffff, v5
	s_and_not1_b32 s0, s29, exec_lo
	s_delay_alu instid0(VALU_DEP_1) | instskip(NEXT) | instid1(VALU_DEP_1)
	v_and_b32_e32 v6, 7, v5
	v_clz_i32_u32_e32 v7, v6
	s_delay_alu instid0(VALU_DEP_1) | instskip(NEXT) | instid1(VALU_DEP_1)
	v_min_u32_e32 v7, 32, v7
	v_subrev_nc_u32_e32 v8, 28, v7
	v_sub_nc_u32_e32 v7, 29, v7
	s_delay_alu instid0(VALU_DEP_2) | instskip(SKIP_1) | instid1(VALU_DEP_2)
	v_lshlrev_b32_e32 v8, v8, v5
	v_bfe_u32 v5, v5, 3, 4
	v_and_b32_e32 v8, 7, v8
	s_delay_alu instid0(VALU_DEP_2) | instskip(NEXT) | instid1(VALU_DEP_2)
	v_cmp_eq_u32_e32 vcc_lo, 0, v5
	v_dual_cndmask_b32 v5, v5, v7 :: v_dual_cndmask_b32 v6, v6, v8
	s_delay_alu instid0(VALU_DEP_1) | instskip(NEXT) | instid1(VALU_DEP_2)
	v_lshl_add_u32 v5, v5, 23, 0x3b800000
	v_lshlrev_b32_e32 v6, 20, v6
	s_delay_alu instid0(VALU_DEP_1) | instskip(NEXT) | instid1(VALU_DEP_1)
	v_and_or_b32 v5, 0x7f800000, v5, v6
	v_cmp_ne_u32_e32 vcc_lo, 0, v5
	s_and_b32 s29, vcc_lo, exec_lo
	s_delay_alu instid0(SALU_CYCLE_1)
	s_or_b32 s29, s0, s29
.LBB118_941:
	s_or_b32 exec_lo, exec_lo, s30
.LBB118_942:
	s_mov_b32 s0, -1
.LBB118_943:
	s_mov_b32 s30, 0
.LBB118_944:
	s_delay_alu instid0(SALU_CYCLE_1)
	s_and_b32 vcc_lo, exec_lo, s30
	s_cbranch_vccz .LBB118_979
; %bb.945:
	v_cmp_lt_i16_e32 vcc_lo, 22, v4
	s_cbranch_vccz .LBB118_955
; %bb.946:
	v_cmp_gt_i16_e32 vcc_lo, 24, v4
	s_cbranch_vccnz .LBB118_958
; %bb.947:
	v_cmp_lt_i16_e32 vcc_lo, 24, v4
	s_cbranch_vccz .LBB118_959
; %bb.948:
	global_load_u8 v5, v[2:3], off
	s_mov_b32 s0, 0
	s_mov_b32 s30, exec_lo
                                        ; implicit-def: $sgpr29
	s_waitcnt vmcnt(0)
	v_cmpx_lt_i16_e32 0x7f, v5
	s_xor_b32 s30, exec_lo, s30
	s_cbranch_execz .LBB118_971
; %bb.949:
	s_mov_b32 s0, -1
	s_mov_b32 s31, exec_lo
                                        ; implicit-def: $sgpr29
	v_cmpx_eq_u16_e32 0x80, v5
; %bb.950:
	s_mov_b32 s29, -1
	s_xor_b32 s0, exec_lo, -1
; %bb.951:
	s_or_b32 exec_lo, exec_lo, s31
	s_delay_alu instid0(SALU_CYCLE_1)
	s_and_b32 s0, s0, exec_lo
	s_and_not1_saveexec_b32 s30, s30
	s_cbranch_execnz .LBB118_972
.LBB118_952:
	s_or_b32 exec_lo, exec_lo, s30
	s_and_saveexec_b32 s30, s0
	s_cbranch_execz .LBB118_954
.LBB118_953:
	v_and_b32_e32 v5, 0xffff, v5
	s_and_not1_b32 s0, s29, exec_lo
	s_delay_alu instid0(VALU_DEP_1) | instskip(NEXT) | instid1(VALU_DEP_1)
	v_and_b32_e32 v6, 3, v5
	v_clz_i32_u32_e32 v7, v6
	s_delay_alu instid0(VALU_DEP_1) | instskip(NEXT) | instid1(VALU_DEP_1)
	v_min_u32_e32 v7, 32, v7
	v_subrev_nc_u32_e32 v8, 29, v7
	v_sub_nc_u32_e32 v7, 30, v7
	s_delay_alu instid0(VALU_DEP_2) | instskip(SKIP_1) | instid1(VALU_DEP_2)
	v_lshlrev_b32_e32 v8, v8, v5
	v_bfe_u32 v5, v5, 2, 5
	v_and_b32_e32 v8, 3, v8
	s_delay_alu instid0(VALU_DEP_2) | instskip(NEXT) | instid1(VALU_DEP_2)
	v_cmp_eq_u32_e32 vcc_lo, 0, v5
	v_dual_cndmask_b32 v5, v5, v7 :: v_dual_cndmask_b32 v6, v6, v8
	s_delay_alu instid0(VALU_DEP_1) | instskip(NEXT) | instid1(VALU_DEP_2)
	v_lshl_add_u32 v5, v5, 23, 0x37800000
	v_lshlrev_b32_e32 v6, 21, v6
	s_delay_alu instid0(VALU_DEP_1) | instskip(NEXT) | instid1(VALU_DEP_1)
	v_and_or_b32 v5, 0x7f800000, v5, v6
	v_cmp_ne_u32_e32 vcc_lo, 0, v5
	s_and_b32 s29, vcc_lo, exec_lo
	s_delay_alu instid0(SALU_CYCLE_1)
	s_or_b32 s29, s0, s29
.LBB118_954:
	s_or_b32 exec_lo, exec_lo, s30
	s_mov_b32 s0, 0
	s_branch .LBB118_960
.LBB118_955:
	s_mov_b32 s30, -1
                                        ; implicit-def: $sgpr29
	s_branch .LBB118_966
.LBB118_956:
	s_and_not1_saveexec_b32 s30, s30
	s_cbranch_execz .LBB118_939
.LBB118_957:
	v_cmp_ne_u16_e32 vcc_lo, 0, v5
	s_and_not1_b32 s0, s0, exec_lo
	s_and_not1_b32 s29, s29, exec_lo
	s_and_b32 s31, vcc_lo, exec_lo
	s_delay_alu instid0(SALU_CYCLE_1)
	s_or_b32 s0, s0, s31
	s_or_b32 exec_lo, exec_lo, s30
	s_and_saveexec_b32 s30, s0
	s_cbranch_execnz .LBB118_940
	s_branch .LBB118_941
.LBB118_958:
	s_mov_b32 s0, -1
                                        ; implicit-def: $sgpr29
	s_branch .LBB118_963
.LBB118_959:
	s_mov_b32 s0, -1
                                        ; implicit-def: $sgpr29
.LBB118_960:
	s_delay_alu instid0(SALU_CYCLE_1)
	s_and_b32 vcc_lo, exec_lo, s0
	s_cbranch_vccz .LBB118_962
; %bb.961:
	global_load_u8 v5, v[2:3], off
	s_and_not1_b32 s29, s29, exec_lo
	s_waitcnt vmcnt(0)
	v_lshlrev_b32_e32 v5, 24, v5
	s_delay_alu instid0(VALU_DEP_1) | instskip(NEXT) | instid1(VALU_DEP_1)
	v_and_b32_e32 v5, 0x7f000000, v5
	v_clz_i32_u32_e32 v6, v5
	v_add_nc_u32_e32 v8, 0x1000000, v5
	v_cmp_ne_u32_e32 vcc_lo, 0, v5
	s_delay_alu instid0(VALU_DEP_3) | instskip(NEXT) | instid1(VALU_DEP_3)
	v_min_u32_e32 v6, 32, v6
	v_ashrrev_i32_e32 v8, 8, v8
	s_delay_alu instid0(VALU_DEP_2) | instskip(NEXT) | instid1(VALU_DEP_1)
	v_sub_nc_u32_e64 v6, v6, 4 clamp
	v_lshlrev_b32_e32 v7, v6, v5
	v_lshlrev_b32_e32 v6, 23, v6
	s_delay_alu instid0(VALU_DEP_2) | instskip(NEXT) | instid1(VALU_DEP_1)
	v_lshrrev_b32_e32 v7, 4, v7
	v_sub_nc_u32_e32 v6, v7, v6
	v_and_b32_e32 v7, 0x7f800000, v8
	s_delay_alu instid0(VALU_DEP_2) | instskip(NEXT) | instid1(VALU_DEP_1)
	v_add_nc_u32_e32 v6, 0x3c000000, v6
	v_and_or_b32 v6, 0x7ff00000, v6, v7
	s_delay_alu instid0(VALU_DEP_1) | instskip(NEXT) | instid1(VALU_DEP_1)
	v_cmp_ne_u32_e64 s0, 0, v6
	s_and_b32 s0, vcc_lo, s0
	s_delay_alu instid0(SALU_CYCLE_1) | instskip(NEXT) | instid1(SALU_CYCLE_1)
	s_and_b32 s0, s0, exec_lo
	s_or_b32 s29, s29, s0
.LBB118_962:
	s_mov_b32 s0, 0
.LBB118_963:
	s_delay_alu instid0(SALU_CYCLE_1)
	s_and_not1_b32 vcc_lo, exec_lo, s0
	s_cbranch_vccnz .LBB118_965
; %bb.964:
	global_load_u8 v5, v[2:3], off
	s_and_not1_b32 s0, s29, exec_lo
	s_waitcnt vmcnt(0)
	v_lshlrev_b32_e32 v6, 25, v5
	v_lshlrev_b32_e32 v5, 8, v5
	s_delay_alu instid0(VALU_DEP_2) | instskip(NEXT) | instid1(VALU_DEP_2)
	v_lshrrev_b32_e32 v7, 4, v6
	v_and_or_b32 v5, 0x7f00, v5, 0.5
	s_delay_alu instid0(VALU_DEP_2) | instskip(NEXT) | instid1(VALU_DEP_2)
	v_or_b32_e32 v7, 0x70000000, v7
	v_add_f32_e32 v5, -0.5, v5
	s_delay_alu instid0(VALU_DEP_2) | instskip(SKIP_1) | instid1(VALU_DEP_2)
	v_mul_f32_e32 v7, 0x7800000, v7
	v_cmp_gt_u32_e32 vcc_lo, 0x8000000, v6
	v_cndmask_b32_e32 v5, v7, v5, vcc_lo
	s_delay_alu instid0(VALU_DEP_1) | instskip(SKIP_1) | instid1(SALU_CYCLE_1)
	v_cmp_neq_f32_e32 vcc_lo, 0, v5
	s_and_b32 s29, vcc_lo, exec_lo
	s_or_b32 s29, s0, s29
.LBB118_965:
	s_mov_b32 s30, 0
	s_mov_b32 s0, -1
.LBB118_966:
	s_and_not1_b32 vcc_lo, exec_lo, s30
	s_cbranch_vccnz .LBB118_979
; %bb.967:
	v_cmp_lt_i16_e32 vcc_lo, 14, v4
	s_cbranch_vccz .LBB118_970
; %bb.968:
	v_cmp_eq_u16_e32 vcc_lo, 15, v4
	s_cbranch_vccz .LBB118_973
; %bb.969:
	global_load_u16 v5, v[2:3], off
	s_mov_b32 s1, 0
	s_mov_b32 s0, -1
	s_waitcnt vmcnt(0)
	v_and_b32_e32 v5, 0x7fff, v5
	s_delay_alu instid0(VALU_DEP_1)
	v_cmp_ne_u16_e32 vcc_lo, 0, v5
	s_and_b32 s29, vcc_lo, exec_lo
	s_branch .LBB118_974
.LBB118_970:
	s_mov_b32 s30, -1
                                        ; implicit-def: $sgpr29
	s_branch .LBB118_975
.LBB118_971:
	s_and_not1_saveexec_b32 s30, s30
	s_cbranch_execz .LBB118_952
.LBB118_972:
	v_cmp_ne_u16_e32 vcc_lo, 0, v5
	s_and_not1_b32 s0, s0, exec_lo
	s_and_not1_b32 s29, s29, exec_lo
	s_and_b32 s31, vcc_lo, exec_lo
	s_delay_alu instid0(SALU_CYCLE_1)
	s_or_b32 s0, s0, s31
	s_or_b32 exec_lo, exec_lo, s30
	s_and_saveexec_b32 s30, s0
	s_cbranch_execnz .LBB118_953
	s_branch .LBB118_954
.LBB118_973:
	s_mov_b32 s1, -1
                                        ; implicit-def: $sgpr29
.LBB118_974:
	s_mov_b32 s30, 0
.LBB118_975:
	s_delay_alu instid0(SALU_CYCLE_1)
	s_and_b32 vcc_lo, exec_lo, s30
	s_cbranch_vccz .LBB118_979
; %bb.976:
	v_cmp_eq_u16_e32 vcc_lo, 11, v4
	s_cbranch_vccz .LBB118_978
; %bb.977:
	global_load_u8 v5, v[2:3], off
	s_mov_b32 s1, 0
	s_mov_b32 s0, -1
	s_waitcnt vmcnt(0)
	v_cmp_ne_u16_e32 vcc_lo, 0, v5
	s_and_b32 s29, vcc_lo, exec_lo
	s_branch .LBB118_979
.LBB118_978:
	s_mov_b32 s1, -1
                                        ; implicit-def: $sgpr29
.LBB118_979:
	s_mov_b32 s30, 0
.LBB118_980:
	s_delay_alu instid0(SALU_CYCLE_1)
	s_and_b32 vcc_lo, exec_lo, s30
	s_cbranch_vccz .LBB118_1029
; %bb.981:
	v_cmp_gt_i16_e32 vcc_lo, 5, v4
	s_cbranch_vccnz .LBB118_986
; %bb.982:
	v_cmp_gt_i16_e32 vcc_lo, 8, v4
	s_cbranch_vccnz .LBB118_987
	;; [unrolled: 3-line block ×3, first 2 shown]
; %bb.984:
	v_cmp_lt_i16_e32 vcc_lo, 9, v4
	s_cbranch_vccz .LBB118_989
; %bb.985:
	global_load_b128 v[5:8], v[2:3], off
	s_waitcnt vmcnt(0)
	v_cmp_neq_f64_e32 vcc_lo, 0, v[5:6]
	v_cmp_neq_f64_e64 s0, 0, v[7:8]
	s_delay_alu instid0(VALU_DEP_1)
	s_or_b32 s29, vcc_lo, s0
	s_mov_b32 s0, 0
	s_and_b32 s29, s29, exec_lo
	s_branch .LBB118_990
.LBB118_986:
	s_mov_b32 s0, -1
                                        ; implicit-def: $sgpr29
	s_branch .LBB118_1008
.LBB118_987:
	s_mov_b32 s0, -1
                                        ; implicit-def: $sgpr29
	s_branch .LBB118_996
.LBB118_988:
	s_mov_b32 s0, -1
                                        ; implicit-def: $sgpr29
	s_branch .LBB118_993
.LBB118_989:
	s_mov_b32 s0, -1
                                        ; implicit-def: $sgpr29
.LBB118_990:
	s_delay_alu instid0(SALU_CYCLE_1)
	s_and_not1_b32 vcc_lo, exec_lo, s0
	s_cbranch_vccnz .LBB118_992
; %bb.991:
	global_load_b64 v[5:6], v[2:3], off
	s_and_not1_b32 s0, s29, exec_lo
	s_waitcnt vmcnt(0)
	v_or_b32_e32 v5, v5, v6
	s_delay_alu instid0(VALU_DEP_1) | instskip(NEXT) | instid1(VALU_DEP_1)
	v_and_b32_e32 v5, 0x7fffffff, v5
	v_cmp_ne_u32_e32 vcc_lo, 0, v5
	s_and_b32 s29, vcc_lo, exec_lo
	s_delay_alu instid0(SALU_CYCLE_1)
	s_or_b32 s29, s0, s29
.LBB118_992:
	s_mov_b32 s0, 0
.LBB118_993:
	s_delay_alu instid0(SALU_CYCLE_1)
	s_and_not1_b32 vcc_lo, exec_lo, s0
	s_cbranch_vccnz .LBB118_995
; %bb.994:
	global_load_b32 v5, v[2:3], off
	s_and_not1_b32 s0, s29, exec_lo
	s_waitcnt vmcnt(0)
	v_and_b32_e32 v5, 0x7fff7fff, v5
	s_delay_alu instid0(VALU_DEP_1) | instskip(SKIP_1) | instid1(SALU_CYCLE_1)
	v_cmp_ne_u32_e32 vcc_lo, 0, v5
	s_and_b32 s29, vcc_lo, exec_lo
	s_or_b32 s29, s0, s29
.LBB118_995:
	s_mov_b32 s0, 0
.LBB118_996:
	s_delay_alu instid0(SALU_CYCLE_1)
	s_and_not1_b32 vcc_lo, exec_lo, s0
	s_cbranch_vccnz .LBB118_1007
; %bb.997:
	v_cmp_gt_i16_e32 vcc_lo, 6, v4
	s_cbranch_vccnz .LBB118_1000
; %bb.998:
	v_cmp_lt_i16_e32 vcc_lo, 6, v4
	s_cbranch_vccz .LBB118_1001
; %bb.999:
	global_load_b64 v[5:6], v[2:3], off
	s_mov_b32 s0, 0
	s_waitcnt vmcnt(0)
	v_cmp_neq_f64_e32 vcc_lo, 0, v[5:6]
	s_and_b32 s29, vcc_lo, exec_lo
	s_branch .LBB118_1002
.LBB118_1000:
	s_mov_b32 s0, -1
                                        ; implicit-def: $sgpr29
	s_branch .LBB118_1005
.LBB118_1001:
	s_mov_b32 s0, -1
                                        ; implicit-def: $sgpr29
.LBB118_1002:
	s_delay_alu instid0(SALU_CYCLE_1)
	s_and_not1_b32 vcc_lo, exec_lo, s0
	s_cbranch_vccnz .LBB118_1004
; %bb.1003:
	global_load_b32 v5, v[2:3], off
	s_and_not1_b32 s0, s29, exec_lo
	s_waitcnt vmcnt(0)
	v_cmp_neq_f32_e32 vcc_lo, 0, v5
	s_and_b32 s29, vcc_lo, exec_lo
	s_delay_alu instid0(SALU_CYCLE_1)
	s_or_b32 s29, s0, s29
.LBB118_1004:
	s_mov_b32 s0, 0
.LBB118_1005:
	s_delay_alu instid0(SALU_CYCLE_1)
	s_and_not1_b32 vcc_lo, exec_lo, s0
	s_cbranch_vccnz .LBB118_1007
; %bb.1006:
	global_load_u16 v5, v[2:3], off
	s_and_not1_b32 s0, s29, exec_lo
	s_waitcnt vmcnt(0)
	v_and_b32_e32 v5, 0x7fff, v5
	s_delay_alu instid0(VALU_DEP_1) | instskip(SKIP_1) | instid1(SALU_CYCLE_1)
	v_cmp_ne_u16_e32 vcc_lo, 0, v5
	s_and_b32 s29, vcc_lo, exec_lo
	s_or_b32 s29, s0, s29
.LBB118_1007:
	s_mov_b32 s0, 0
.LBB118_1008:
	s_delay_alu instid0(SALU_CYCLE_1)
	s_and_not1_b32 vcc_lo, exec_lo, s0
	s_cbranch_vccnz .LBB118_1028
; %bb.1009:
	v_cmp_gt_i16_e32 vcc_lo, 2, v4
	s_cbranch_vccnz .LBB118_1013
; %bb.1010:
	v_cmp_gt_i16_e32 vcc_lo, 3, v4
	s_cbranch_vccnz .LBB118_1014
; %bb.1011:
	v_cmp_lt_i16_e32 vcc_lo, 3, v4
	s_cbranch_vccz .LBB118_1015
; %bb.1012:
	global_load_b64 v[5:6], v[2:3], off
	s_mov_b32 s0, 0
	s_waitcnt vmcnt(0)
	v_cmp_ne_u64_e32 vcc_lo, 0, v[5:6]
	s_and_b32 s29, vcc_lo, exec_lo
	s_branch .LBB118_1016
.LBB118_1013:
	s_mov_b32 s0, -1
                                        ; implicit-def: $sgpr29
	s_branch .LBB118_1022
.LBB118_1014:
	s_mov_b32 s0, -1
                                        ; implicit-def: $sgpr29
	s_branch .LBB118_1019
.LBB118_1015:
	s_mov_b32 s0, -1
                                        ; implicit-def: $sgpr29
.LBB118_1016:
	s_delay_alu instid0(SALU_CYCLE_1)
	s_and_not1_b32 vcc_lo, exec_lo, s0
	s_cbranch_vccnz .LBB118_1018
; %bb.1017:
	global_load_b32 v5, v[2:3], off
	s_and_not1_b32 s0, s29, exec_lo
	s_waitcnt vmcnt(0)
	v_cmp_ne_u32_e32 vcc_lo, 0, v5
	s_and_b32 s29, vcc_lo, exec_lo
	s_delay_alu instid0(SALU_CYCLE_1)
	s_or_b32 s29, s0, s29
.LBB118_1018:
	s_mov_b32 s0, 0
.LBB118_1019:
	s_delay_alu instid0(SALU_CYCLE_1)
	s_and_not1_b32 vcc_lo, exec_lo, s0
	s_cbranch_vccnz .LBB118_1021
; %bb.1020:
	global_load_u16 v5, v[2:3], off
	s_and_not1_b32 s0, s29, exec_lo
	s_waitcnt vmcnt(0)
	v_cmp_ne_u16_e32 vcc_lo, 0, v5
	s_and_b32 s29, vcc_lo, exec_lo
	s_delay_alu instid0(SALU_CYCLE_1)
	s_or_b32 s29, s0, s29
.LBB118_1021:
	s_mov_b32 s0, 0
.LBB118_1022:
	s_delay_alu instid0(SALU_CYCLE_1)
	s_and_not1_b32 vcc_lo, exec_lo, s0
	s_cbranch_vccnz .LBB118_1028
; %bb.1023:
	v_cmp_lt_i16_e32 vcc_lo, 0, v4
	s_mov_b32 s0, 0
	s_cbranch_vccz .LBB118_1025
; %bb.1024:
	global_load_u8 v4, v[2:3], off
	s_waitcnt vmcnt(0)
	v_cmp_ne_u16_e32 vcc_lo, 0, v4
	s_and_b32 s29, vcc_lo, exec_lo
	s_branch .LBB118_1026
.LBB118_1025:
	s_mov_b32 s0, -1
                                        ; implicit-def: $sgpr29
.LBB118_1026:
	s_delay_alu instid0(SALU_CYCLE_1)
	s_and_not1_b32 vcc_lo, exec_lo, s0
	s_cbranch_vccnz .LBB118_1028
; %bb.1027:
	global_load_u8 v2, v[2:3], off
	s_and_not1_b32 s0, s29, exec_lo
	s_waitcnt vmcnt(0)
	v_cmp_ne_u16_e32 vcc_lo, 0, v2
	s_and_b32 s29, vcc_lo, exec_lo
	s_delay_alu instid0(SALU_CYCLE_1)
	s_or_b32 s29, s0, s29
.LBB118_1028:
	s_mov_b32 s0, -1
.LBB118_1029:
	s_delay_alu instid0(SALU_CYCLE_1)
	s_and_not1_b32 vcc_lo, exec_lo, s0
	s_cbranch_vccnz .LBB118_1037
; %bb.1030:
	v_cndmask_b32_e64 v2, 0, 1, s29
	v_and_b32_e64 v6, 0xff, s14
	s_delay_alu instid0(VALU_DEP_2) | instskip(NEXT) | instid1(VALU_DEP_2)
	v_cvt_f64_u32_e32 v[2:3], v2
	v_cmp_gt_i16_e32 vcc_lo, 11, v6
	s_and_b32 vcc_lo, exec_lo, vcc_lo
	s_waitcnt vmcnt(0)
	s_delay_alu instid0(VALU_DEP_2) | instskip(SKIP_1) | instid1(VALU_DEP_1)
	v_mul_f64 v[0:1], v[0:1], v[2:3]
	v_mul_lo_u32 v2, v10, s8
	v_ashrrev_i32_e32 v3, 31, v2
	v_add_co_u32 v4, s0, s4, v2
	s_delay_alu instid0(VALU_DEP_1)
	v_add_co_ci_u32_e64 v5, s0, s5, v3, s0
	v_mul_f64 v[0:1], s[2:3], v[0:1]
	s_cbranch_vccnz .LBB118_1038
; %bb.1031:
	v_cmp_lt_i16_e32 vcc_lo, 25, v6
	s_cbranch_vccz .LBB118_1039
; %bb.1032:
	v_cmp_lt_i16_e32 vcc_lo, 28, v6
	s_cbranch_vccz .LBB118_1040
	;; [unrolled: 3-line block ×4, first 2 shown]
; %bb.1035:
	v_cmp_eq_u16_e32 vcc_lo, 46, v6
	s_mov_b32 s29, 0
	s_mov_b32 s0, -1
	s_mov_b32 s1, 0
	s_cbranch_vccz .LBB118_1043
; %bb.1036:
	v_cvt_f32_f64_e32 v2, v[0:1]
	s_mov_b32 s1, -1
	s_mov_b32 s0, 0
	s_delay_alu instid0(VALU_DEP_1) | instskip(SKIP_1) | instid1(VALU_DEP_2)
	v_bfe_u32 v3, v2, 16, 1
	v_cmp_o_f32_e32 vcc_lo, v2, v2
	v_add3_u32 v3, v2, v3, 0x7fff
	s_delay_alu instid0(VALU_DEP_1) | instskip(NEXT) | instid1(VALU_DEP_1)
	v_lshrrev_b32_e32 v3, 16, v3
	v_cndmask_b32_e32 v2, 0x7fc0, v3, vcc_lo
	global_store_b32 v[4:5], v2, off
	s_branch .LBB118_1043
.LBB118_1037:
	s_mov_b32 s31, 0
	s_mov_b32 s0, s24
	s_branch .LBB118_1154
.LBB118_1038:
	s_mov_b32 s29, -1
	s_mov_b32 s1, 0
	s_mov_b32 s0, s24
	s_branch .LBB118_1112
.LBB118_1039:
	s_mov_b32 s29, -1
	s_mov_b32 s1, 0
	s_mov_b32 s0, s24
	s_branch .LBB118_1070
.LBB118_1040:
	s_mov_b32 s29, -1
	s_mov_b32 s1, 0
	s_mov_b32 s0, s24
	s_branch .LBB118_1053
.LBB118_1041:
	s_mov_b32 s29, -1
	s_mov_b32 s1, 0
	s_mov_b32 s0, s24
	s_branch .LBB118_1049
.LBB118_1042:
	s_mov_b32 s29, -1
	s_mov_b32 s1, 0
	s_mov_b32 s0, s24
.LBB118_1043:
	s_and_b32 vcc_lo, exec_lo, s29
	s_cbranch_vccz .LBB118_1048
; %bb.1044:
	v_cmp_eq_u16_e32 vcc_lo, 44, v6
	s_mov_b32 s0, -1
	s_cbranch_vccz .LBB118_1048
; %bb.1045:
	v_cvt_f32_f64_e32 v2, v[0:1]
	v_mov_b32_e32 v3, 0xff
	s_mov_b32 s1, exec_lo
	s_delay_alu instid0(VALU_DEP_2) | instskip(NEXT) | instid1(VALU_DEP_1)
	v_bfe_u32 v7, v2, 23, 8
	v_cmpx_ne_u32_e32 0xff, v7
; %bb.1046:
	v_and_b32_e32 v3, 0x400000, v2
	v_and_or_b32 v7, 0x3fffff, v2, v7
	v_lshrrev_b32_e32 v2, 23, v2
	s_delay_alu instid0(VALU_DEP_3) | instskip(NEXT) | instid1(VALU_DEP_3)
	v_cmp_ne_u32_e32 vcc_lo, 0, v3
	v_cmp_ne_u32_e64 s0, 0, v7
	s_delay_alu instid0(VALU_DEP_1) | instskip(NEXT) | instid1(SALU_CYCLE_1)
	s_and_b32 s0, vcc_lo, s0
	v_cndmask_b32_e64 v3, 0, 1, s0
	s_delay_alu instid0(VALU_DEP_1)
	v_add_nc_u32_e32 v3, v2, v3
; %bb.1047:
	s_or_b32 exec_lo, exec_lo, s1
	s_mov_b32 s1, -1
	s_mov_b32 s0, 0
	global_store_b8 v[4:5], v3, off
.LBB118_1048:
	s_mov_b32 s29, 0
.LBB118_1049:
	s_delay_alu instid0(SALU_CYCLE_1)
	s_and_b32 vcc_lo, exec_lo, s29
	s_cbranch_vccz .LBB118_1052
; %bb.1050:
	v_cmp_eq_u16_e32 vcc_lo, 29, v6
	s_mov_b32 s0, -1
	s_cbranch_vccz .LBB118_1052
; %bb.1051:
	v_trunc_f64_e32 v[2:3], v[0:1]
	s_mov_b32 s1, -1
	s_mov_b32 s0, 0
	s_mov_b32 s29, 0
	s_delay_alu instid0(VALU_DEP_1) | instskip(NEXT) | instid1(VALU_DEP_1)
	v_ldexp_f64 v[7:8], v[2:3], 0xffffffe0
	v_floor_f64_e32 v[7:8], v[7:8]
	s_delay_alu instid0(VALU_DEP_1) | instskip(SKIP_1) | instid1(VALU_DEP_2)
	v_fma_f64 v[2:3], 0xc1f00000, v[7:8], v[2:3]
	v_cvt_u32_f64_e32 v8, v[7:8]
	v_cvt_u32_f64_e32 v7, v[2:3]
	global_store_b64 v[4:5], v[7:8], off
	s_branch .LBB118_1053
.LBB118_1052:
	s_mov_b32 s29, 0
.LBB118_1053:
	s_delay_alu instid0(SALU_CYCLE_1)
	s_and_b32 vcc_lo, exec_lo, s29
	s_cbranch_vccz .LBB118_1069
; %bb.1054:
	v_cmp_gt_i16_e32 vcc_lo, 27, v6
	s_mov_b32 s1, -1
	s_cbranch_vccnz .LBB118_1060
; %bb.1055:
	s_delay_alu instid0(VALU_DEP_4)
	v_cvt_u32_f64_e32 v2, v[0:1]
	v_cmp_lt_i16_e32 vcc_lo, 27, v6
	s_cbranch_vccz .LBB118_1057
; %bb.1056:
	s_mov_b32 s1, 0
	global_store_b32 v[4:5], v2, off
.LBB118_1057:
	s_and_not1_b32 vcc_lo, exec_lo, s1
	s_cbranch_vccnz .LBB118_1059
; %bb.1058:
	global_store_b16 v[4:5], v2, off
.LBB118_1059:
	s_mov_b32 s1, 0
.LBB118_1060:
	s_delay_alu instid0(SALU_CYCLE_1)
	s_and_not1_b32 vcc_lo, exec_lo, s1
	s_cbranch_vccnz .LBB118_1068
; %bb.1061:
	s_delay_alu instid0(VALU_DEP_4) | instskip(SKIP_2) | instid1(VALU_DEP_2)
	v_cvt_f32_f64_e32 v2, v[0:1]
	v_mov_b32_e32 v7, 0x80
	s_mov_b32 s1, exec_lo
	v_and_b32_e32 v3, 0x7fffffff, v2
	s_delay_alu instid0(VALU_DEP_1)
	v_cmpx_gt_u32_e32 0x43800000, v3
	s_cbranch_execz .LBB118_1067
; %bb.1062:
	v_cmp_lt_u32_e32 vcc_lo, 0x3bffffff, v3
	s_mov_b32 s29, 0
                                        ; implicit-def: $vgpr3
	s_and_saveexec_b32 s30, vcc_lo
	s_delay_alu instid0(SALU_CYCLE_1)
	s_xor_b32 s30, exec_lo, s30
	s_cbranch_execz .LBB118_1170
; %bb.1063:
	v_bfe_u32 v3, v2, 20, 1
	s_mov_b32 s29, exec_lo
	s_delay_alu instid0(VALU_DEP_1) | instskip(NEXT) | instid1(VALU_DEP_1)
	v_add3_u32 v3, v2, v3, 0x487ffff
	v_lshrrev_b32_e32 v3, 20, v3
	s_or_saveexec_b32 s30, s30
                                        ; implicit-def: $sgpr31
	s_delay_alu instid0(SALU_CYCLE_1)
	s_xor_b32 exec_lo, exec_lo, s30
	s_cbranch_execnz .LBB118_1171
.LBB118_1064:
	s_or_b32 exec_lo, exec_lo, s30
	v_mov_b32_e32 v7, s31
	s_and_saveexec_b32 s30, s29
.LBB118_1065:
	v_lshrrev_b32_e32 v2, 24, v2
	s_delay_alu instid0(VALU_DEP_1)
	v_and_or_b32 v7, 0x80, v2, v3
.LBB118_1066:
	s_or_b32 exec_lo, exec_lo, s30
.LBB118_1067:
	s_delay_alu instid0(SALU_CYCLE_1)
	s_or_b32 exec_lo, exec_lo, s1
	global_store_b8 v[4:5], v7, off
.LBB118_1068:
	s_mov_b32 s1, -1
.LBB118_1069:
	s_mov_b32 s29, 0
.LBB118_1070:
	s_delay_alu instid0(SALU_CYCLE_1)
	s_and_b32 vcc_lo, exec_lo, s29
	s_cbranch_vccz .LBB118_1111
; %bb.1071:
	v_cmp_lt_i16_e32 vcc_lo, 22, v6
	s_mov_b32 s29, -1
	s_cbranch_vccz .LBB118_1103
; %bb.1072:
	v_cmp_gt_i16_e32 vcc_lo, 24, v6
	s_mov_b32 s1, -1
	s_cbranch_vccnz .LBB118_1092
; %bb.1073:
	v_cmp_lt_i16_e32 vcc_lo, 24, v6
	s_cbranch_vccz .LBB118_1081
; %bb.1074:
	v_cvt_f32_f64_e32 v2, v[0:1]
	v_mov_b32_e32 v7, 0x80
	s_mov_b32 s1, exec_lo
	s_delay_alu instid0(VALU_DEP_2) | instskip(NEXT) | instid1(VALU_DEP_1)
	v_and_b32_e32 v3, 0x7fffffff, v2
	v_cmpx_gt_u32_e32 0x47800000, v3
	s_cbranch_execz .LBB118_1080
; %bb.1075:
	v_cmp_lt_u32_e32 vcc_lo, 0x37ffffff, v3
	s_mov_b32 s29, 0
                                        ; implicit-def: $vgpr3
	s_and_saveexec_b32 s30, vcc_lo
	s_delay_alu instid0(SALU_CYCLE_1)
	s_xor_b32 s30, exec_lo, s30
	s_cbranch_execz .LBB118_2219
; %bb.1076:
	v_bfe_u32 v3, v2, 21, 1
	s_mov_b32 s29, exec_lo
	s_delay_alu instid0(VALU_DEP_1) | instskip(NEXT) | instid1(VALU_DEP_1)
	v_add3_u32 v3, v2, v3, 0x88fffff
	v_lshrrev_b32_e32 v3, 21, v3
	s_or_saveexec_b32 s30, s30
                                        ; implicit-def: $sgpr31
	s_delay_alu instid0(SALU_CYCLE_1)
	s_xor_b32 exec_lo, exec_lo, s30
	s_cbranch_execnz .LBB118_2220
.LBB118_1077:
	s_or_b32 exec_lo, exec_lo, s30
	v_mov_b32_e32 v7, s31
	s_and_saveexec_b32 s30, s29
.LBB118_1078:
	v_lshrrev_b32_e32 v2, 24, v2
	s_delay_alu instid0(VALU_DEP_1)
	v_and_or_b32 v7, 0x80, v2, v3
.LBB118_1079:
	s_or_b32 exec_lo, exec_lo, s30
.LBB118_1080:
	s_delay_alu instid0(SALU_CYCLE_1)
	s_or_b32 exec_lo, exec_lo, s1
	s_mov_b32 s1, 0
	global_store_b8 v[4:5], v7, off
.LBB118_1081:
	s_and_b32 vcc_lo, exec_lo, s1
	s_cbranch_vccz .LBB118_1091
; %bb.1082:
	v_cvt_f32_f64_e32 v2, v[0:1]
	s_mov_b32 s1, exec_lo
                                        ; implicit-def: $vgpr3
	s_delay_alu instid0(VALU_DEP_1) | instskip(NEXT) | instid1(VALU_DEP_1)
	v_and_b32_e32 v7, 0x7fffffff, v2
	v_cmpx_gt_u32_e32 0x43f00000, v7
	s_xor_b32 s1, exec_lo, s1
	s_cbranch_execz .LBB118_1088
; %bb.1083:
	s_mov_b32 s29, exec_lo
                                        ; implicit-def: $vgpr3
	v_cmpx_lt_u32_e32 0x3c7fffff, v7
	s_xor_b32 s29, exec_lo, s29
; %bb.1084:
	v_bfe_u32 v3, v2, 20, 1
	s_delay_alu instid0(VALU_DEP_1) | instskip(NEXT) | instid1(VALU_DEP_1)
	v_add3_u32 v3, v2, v3, 0x407ffff
	v_and_b32_e32 v7, 0xff00000, v3
	v_lshrrev_b32_e32 v3, 20, v3
	s_delay_alu instid0(VALU_DEP_2) | instskip(NEXT) | instid1(VALU_DEP_2)
	v_cmp_ne_u32_e32 vcc_lo, 0x7f00000, v7
	v_cndmask_b32_e32 v3, 0x7e, v3, vcc_lo
; %bb.1085:
	s_and_not1_saveexec_b32 s29, s29
; %bb.1086:
	v_add_f32_e64 v3, 0x46800000, |v2|
; %bb.1087:
	s_or_b32 exec_lo, exec_lo, s29
                                        ; implicit-def: $vgpr7
.LBB118_1088:
	s_and_not1_saveexec_b32 s1, s1
; %bb.1089:
	v_mov_b32_e32 v3, 0x7f
	v_cmp_lt_u32_e32 vcc_lo, 0x7f800000, v7
	s_delay_alu instid0(VALU_DEP_2)
	v_cndmask_b32_e32 v3, 0x7e, v3, vcc_lo
; %bb.1090:
	s_or_b32 exec_lo, exec_lo, s1
	v_lshrrev_b32_e32 v2, 24, v2
	s_delay_alu instid0(VALU_DEP_1)
	v_and_or_b32 v2, 0x80, v2, v3
	global_store_b8 v[4:5], v2, off
.LBB118_1091:
	s_mov_b32 s1, 0
.LBB118_1092:
	s_delay_alu instid0(SALU_CYCLE_1)
	s_and_not1_b32 vcc_lo, exec_lo, s1
	s_cbranch_vccnz .LBB118_1102
; %bb.1093:
	s_delay_alu instid0(VALU_DEP_4) | instskip(SKIP_1) | instid1(VALU_DEP_1)
	v_cvt_f32_f64_e32 v2, v[0:1]
	s_mov_b32 s1, exec_lo
                                        ; implicit-def: $vgpr3
	v_and_b32_e32 v7, 0x7fffffff, v2
	s_delay_alu instid0(VALU_DEP_1)
	v_cmpx_gt_u32_e32 0x47800000, v7
	s_xor_b32 s1, exec_lo, s1
	s_cbranch_execz .LBB118_1099
; %bb.1094:
	s_mov_b32 s29, exec_lo
                                        ; implicit-def: $vgpr3
	v_cmpx_lt_u32_e32 0x387fffff, v7
	s_xor_b32 s29, exec_lo, s29
; %bb.1095:
	v_bfe_u32 v3, v2, 21, 1
	s_delay_alu instid0(VALU_DEP_1) | instskip(NEXT) | instid1(VALU_DEP_1)
	v_add3_u32 v3, v2, v3, 0x80fffff
	v_lshrrev_b32_e32 v3, 21, v3
; %bb.1096:
	s_and_not1_saveexec_b32 s29, s29
; %bb.1097:
	v_add_f32_e64 v3, 0x43000000, |v2|
; %bb.1098:
	s_or_b32 exec_lo, exec_lo, s29
                                        ; implicit-def: $vgpr7
.LBB118_1099:
	s_and_not1_saveexec_b32 s1, s1
; %bb.1100:
	v_mov_b32_e32 v3, 0x7f
	v_cmp_lt_u32_e32 vcc_lo, 0x7f800000, v7
	s_delay_alu instid0(VALU_DEP_2)
	v_cndmask_b32_e32 v3, 0x7c, v3, vcc_lo
; %bb.1101:
	s_or_b32 exec_lo, exec_lo, s1
	v_lshrrev_b32_e32 v2, 24, v2
	s_delay_alu instid0(VALU_DEP_1)
	v_and_or_b32 v2, 0x80, v2, v3
	global_store_b8 v[4:5], v2, off
.LBB118_1102:
	s_mov_b32 s29, 0
	s_mov_b32 s1, -1
.LBB118_1103:
	s_and_not1_b32 vcc_lo, exec_lo, s29
	s_cbranch_vccnz .LBB118_1111
; %bb.1104:
	v_cmp_lt_i16_e32 vcc_lo, 14, v6
	s_mov_b32 s29, -1
	s_cbranch_vccz .LBB118_1108
; %bb.1105:
	v_cmp_eq_u16_e32 vcc_lo, 15, v6
	s_mov_b32 s0, -1
	s_cbranch_vccz .LBB118_1107
; %bb.1106:
	v_cvt_f32_f64_e32 v2, v[0:1]
	s_mov_b32 s1, -1
	s_mov_b32 s0, 0
	s_delay_alu instid0(VALU_DEP_1) | instskip(SKIP_1) | instid1(VALU_DEP_2)
	v_bfe_u32 v3, v2, 16, 1
	v_cmp_o_f32_e32 vcc_lo, v2, v2
	v_add3_u32 v3, v2, v3, 0x7fff
	s_delay_alu instid0(VALU_DEP_1) | instskip(NEXT) | instid1(VALU_DEP_1)
	v_lshrrev_b32_e32 v3, 16, v3
	v_cndmask_b32_e32 v2, 0x7fc0, v3, vcc_lo
	global_store_b16 v[4:5], v2, off
.LBB118_1107:
	s_mov_b32 s29, 0
.LBB118_1108:
	s_delay_alu instid0(SALU_CYCLE_1)
	s_and_b32 vcc_lo, exec_lo, s29
	s_cbranch_vccz .LBB118_1111
; %bb.1109:
	v_cmp_eq_u16_e32 vcc_lo, 11, v6
	s_mov_b32 s0, -1
	s_cbranch_vccz .LBB118_1111
; %bb.1110:
	v_cmp_neq_f64_e32 vcc_lo, 0, v[0:1]
	s_mov_b32 s1, -1
	s_mov_b32 s0, 0
	v_cndmask_b32_e64 v2, 0, 1, vcc_lo
	global_store_b8 v[4:5], v2, off
.LBB118_1111:
	s_mov_b32 s29, 0
.LBB118_1112:
	s_delay_alu instid0(SALU_CYCLE_1)
	s_and_b32 vcc_lo, exec_lo, s29
	s_cbranch_vccz .LBB118_1151
; %bb.1113:
	v_cmp_gt_i16_e32 vcc_lo, 5, v6
	s_mov_b32 s1, -1
	s_cbranch_vccnz .LBB118_1134
; %bb.1114:
	v_cmp_gt_i16_e32 vcc_lo, 8, v6
	s_cbranch_vccnz .LBB118_1124
; %bb.1115:
	v_cmp_gt_i16_e32 vcc_lo, 9, v6
	s_cbranch_vccnz .LBB118_1121
; %bb.1116:
	v_cmp_lt_i16_e32 vcc_lo, 9, v6
	s_cbranch_vccz .LBB118_1118
; %bb.1117:
	v_mov_b32_e32 v2, 0
	s_mov_b32 s1, 0
	s_delay_alu instid0(VALU_DEP_1)
	v_mov_b32_e32 v3, v2
	global_store_b128 v[4:5], v[0:3], off
.LBB118_1118:
	s_and_not1_b32 vcc_lo, exec_lo, s1
	s_cbranch_vccnz .LBB118_1120
; %bb.1119:
	v_cvt_f32_f64_e32 v2, v[0:1]
	v_mov_b32_e32 v3, 0
	global_store_b64 v[4:5], v[2:3], off
.LBB118_1120:
	s_mov_b32 s1, 0
.LBB118_1121:
	s_delay_alu instid0(SALU_CYCLE_1)
	s_and_not1_b32 vcc_lo, exec_lo, s1
	s_cbranch_vccnz .LBB118_1123
; %bb.1122:
	s_delay_alu instid0(VALU_DEP_4) | instskip(NEXT) | instid1(VALU_DEP_1)
	v_cvt_f32_f64_e32 v2, v[0:1]
	v_cvt_f16_f32_e32 v2, v2
	s_delay_alu instid0(VALU_DEP_1)
	v_and_b32_e32 v2, 0xffff, v2
	global_store_b32 v[4:5], v2, off
.LBB118_1123:
	s_mov_b32 s1, 0
.LBB118_1124:
	s_delay_alu instid0(SALU_CYCLE_1)
	s_and_not1_b32 vcc_lo, exec_lo, s1
	s_cbranch_vccnz .LBB118_1133
; %bb.1125:
	v_cmp_gt_i16_e32 vcc_lo, 6, v6
	s_mov_b32 s1, -1
	s_cbranch_vccnz .LBB118_1131
; %bb.1126:
	v_cmp_lt_i16_e32 vcc_lo, 6, v6
	s_cbranch_vccz .LBB118_1128
; %bb.1127:
	s_mov_b32 s1, 0
	global_store_b64 v[4:5], v[0:1], off
.LBB118_1128:
	s_and_not1_b32 vcc_lo, exec_lo, s1
	s_cbranch_vccnz .LBB118_1130
; %bb.1129:
	v_cvt_f32_f64_e32 v2, v[0:1]
	global_store_b32 v[4:5], v2, off
.LBB118_1130:
	s_mov_b32 s1, 0
.LBB118_1131:
	s_delay_alu instid0(SALU_CYCLE_1)
	s_and_not1_b32 vcc_lo, exec_lo, s1
	s_cbranch_vccnz .LBB118_1133
; %bb.1132:
	s_delay_alu instid0(VALU_DEP_4) | instskip(NEXT) | instid1(VALU_DEP_1)
	v_cvt_f32_f64_e32 v2, v[0:1]
	v_cvt_f16_f32_e32 v2, v2
	global_store_b16 v[4:5], v2, off
.LBB118_1133:
	s_mov_b32 s1, 0
.LBB118_1134:
	s_delay_alu instid0(SALU_CYCLE_1)
	s_and_not1_b32 vcc_lo, exec_lo, s1
	s_cbranch_vccnz .LBB118_1150
; %bb.1135:
	v_cmp_gt_i16_e32 vcc_lo, 2, v6
	s_mov_b32 s1, -1
	s_cbranch_vccnz .LBB118_1145
; %bb.1136:
	v_cmp_gt_i16_e32 vcc_lo, 3, v6
	s_cbranch_vccnz .LBB118_1142
; %bb.1137:
	v_cmp_lt_i16_e32 vcc_lo, 3, v6
	s_cbranch_vccz .LBB118_1139
; %bb.1138:
	v_trunc_f64_e32 v[2:3], v[0:1]
	s_mov_b32 s1, 0
	s_delay_alu instid0(VALU_DEP_1) | instskip(NEXT) | instid1(VALU_DEP_1)
	v_ldexp_f64 v[7:8], v[2:3], 0xffffffe0
	v_floor_f64_e32 v[7:8], v[7:8]
	s_delay_alu instid0(VALU_DEP_1) | instskip(SKIP_1) | instid1(VALU_DEP_2)
	v_fma_f64 v[2:3], 0xc1f00000, v[7:8], v[2:3]
	v_cvt_i32_f64_e32 v8, v[7:8]
	v_cvt_u32_f64_e32 v7, v[2:3]
	global_store_b64 v[4:5], v[7:8], off
.LBB118_1139:
	s_and_not1_b32 vcc_lo, exec_lo, s1
	s_cbranch_vccnz .LBB118_1141
; %bb.1140:
	v_cvt_i32_f64_e32 v2, v[0:1]
	global_store_b32 v[4:5], v2, off
.LBB118_1141:
	s_mov_b32 s1, 0
.LBB118_1142:
	s_delay_alu instid0(SALU_CYCLE_1)
	s_and_not1_b32 vcc_lo, exec_lo, s1
	s_cbranch_vccnz .LBB118_1144
; %bb.1143:
	s_delay_alu instid0(VALU_DEP_4)
	v_cvt_i32_f64_e32 v2, v[0:1]
	global_store_b16 v[4:5], v2, off
.LBB118_1144:
	s_mov_b32 s1, 0
.LBB118_1145:
	s_delay_alu instid0(SALU_CYCLE_1)
	s_and_not1_b32 vcc_lo, exec_lo, s1
	s_cbranch_vccnz .LBB118_1150
; %bb.1146:
	v_cmp_lt_i16_e32 vcc_lo, 0, v6
	s_mov_b32 s1, -1
	s_cbranch_vccz .LBB118_1148
; %bb.1147:
	s_delay_alu instid0(VALU_DEP_4)
	v_cvt_i32_f64_e32 v2, v[0:1]
	s_mov_b32 s1, 0
	global_store_b8 v[4:5], v2, off
.LBB118_1148:
	s_and_not1_b32 vcc_lo, exec_lo, s1
	s_cbranch_vccnz .LBB118_1150
; %bb.1149:
	s_delay_alu instid0(VALU_DEP_4) | instskip(NEXT) | instid1(VALU_DEP_1)
	v_trunc_f64_e32 v[0:1], v[0:1]
	v_ldexp_f64 v[2:3], v[0:1], 0xffffffe0
	s_delay_alu instid0(VALU_DEP_1) | instskip(NEXT) | instid1(VALU_DEP_1)
	v_floor_f64_e32 v[2:3], v[2:3]
	v_fma_f64 v[0:1], 0xc1f00000, v[2:3], v[0:1]
	s_delay_alu instid0(VALU_DEP_1)
	v_cvt_u32_f64_e32 v0, v[0:1]
	global_store_b8 v[4:5], v0, off
.LBB118_1150:
	s_mov_b32 s1, -1
.LBB118_1151:
	s_delay_alu instid0(SALU_CYCLE_1)
	s_and_not1_b32 vcc_lo, exec_lo, s1
	s_mov_b32 s1, 0
	s_cbranch_vccnz .LBB118_1153
; %bb.1152:
	v_add_nc_u32_e32 v10, 0x80, v10
	s_mov_b32 s31, -1
	s_branch .LBB118_1155
.LBB118_1153:
	s_mov_b32 s31, 0
.LBB118_1154:
                                        ; implicit-def: $vgpr10
.LBB118_1155:
	s_and_not1_b32 s29, s24, exec_lo
	s_and_b32 s0, s0, exec_lo
	s_and_b32 s1, s1, exec_lo
	s_or_b32 s29, s29, s0
	s_and_not1_b32 s0, s25, exec_lo
	s_and_not1_b32 s33, s23, exec_lo
	s_and_b32 s28, s28, exec_lo
	s_or_b32 s30, s0, s1
	s_or_b32 s28, s33, s28
	s_or_not1_b32 s33, s31, exec_lo
.LBB118_1156:
	s_or_b32 exec_lo, exec_lo, s27
	s_mov_b32 s1, 0
	s_mov_b32 s31, 0
	;; [unrolled: 1-line block ×3, first 2 shown]
                                        ; implicit-def: $vgpr4
                                        ; implicit-def: $vgpr0_vgpr1
                                        ; implicit-def: $vgpr2_vgpr3
	s_and_saveexec_b32 s27, s33
	s_cbranch_execz .LBB118_1239
; %bb.1157:
	v_cmp_gt_i32_e32 vcc_lo, s19, v10
	s_mov_b32 s33, s28
	s_mov_b32 s34, 0
                                        ; implicit-def: $vgpr4
                                        ; implicit-def: $vgpr0_vgpr1
                                        ; implicit-def: $vgpr2_vgpr3
	s_and_saveexec_b32 s19, vcc_lo
	s_cbranch_execz .LBB118_1238
; %bb.1158:
	s_waitcnt vmcnt(0)
	v_mul_lo_u32 v0, v10, s9
	v_and_b32_e64 v4, 0xff, s16
	s_delay_alu instid0(VALU_DEP_1) | instskip(NEXT) | instid1(VALU_DEP_3)
	v_cmp_gt_i16_e32 vcc_lo, 11, v4
	v_ashrrev_i32_e32 v1, 31, v0
	v_add_co_u32 v0, s0, s6, v0
	s_delay_alu instid0(VALU_DEP_1)
	v_add_co_ci_u32_e64 v1, s0, s7, v1, s0
	s_cbranch_vccnz .LBB118_1165
; %bb.1159:
	v_cmp_lt_i16_e32 vcc_lo, 25, v4
	s_mov_b32 s33, 0
	s_cbranch_vccz .LBB118_1166
; %bb.1160:
	v_cmp_lt_i16_e32 vcc_lo, 28, v4
	s_cbranch_vccz .LBB118_1167
; %bb.1161:
	v_cmp_lt_i16_e32 vcc_lo, 43, v4
	;; [unrolled: 3-line block ×3, first 2 shown]
	s_cbranch_vccz .LBB118_1169
; %bb.1163:
	v_cmp_eq_u16_e32 vcc_lo, 46, v4
	s_cbranch_vccz .LBB118_1172
; %bb.1164:
	global_load_b32 v2, v[0:1], off
	s_mov_b32 s0, -1
	s_waitcnt vmcnt(0)
	v_lshlrev_b32_e32 v2, 16, v2
	s_delay_alu instid0(VALU_DEP_1)
	v_cvt_f64_f32_e32 v[2:3], v2
	s_branch .LBB118_1174
.LBB118_1165:
	s_mov_b32 s1, -1
	s_mov_b32 s0, 0
	s_mov_b32 s33, 0
	s_mov_b32 s31, s28
                                        ; implicit-def: $vgpr2_vgpr3
	s_branch .LBB118_1237
.LBB118_1166:
	s_mov_b32 s1, -1
	s_mov_b32 s0, 0
	s_mov_b32 s31, s28
                                        ; implicit-def: $vgpr2_vgpr3
	s_branch .LBB118_1205
.LBB118_1167:
	s_mov_b32 s1, -1
	s_mov_b32 s0, 0
	s_mov_b32 s31, s28
                                        ; implicit-def: $vgpr2_vgpr3
	s_branch .LBB118_1184
.LBB118_1168:
	s_mov_b32 s1, -1
	s_mov_b32 s0, 0
	s_mov_b32 s31, s28
                                        ; implicit-def: $vgpr2_vgpr3
	s_branch .LBB118_1179
.LBB118_1169:
	s_mov_b32 s1, -1
	s_mov_b32 s0, 0
	s_mov_b32 s31, s28
	s_branch .LBB118_1173
.LBB118_1170:
	s_or_saveexec_b32 s30, s30
                                        ; implicit-def: $sgpr31
	s_delay_alu instid0(SALU_CYCLE_1)
	s_xor_b32 exec_lo, exec_lo, s30
	s_cbranch_execz .LBB118_1064
.LBB118_1171:
	v_add_f32_e64 v3, 0x46000000, |v2|
	s_and_not1_b32 s29, s29, exec_lo
	s_mov_b32 s31, 0
	s_delay_alu instid0(VALU_DEP_1) | instskip(NEXT) | instid1(VALU_DEP_1)
	v_and_b32_e32 v3, 0xff, v3
	v_cmp_ne_u32_e32 vcc_lo, 0, v3
	s_and_b32 s33, vcc_lo, exec_lo
	s_delay_alu instid0(SALU_CYCLE_1)
	s_or_b32 s29, s29, s33
	s_or_b32 exec_lo, exec_lo, s30
	v_mov_b32_e32 v7, s31
	s_and_saveexec_b32 s30, s29
	s_cbranch_execnz .LBB118_1065
	s_branch .LBB118_1066
.LBB118_1172:
	s_mov_b32 s31, -1
	s_mov_b32 s0, 0
.LBB118_1173:
                                        ; implicit-def: $vgpr2_vgpr3
.LBB118_1174:
	s_and_b32 vcc_lo, exec_lo, s1
	s_cbranch_vccz .LBB118_1178
; %bb.1175:
	v_cmp_eq_u16_e32 vcc_lo, 44, v4
	s_cbranch_vccz .LBB118_1177
; %bb.1176:
	global_load_u8 v5, v[0:1], off
	s_mov_b32 s31, 0
	s_mov_b32 s0, -1
	s_waitcnt vmcnt(0)
	v_cmp_ne_u32_e32 vcc_lo, 0xff, v5
	v_lshlrev_b32_e32 v2, 23, v5
	s_delay_alu instid0(VALU_DEP_1) | instskip(NEXT) | instid1(VALU_DEP_1)
	v_cvt_f64_f32_e32 v[2:3], v2
	v_cndmask_b32_e32 v3, 0x7ff80000, v3, vcc_lo
	s_delay_alu instid0(VALU_DEP_2) | instskip(SKIP_1) | instid1(VALU_DEP_3)
	v_cndmask_b32_e32 v2, 0x20000000, v2, vcc_lo
	v_cmp_ne_u32_e32 vcc_lo, 0, v5
	v_cndmask_b32_e32 v3, 0x38000000, v3, vcc_lo
	s_delay_alu instid0(VALU_DEP_3)
	v_cndmask_b32_e32 v2, 0, v2, vcc_lo
	s_branch .LBB118_1178
.LBB118_1177:
	s_mov_b32 s31, -1
                                        ; implicit-def: $vgpr2_vgpr3
.LBB118_1178:
	s_mov_b32 s1, 0
.LBB118_1179:
	s_delay_alu instid0(SALU_CYCLE_1)
	s_and_b32 vcc_lo, exec_lo, s1
	s_cbranch_vccz .LBB118_1183
; %bb.1180:
	v_cmp_eq_u16_e32 vcc_lo, 29, v4
	s_cbranch_vccz .LBB118_1182
; %bb.1181:
	global_load_b64 v[2:3], v[0:1], off
	s_mov_b32 s31, 0
	s_mov_b32 s0, -1
	s_mov_b32 s1, 0
	s_waitcnt vmcnt(0)
	v_cvt_f64_u32_e32 v[5:6], v3
	v_cvt_f64_u32_e32 v[2:3], v2
	s_delay_alu instid0(VALU_DEP_2) | instskip(NEXT) | instid1(VALU_DEP_1)
	v_ldexp_f64 v[5:6], v[5:6], 32
	v_add_f64 v[2:3], v[5:6], v[2:3]
	s_branch .LBB118_1184
.LBB118_1182:
	s_mov_b32 s31, -1
                                        ; implicit-def: $vgpr2_vgpr3
.LBB118_1183:
	s_mov_b32 s1, 0
.LBB118_1184:
	s_delay_alu instid0(SALU_CYCLE_1)
	s_and_b32 vcc_lo, exec_lo, s1
	s_cbranch_vccz .LBB118_1204
; %bb.1185:
	v_cmp_gt_i16_e32 vcc_lo, 27, v4
	s_cbranch_vccnz .LBB118_1188
; %bb.1186:
	v_cmp_lt_i16_e32 vcc_lo, 27, v4
	s_cbranch_vccz .LBB118_1189
; %bb.1187:
	global_load_b32 v2, v[0:1], off
	s_mov_b32 s0, 0
	s_waitcnt vmcnt(0)
	v_cvt_f64_u32_e32 v[2:3], v2
	s_branch .LBB118_1190
.LBB118_1188:
	s_mov_b32 s0, -1
                                        ; implicit-def: $vgpr2_vgpr3
	s_branch .LBB118_1193
.LBB118_1189:
	s_mov_b32 s0, -1
                                        ; implicit-def: $vgpr2_vgpr3
.LBB118_1190:
	s_delay_alu instid0(SALU_CYCLE_1)
	s_and_not1_b32 vcc_lo, exec_lo, s0
	s_cbranch_vccnz .LBB118_1192
; %bb.1191:
	global_load_u16 v2, v[0:1], off
	s_waitcnt vmcnt(0)
	v_cvt_f64_u32_e32 v[2:3], v2
.LBB118_1192:
	s_mov_b32 s0, 0
.LBB118_1193:
	s_delay_alu instid0(SALU_CYCLE_1)
	s_and_not1_b32 vcc_lo, exec_lo, s0
	s_cbranch_vccnz .LBB118_1203
; %bb.1194:
	global_load_u8 v5, v[0:1], off
	s_mov_b32 s35, exec_lo
                                        ; implicit-def: $sgpr0_sgpr1
	s_waitcnt vmcnt(0)
	v_cmpx_lt_i16_e32 0x7f, v5
	s_xor_b32 s35, exec_lo, s35
	s_cbranch_execz .LBB118_1198
; %bb.1195:
	s_mov_b32 s36, -1
	s_mov_b32 s34, exec_lo
                                        ; implicit-def: $sgpr0_sgpr1
	v_cmpx_eq_u16_e32 0x80, v5
; %bb.1196:
	s_mov_b32 s1, 0x7ff80000
	s_brev_b32 s0, 4
	s_xor_b32 s36, exec_lo, -1
; %bb.1197:
	s_or_b32 exec_lo, exec_lo, s34
	s_delay_alu instid0(SALU_CYCLE_1)
	s_and_b32 s34, s36, exec_lo
.LBB118_1198:
	s_or_saveexec_b32 s35, s35
	v_dual_mov_b32 v3, s1 :: v_dual_mov_b32 v2, s0
	s_xor_b32 exec_lo, exec_lo, s35
; %bb.1199:
	v_cmp_ne_u16_e32 vcc_lo, 0, v5
	v_mov_b32_e32 v2, 0
	v_mov_b32_e32 v3, 0
	s_and_not1_b32 s0, s34, exec_lo
	s_and_b32 s1, vcc_lo, exec_lo
	s_delay_alu instid0(SALU_CYCLE_1)
	s_or_b32 s34, s0, s1
; %bb.1200:
	s_or_b32 exec_lo, exec_lo, s35
	s_and_saveexec_b32 s0, s34
	s_cbranch_execz .LBB118_1202
; %bb.1201:
	v_and_b32_e32 v2, 0xffff, v5
	v_lshlrev_b32_e32 v5, 24, v5
	s_delay_alu instid0(VALU_DEP_2) | instskip(NEXT) | instid1(VALU_DEP_2)
	v_and_b32_e32 v3, 7, v2
	v_and_b32_e32 v5, 0x80000000, v5
	s_delay_alu instid0(VALU_DEP_2) | instskip(NEXT) | instid1(VALU_DEP_1)
	v_clz_i32_u32_e32 v6, v3
	v_min_u32_e32 v6, 32, v6
	s_delay_alu instid0(VALU_DEP_1) | instskip(SKIP_1) | instid1(VALU_DEP_2)
	v_subrev_nc_u32_e32 v7, 28, v6
	v_sub_nc_u32_e32 v6, 29, v6
	v_lshlrev_b32_e32 v7, v7, v2
	v_bfe_u32 v2, v2, 3, 4
	s_delay_alu instid0(VALU_DEP_1) | instskip(NEXT) | instid1(VALU_DEP_3)
	v_cmp_eq_u32_e32 vcc_lo, 0, v2
	v_dual_cndmask_b32 v2, v2, v6 :: v_dual_and_b32 v7, 7, v7
	s_delay_alu instid0(VALU_DEP_1) | instskip(NEXT) | instid1(VALU_DEP_2)
	v_cndmask_b32_e32 v3, v3, v7, vcc_lo
	v_lshl_add_u32 v2, v2, 23, 0x3b800000
	s_delay_alu instid0(VALU_DEP_2) | instskip(NEXT) | instid1(VALU_DEP_1)
	v_lshlrev_b32_e32 v3, 20, v3
	v_or3_b32 v2, v5, v2, v3
	s_delay_alu instid0(VALU_DEP_1)
	v_cvt_f64_f32_e32 v[2:3], v2
.LBB118_1202:
	s_or_b32 exec_lo, exec_lo, s0
.LBB118_1203:
	s_mov_b32 s0, -1
.LBB118_1204:
	s_mov_b32 s1, 0
.LBB118_1205:
	s_delay_alu instid0(SALU_CYCLE_1)
	s_and_b32 vcc_lo, exec_lo, s1
	s_cbranch_vccz .LBB118_1236
; %bb.1206:
	v_cmp_lt_i16_e32 vcc_lo, 22, v4
	s_cbranch_vccz .LBB118_1218
; %bb.1207:
	v_cmp_gt_i16_e32 vcc_lo, 24, v4
	s_cbranch_vccnz .LBB118_1219
; %bb.1208:
	v_cmp_lt_i16_e32 vcc_lo, 24, v4
	s_cbranch_vccz .LBB118_1220
; %bb.1209:
	global_load_u8 v5, v[0:1], off
	s_mov_b32 s34, exec_lo
                                        ; implicit-def: $sgpr0_sgpr1
	s_waitcnt vmcnt(0)
	v_cmpx_lt_i16_e32 0x7f, v5
	s_xor_b32 s34, exec_lo, s34
	s_cbranch_execz .LBB118_1213
; %bb.1210:
	s_mov_b32 s35, -1
	s_mov_b32 s33, exec_lo
                                        ; implicit-def: $sgpr0_sgpr1
	v_cmpx_eq_u16_e32 0x80, v5
; %bb.1211:
	s_mov_b32 s1, 0x7ff80000
	s_brev_b32 s0, 4
	s_xor_b32 s35, exec_lo, -1
; %bb.1212:
	s_or_b32 exec_lo, exec_lo, s33
	s_delay_alu instid0(SALU_CYCLE_1)
	s_and_b32 s33, s35, exec_lo
.LBB118_1213:
	s_or_saveexec_b32 s34, s34
	v_dual_mov_b32 v3, s1 :: v_dual_mov_b32 v2, s0
	s_xor_b32 exec_lo, exec_lo, s34
; %bb.1214:
	v_cmp_ne_u16_e32 vcc_lo, 0, v5
	v_mov_b32_e32 v2, 0
	v_mov_b32_e32 v3, 0
	s_and_not1_b32 s0, s33, exec_lo
	s_and_b32 s1, vcc_lo, exec_lo
	s_delay_alu instid0(SALU_CYCLE_1)
	s_or_b32 s33, s0, s1
; %bb.1215:
	s_or_b32 exec_lo, exec_lo, s34
	s_and_saveexec_b32 s0, s33
	s_cbranch_execz .LBB118_1217
; %bb.1216:
	v_and_b32_e32 v2, 0xffff, v5
	v_lshlrev_b32_e32 v5, 24, v5
	s_delay_alu instid0(VALU_DEP_2) | instskip(NEXT) | instid1(VALU_DEP_2)
	v_and_b32_e32 v3, 3, v2
	v_and_b32_e32 v5, 0x80000000, v5
	s_delay_alu instid0(VALU_DEP_2) | instskip(NEXT) | instid1(VALU_DEP_1)
	v_clz_i32_u32_e32 v6, v3
	v_min_u32_e32 v6, 32, v6
	s_delay_alu instid0(VALU_DEP_1) | instskip(SKIP_1) | instid1(VALU_DEP_2)
	v_subrev_nc_u32_e32 v7, 29, v6
	v_sub_nc_u32_e32 v6, 30, v6
	v_lshlrev_b32_e32 v7, v7, v2
	v_bfe_u32 v2, v2, 2, 5
	s_delay_alu instid0(VALU_DEP_1) | instskip(NEXT) | instid1(VALU_DEP_3)
	v_cmp_eq_u32_e32 vcc_lo, 0, v2
	v_dual_cndmask_b32 v2, v2, v6 :: v_dual_and_b32 v7, 3, v7
	s_delay_alu instid0(VALU_DEP_1) | instskip(NEXT) | instid1(VALU_DEP_2)
	v_cndmask_b32_e32 v3, v3, v7, vcc_lo
	v_lshl_add_u32 v2, v2, 23, 0x37800000
	s_delay_alu instid0(VALU_DEP_2) | instskip(NEXT) | instid1(VALU_DEP_1)
	v_lshlrev_b32_e32 v3, 21, v3
	v_or3_b32 v2, v5, v2, v3
	s_delay_alu instid0(VALU_DEP_1)
	v_cvt_f64_f32_e32 v[2:3], v2
.LBB118_1217:
	s_or_b32 exec_lo, exec_lo, s0
	s_mov_b32 s0, 0
	s_branch .LBB118_1221
.LBB118_1218:
	s_mov_b32 s1, -1
                                        ; implicit-def: $vgpr2_vgpr3
	s_branch .LBB118_1227
.LBB118_1219:
	s_mov_b32 s0, -1
                                        ; implicit-def: $vgpr2_vgpr3
	s_branch .LBB118_1224
.LBB118_1220:
	s_mov_b32 s0, -1
                                        ; implicit-def: $vgpr2_vgpr3
.LBB118_1221:
	s_delay_alu instid0(SALU_CYCLE_1)
	s_and_b32 vcc_lo, exec_lo, s0
	s_cbranch_vccz .LBB118_1223
; %bb.1222:
	global_load_u8 v2, v[0:1], off
	s_waitcnt vmcnt(0)
	v_lshlrev_b32_e32 v2, 24, v2
	s_delay_alu instid0(VALU_DEP_1) | instskip(NEXT) | instid1(VALU_DEP_1)
	v_and_b32_e32 v3, 0x7f000000, v2
	v_clz_i32_u32_e32 v5, v3
	v_add_nc_u32_e32 v7, 0x1000000, v3
	v_cmp_ne_u32_e32 vcc_lo, 0, v3
	s_delay_alu instid0(VALU_DEP_3) | instskip(NEXT) | instid1(VALU_DEP_1)
	v_min_u32_e32 v5, 32, v5
	v_sub_nc_u32_e64 v5, v5, 4 clamp
	s_delay_alu instid0(VALU_DEP_1) | instskip(SKIP_1) | instid1(VALU_DEP_2)
	v_lshlrev_b32_e32 v6, v5, v3
	v_lshlrev_b32_e32 v5, 23, v5
	v_lshrrev_b32_e32 v6, 4, v6
	s_delay_alu instid0(VALU_DEP_1) | instskip(SKIP_1) | instid1(VALU_DEP_2)
	v_sub_nc_u32_e32 v5, v6, v5
	v_ashrrev_i32_e32 v6, 8, v7
	v_add_nc_u32_e32 v5, 0x3c000000, v5
	s_delay_alu instid0(VALU_DEP_1) | instskip(NEXT) | instid1(VALU_DEP_1)
	v_and_or_b32 v5, 0x7f800000, v6, v5
	v_cndmask_b32_e32 v3, 0, v5, vcc_lo
	s_delay_alu instid0(VALU_DEP_1) | instskip(NEXT) | instid1(VALU_DEP_1)
	v_and_or_b32 v2, 0x80000000, v2, v3
	v_cvt_f64_f32_e32 v[2:3], v2
.LBB118_1223:
	s_mov_b32 s0, 0
.LBB118_1224:
	s_delay_alu instid0(SALU_CYCLE_1)
	s_and_not1_b32 vcc_lo, exec_lo, s0
	s_cbranch_vccnz .LBB118_1226
; %bb.1225:
	global_load_u8 v2, v[0:1], off
	s_waitcnt vmcnt(0)
	v_lshlrev_b32_e32 v3, 25, v2
	v_lshlrev_b16 v2, 8, v2
	s_delay_alu instid0(VALU_DEP_2) | instskip(NEXT) | instid1(VALU_DEP_2)
	v_lshrrev_b32_e32 v5, 4, v3
	v_and_or_b32 v6, 0x7f00, v2, 0.5
	v_cmp_gt_u32_e32 vcc_lo, 0x8000000, v3
	v_bfe_i32 v2, v2, 0, 16
	s_delay_alu instid0(VALU_DEP_4) | instskip(NEXT) | instid1(VALU_DEP_1)
	v_or_b32_e32 v5, 0x70000000, v5
	v_dual_add_f32 v6, -0.5, v6 :: v_dual_mul_f32 v5, 0x7800000, v5
	s_delay_alu instid0(VALU_DEP_1) | instskip(NEXT) | instid1(VALU_DEP_1)
	v_cndmask_b32_e32 v3, v5, v6, vcc_lo
	v_and_or_b32 v2, 0x80000000, v2, v3
	s_delay_alu instid0(VALU_DEP_1)
	v_cvt_f64_f32_e32 v[2:3], v2
.LBB118_1226:
	s_mov_b32 s1, 0
	s_mov_b32 s0, -1
.LBB118_1227:
	s_and_not1_b32 vcc_lo, exec_lo, s1
	s_mov_b32 s33, 0
	s_cbranch_vccnz .LBB118_1236
; %bb.1228:
	v_cmp_lt_i16_e32 vcc_lo, 14, v4
	s_cbranch_vccz .LBB118_1231
; %bb.1229:
	v_cmp_eq_u16_e32 vcc_lo, 15, v4
	s_cbranch_vccz .LBB118_1232
; %bb.1230:
	global_load_u16 v2, v[0:1], off
	s_mov_b32 s31, 0
	s_mov_b32 s0, -1
	s_waitcnt vmcnt(0)
	v_lshlrev_b32_e32 v2, 16, v2
	s_delay_alu instid0(VALU_DEP_1)
	v_cvt_f64_f32_e32 v[2:3], v2
	s_branch .LBB118_1233
.LBB118_1231:
	s_mov_b32 s1, -1
                                        ; implicit-def: $vgpr2_vgpr3
	s_branch .LBB118_1234
.LBB118_1232:
	s_mov_b32 s31, -1
                                        ; implicit-def: $vgpr2_vgpr3
.LBB118_1233:
	s_mov_b32 s1, 0
.LBB118_1234:
	s_delay_alu instid0(SALU_CYCLE_1)
	s_and_b32 vcc_lo, exec_lo, s1
	s_cbranch_vccz .LBB118_1236
; %bb.1235:
	v_cmp_ne_u16_e32 vcc_lo, 11, v4
	s_and_not1_b32 s1, s31, exec_lo
	s_mov_b32 s33, -1
                                        ; implicit-def: $vgpr2_vgpr3
	s_and_b32 s31, vcc_lo, exec_lo
	s_delay_alu instid0(SALU_CYCLE_1)
	s_or_b32 s31, s1, s31
.LBB118_1236:
	s_mov_b32 s1, 0
.LBB118_1237:
	s_and_not1_b32 s35, s28, exec_lo
	s_and_b32 s31, s31, exec_lo
	s_and_b32 s0, s0, exec_lo
	;; [unrolled: 1-line block ×4, first 2 shown]
	s_or_b32 s33, s35, s31
.LBB118_1238:
	s_or_b32 exec_lo, exec_lo, s19
	s_delay_alu instid0(SALU_CYCLE_1)
	s_and_not1_b32 s19, s28, exec_lo
	s_and_b32 s28, s33, exec_lo
	s_and_b32 s0, s0, exec_lo
	;; [unrolled: 1-line block ×4, first 2 shown]
	s_or_b32 s28, s19, s28
.LBB118_1239:
	s_or_b32 exec_lo, exec_lo, s27
	s_delay_alu instid0(SALU_CYCLE_1)
	s_and_not1_b32 s19, s24, exec_lo
	s_and_b32 s24, s29, exec_lo
	s_and_not1_b32 s25, s25, exec_lo
	s_and_b32 s27, s30, exec_lo
	s_or_b32 s24, s19, s24
	s_and_not1_b32 s19, s23, exec_lo
	s_and_b32 s23, s28, exec_lo
	s_or_b32 s25, s25, s27
	s_and_b32 s0, s0, exec_lo
	s_and_b32 s27, s31, exec_lo
	;; [unrolled: 1-line block ×3, first 2 shown]
	s_or_b32 s23, s19, s23
.LBB118_1240:
	s_or_b32 exec_lo, exec_lo, s26
	s_delay_alu instid0(SALU_CYCLE_1)
	s_and_not1_b32 s18, s18, exec_lo
	s_and_b32 s19, s24, exec_lo
	s_and_not1_b32 s20, s20, exec_lo
	s_and_b32 s24, s25, exec_lo
	s_or_b32 s18, s18, s19
	s_and_not1_b32 s19, s21, exec_lo
	s_and_b32 s21, s23, exec_lo
	s_or_b32 s20, s20, s24
	s_and_b32 s0, s0, exec_lo
	s_and_b32 s24, s27, exec_lo
	;; [unrolled: 1-line block ×3, first 2 shown]
	s_or_b32 s21, s19, s21
.LBB118_1241:
	s_or_b32 exec_lo, exec_lo, s22
	s_mov_b32 s1, 0
	s_and_saveexec_b32 s19, s21
	s_cbranch_execnz .LBB118_1253
; %bb.1242:
	s_or_b32 exec_lo, exec_lo, s19
	s_and_saveexec_b32 s19, s23
	s_delay_alu instid0(SALU_CYCLE_1)
	s_xor_b32 s19, exec_lo, s19
	s_cbranch_execz .LBB118_1244
.LBB118_1243:
	s_waitcnt vmcnt(0)
	global_load_u8 v2, v[0:1], off
	s_or_b32 s0, s0, exec_lo
	s_waitcnt vmcnt(0)
	v_cmp_ne_u16_e32 vcc_lo, 0, v2
	v_mov_b32_e32 v2, 0
	v_cndmask_b32_e64 v3, 0, 0x3ff00000, vcc_lo
.LBB118_1244:
	s_or_b32 exec_lo, exec_lo, s19
	s_and_saveexec_b32 s19, s24
	s_cbranch_execz .LBB118_1292
; %bb.1245:
	v_cmp_gt_i16_e32 vcc_lo, 5, v4
	s_cbranch_vccnz .LBB118_1250
; %bb.1246:
	v_cmp_gt_i16_e32 vcc_lo, 8, v4
	s_cbranch_vccnz .LBB118_1251
; %bb.1247:
	v_cmp_gt_i16_e32 vcc_lo, 9, v4
	s_cbranch_vccnz .LBB118_1252
; %bb.1248:
	v_cmp_lt_i16_e32 vcc_lo, 9, v4
	s_cbranch_vccz .LBB118_1255
; %bb.1249:
	s_waitcnt vmcnt(0)
	global_load_b64 v[2:3], v[0:1], off
	s_mov_b32 s21, 0
	s_branch .LBB118_1256
.LBB118_1250:
                                        ; implicit-def: $vgpr2_vgpr3
	s_branch .LBB118_1273
.LBB118_1251:
                                        ; implicit-def: $vgpr2_vgpr3
	s_branch .LBB118_1262
.LBB118_1252:
	s_mov_b32 s21, -1
                                        ; implicit-def: $vgpr2_vgpr3
	s_branch .LBB118_1259
.LBB118_1253:
	s_cbranch_execnz .LBB118_1304
; %bb.1254:
	s_mov_b32 s1, exec_lo
	s_and_not1_b32 s23, s23, exec_lo
                                        ; implicit-def: $vgpr2_vgpr3
	s_or_b32 exec_lo, exec_lo, s19
	s_and_saveexec_b32 s19, s23
	s_delay_alu instid0(SALU_CYCLE_1)
	s_xor_b32 s19, exec_lo, s19
	s_cbranch_execnz .LBB118_1243
	s_branch .LBB118_1244
.LBB118_1255:
	s_mov_b32 s21, -1
                                        ; implicit-def: $vgpr2_vgpr3
.LBB118_1256:
	s_delay_alu instid0(SALU_CYCLE_1)
	s_and_not1_b32 vcc_lo, exec_lo, s21
	s_cbranch_vccnz .LBB118_1258
; %bb.1257:
	s_waitcnt vmcnt(0)
	global_load_b32 v2, v[0:1], off
	s_waitcnt vmcnt(0)
	v_cvt_f64_f32_e32 v[2:3], v2
.LBB118_1258:
	s_mov_b32 s21, 0
.LBB118_1259:
	s_delay_alu instid0(SALU_CYCLE_1)
	s_and_not1_b32 vcc_lo, exec_lo, s21
	s_cbranch_vccnz .LBB118_1261
; %bb.1260:
	s_waitcnt vmcnt(0)
	global_load_b32 v2, v[0:1], off
	s_waitcnt vmcnt(0)
	v_cvt_f32_f16_e32 v2, v2
	s_delay_alu instid0(VALU_DEP_1)
	v_cvt_f64_f32_e32 v[2:3], v2
.LBB118_1261:
	s_cbranch_execnz .LBB118_1272
.LBB118_1262:
	v_cmp_gt_i16_e32 vcc_lo, 6, v4
	s_cbranch_vccnz .LBB118_1265
; %bb.1263:
	v_cmp_lt_i16_e32 vcc_lo, 6, v4
	s_cbranch_vccz .LBB118_1266
; %bb.1264:
	s_waitcnt vmcnt(0)
	global_load_b64 v[2:3], v[0:1], off
	s_mov_b32 s21, 0
	s_branch .LBB118_1267
.LBB118_1265:
	s_mov_b32 s21, -1
                                        ; implicit-def: $vgpr2_vgpr3
	s_branch .LBB118_1270
.LBB118_1266:
	s_mov_b32 s21, -1
                                        ; implicit-def: $vgpr2_vgpr3
.LBB118_1267:
	s_delay_alu instid0(SALU_CYCLE_1)
	s_and_not1_b32 vcc_lo, exec_lo, s21
	s_cbranch_vccnz .LBB118_1269
; %bb.1268:
	s_waitcnt vmcnt(0)
	global_load_b32 v2, v[0:1], off
	s_waitcnt vmcnt(0)
	v_cvt_f64_f32_e32 v[2:3], v2
.LBB118_1269:
	s_mov_b32 s21, 0
.LBB118_1270:
	s_delay_alu instid0(SALU_CYCLE_1)
	s_and_not1_b32 vcc_lo, exec_lo, s21
	s_cbranch_vccnz .LBB118_1272
; %bb.1271:
	s_waitcnt vmcnt(0)
	global_load_u16 v2, v[0:1], off
	s_waitcnt vmcnt(0)
	v_cvt_f32_f16_e32 v2, v2
	s_delay_alu instid0(VALU_DEP_1)
	v_cvt_f64_f32_e32 v[2:3], v2
.LBB118_1272:
	s_cbranch_execnz .LBB118_1291
.LBB118_1273:
	v_cmp_gt_i16_e32 vcc_lo, 2, v4
	s_cbranch_vccnz .LBB118_1277
; %bb.1274:
	v_cmp_gt_i16_e32 vcc_lo, 3, v4
	s_cbranch_vccnz .LBB118_1278
; %bb.1275:
	v_cmp_lt_i16_e32 vcc_lo, 3, v4
	s_cbranch_vccz .LBB118_1279
; %bb.1276:
	s_waitcnt vmcnt(0)
	global_load_b64 v[2:3], v[0:1], off
	s_mov_b32 s21, 0
	s_waitcnt vmcnt(0)
	v_cvt_f64_i32_e32 v[5:6], v3
	v_cvt_f64_u32_e32 v[2:3], v2
	s_delay_alu instid0(VALU_DEP_2) | instskip(NEXT) | instid1(VALU_DEP_1)
	v_ldexp_f64 v[5:6], v[5:6], 32
	v_add_f64 v[2:3], v[5:6], v[2:3]
	s_branch .LBB118_1280
.LBB118_1277:
                                        ; implicit-def: $vgpr2_vgpr3
	s_branch .LBB118_1286
.LBB118_1278:
	s_mov_b32 s21, -1
                                        ; implicit-def: $vgpr2_vgpr3
	s_branch .LBB118_1283
.LBB118_1279:
	s_mov_b32 s21, -1
                                        ; implicit-def: $vgpr2_vgpr3
.LBB118_1280:
	s_delay_alu instid0(SALU_CYCLE_1)
	s_and_not1_b32 vcc_lo, exec_lo, s21
	s_cbranch_vccnz .LBB118_1282
; %bb.1281:
	s_waitcnt vmcnt(0)
	global_load_b32 v2, v[0:1], off
	s_waitcnt vmcnt(0)
	v_cvt_f64_i32_e32 v[2:3], v2
.LBB118_1282:
	s_mov_b32 s21, 0
.LBB118_1283:
	s_delay_alu instid0(SALU_CYCLE_1)
	s_and_not1_b32 vcc_lo, exec_lo, s21
	s_cbranch_vccnz .LBB118_1285
; %bb.1284:
	s_waitcnt vmcnt(0)
	global_load_i16 v2, v[0:1], off
	s_waitcnt vmcnt(0)
	v_cvt_f64_i32_e32 v[2:3], v2
.LBB118_1285:
	s_cbranch_execnz .LBB118_1291
.LBB118_1286:
	v_cmp_lt_i16_e32 vcc_lo, 0, v4
	s_mov_b32 s21, 0
	s_cbranch_vccz .LBB118_1288
; %bb.1287:
	s_waitcnt vmcnt(0)
	global_load_i8 v2, v[0:1], off
	s_waitcnt vmcnt(0)
	v_cvt_f64_i32_e32 v[2:3], v2
	s_branch .LBB118_1289
.LBB118_1288:
	s_mov_b32 s21, -1
                                        ; implicit-def: $vgpr2_vgpr3
.LBB118_1289:
	s_delay_alu instid0(SALU_CYCLE_1)
	s_and_not1_b32 vcc_lo, exec_lo, s21
	s_cbranch_vccnz .LBB118_1291
; %bb.1290:
	s_waitcnt vmcnt(0)
	global_load_u8 v0, v[0:1], off
	s_waitcnt vmcnt(0)
	v_cvt_f64_u32_e32 v[2:3], v0
.LBB118_1291:
	s_or_b32 s0, s0, exec_lo
.LBB118_1292:
	s_or_b32 exec_lo, exec_lo, s19
	s_mov_b32 s21, 0
	s_mov_b32 s24, 0
	;; [unrolled: 1-line block ×3, first 2 shown]
                                        ; implicit-def: $sgpr22
                                        ; implicit-def: $vgpr4
                                        ; implicit-def: $vgpr0_vgpr1
	s_and_saveexec_b32 s19, s0
	s_cbranch_execz .LBB118_1370
; %bb.1293:
	s_waitcnt vmcnt(0)
	v_mul_lo_u32 v0, v10, s10
	v_and_b32_e64 v4, 0xff, s11
	s_delay_alu instid0(VALU_DEP_1) | instskip(NEXT) | instid1(VALU_DEP_3)
	v_cmp_gt_i16_e32 vcc_lo, 11, v4
	v_ashrrev_i32_e32 v1, 31, v0
	v_add_co_u32 v0, s0, s12, v0
	s_delay_alu instid0(VALU_DEP_1)
	v_add_co_ci_u32_e64 v1, s0, s13, v1, s0
	s_cbranch_vccnz .LBB118_1300
; %bb.1294:
	v_cmp_lt_i16_e32 vcc_lo, 25, v4
	s_mov_b32 s0, 0
	s_cbranch_vccz .LBB118_1301
; %bb.1295:
	v_cmp_lt_i16_e32 vcc_lo, 28, v4
	s_cbranch_vccz .LBB118_1302
; %bb.1296:
	v_cmp_lt_i16_e32 vcc_lo, 43, v4
	;; [unrolled: 3-line block ×3, first 2 shown]
	s_cbranch_vccz .LBB118_1306
; %bb.1298:
	v_cmp_eq_u16_e32 vcc_lo, 46, v4
	s_cbranch_vccz .LBB118_1307
; %bb.1299:
	global_load_b32 v5, v[0:1], off
	s_mov_b32 s23, -1
	s_waitcnt vmcnt(0)
	v_and_b32_e32 v5, 0x7fff7fff, v5
	s_delay_alu instid0(VALU_DEP_1)
	v_cmp_ne_u32_e32 vcc_lo, 0, v5
	s_and_b32 s22, vcc_lo, exec_lo
	s_branch .LBB118_1309
.LBB118_1300:
	s_mov_b32 s24, -1
	s_mov_b32 s0, 0
	s_mov_b32 s21, s20
                                        ; implicit-def: $sgpr22
	s_branch .LBB118_1369
.LBB118_1301:
	s_mov_b32 s21, s20
                                        ; implicit-def: $sgpr22
	s_cbranch_execnz .LBB118_1336
	s_branch .LBB118_1368
.LBB118_1302:
	s_mov_b32 s24, -1
	s_mov_b32 s21, s20
                                        ; implicit-def: $sgpr22
	s_branch .LBB118_1317
.LBB118_1303:
	s_mov_b32 s24, -1
	s_mov_b32 s21, s20
                                        ; implicit-def: $sgpr22
	s_branch .LBB118_1312
.LBB118_1304:
	s_trap 2
	s_sendmsg_rtn_b32 s0, sendmsg(MSG_RTN_GET_DOORBELL)
	s_mov_b32 ttmp2, m0
	s_waitcnt lgkmcnt(0)
	s_and_b32 s0, s0, 0x3ff
	s_delay_alu instid0(SALU_CYCLE_1) | instskip(NEXT) | instid1(SALU_CYCLE_1)
	s_bitset1_b32 s0, 10
	s_mov_b32 m0, s0
	s_sendmsg sendmsg(MSG_INTERRUPT)
	s_mov_b32 m0, ttmp2
.LBB118_1305:                           ; =>This Inner Loop Header: Depth=1
	s_sethalt 5
	s_branch .LBB118_1305
.LBB118_1306:
	s_mov_b32 s24, -1
	s_mov_b32 s21, s20
	s_branch .LBB118_1308
.LBB118_1307:
	s_mov_b32 s21, -1
.LBB118_1308:
                                        ; implicit-def: $sgpr22
.LBB118_1309:
	s_and_b32 vcc_lo, exec_lo, s24
	s_cbranch_vccz .LBB118_1311
; %bb.1310:
	v_cmp_ne_u16_e32 vcc_lo, 44, v4
	s_and_not1_b32 s21, s21, exec_lo
	s_mov_b32 s23, -1
	s_or_b32 s22, s22, exec_lo
	s_and_b32 s24, vcc_lo, exec_lo
	s_delay_alu instid0(SALU_CYCLE_1)
	s_or_b32 s21, s21, s24
.LBB118_1311:
	s_mov_b32 s24, 0
.LBB118_1312:
	s_delay_alu instid0(SALU_CYCLE_1)
	s_and_b32 vcc_lo, exec_lo, s24
	s_cbranch_vccz .LBB118_1316
; %bb.1313:
	v_cmp_eq_u16_e32 vcc_lo, 29, v4
	s_cbranch_vccz .LBB118_1315
; %bb.1314:
	global_load_b64 v[5:6], v[0:1], off
	s_mov_b32 s21, 0
	s_mov_b32 s23, -1
	s_mov_b32 s24, 0
	s_waitcnt vmcnt(0)
	v_cmp_ne_u64_e32 vcc_lo, 0, v[5:6]
	s_and_b32 s22, vcc_lo, exec_lo
	s_branch .LBB118_1317
.LBB118_1315:
	s_mov_b32 s21, -1
                                        ; implicit-def: $sgpr22
.LBB118_1316:
	s_mov_b32 s24, 0
.LBB118_1317:
	s_delay_alu instid0(SALU_CYCLE_1)
	s_and_b32 vcc_lo, exec_lo, s24
	s_cbranch_vccz .LBB118_1335
; %bb.1318:
	v_cmp_gt_i16_e32 vcc_lo, 27, v4
	s_cbranch_vccnz .LBB118_1321
; %bb.1319:
	v_cmp_lt_i16_e32 vcc_lo, 27, v4
	s_cbranch_vccz .LBB118_1322
; %bb.1320:
	global_load_b32 v5, v[0:1], off
	s_mov_b32 s23, 0
	s_waitcnt vmcnt(0)
	v_cmp_ne_u32_e32 vcc_lo, 0, v5
	s_and_b32 s22, vcc_lo, exec_lo
	s_branch .LBB118_1323
.LBB118_1321:
	s_mov_b32 s23, -1
                                        ; implicit-def: $sgpr22
	s_branch .LBB118_1326
.LBB118_1322:
	s_mov_b32 s23, -1
                                        ; implicit-def: $sgpr22
.LBB118_1323:
	s_delay_alu instid0(SALU_CYCLE_1)
	s_and_not1_b32 vcc_lo, exec_lo, s23
	s_cbranch_vccnz .LBB118_1325
; %bb.1324:
	global_load_u16 v5, v[0:1], off
	s_and_not1_b32 s22, s22, exec_lo
	s_waitcnt vmcnt(0)
	v_cmp_ne_u16_e32 vcc_lo, 0, v5
	s_and_b32 s23, vcc_lo, exec_lo
	s_delay_alu instid0(SALU_CYCLE_1)
	s_or_b32 s22, s22, s23
.LBB118_1325:
	s_mov_b32 s23, 0
.LBB118_1326:
	s_delay_alu instid0(SALU_CYCLE_1)
	s_and_not1_b32 vcc_lo, exec_lo, s23
	s_cbranch_vccnz .LBB118_1334
; %bb.1327:
	global_load_u8 v5, v[0:1], off
	s_mov_b32 s23, 0
	s_mov_b32 s24, exec_lo
                                        ; implicit-def: $sgpr22
	s_waitcnt vmcnt(0)
	v_cmpx_lt_i16_e32 0x7f, v5
	s_xor_b32 s24, exec_lo, s24
	s_cbranch_execz .LBB118_1347
; %bb.1328:
	s_mov_b32 s23, -1
	s_mov_b32 s25, exec_lo
                                        ; implicit-def: $sgpr22
	v_cmpx_eq_u16_e32 0x80, v5
; %bb.1329:
	s_mov_b32 s22, -1
	s_xor_b32 s23, exec_lo, -1
; %bb.1330:
	s_or_b32 exec_lo, exec_lo, s25
	s_delay_alu instid0(SALU_CYCLE_1)
	s_and_b32 s23, s23, exec_lo
	s_and_not1_saveexec_b32 s24, s24
	s_cbranch_execnz .LBB118_1348
.LBB118_1331:
	s_or_b32 exec_lo, exec_lo, s24
	s_and_saveexec_b32 s24, s23
	s_cbranch_execz .LBB118_1333
.LBB118_1332:
	v_and_b32_e32 v5, 0xffff, v5
	s_and_not1_b32 s22, s22, exec_lo
	s_delay_alu instid0(VALU_DEP_1) | instskip(NEXT) | instid1(VALU_DEP_1)
	v_and_b32_e32 v6, 7, v5
	v_clz_i32_u32_e32 v7, v6
	s_delay_alu instid0(VALU_DEP_1) | instskip(NEXT) | instid1(VALU_DEP_1)
	v_min_u32_e32 v7, 32, v7
	v_subrev_nc_u32_e32 v8, 28, v7
	v_sub_nc_u32_e32 v7, 29, v7
	s_delay_alu instid0(VALU_DEP_2) | instskip(SKIP_1) | instid1(VALU_DEP_2)
	v_lshlrev_b32_e32 v8, v8, v5
	v_bfe_u32 v5, v5, 3, 4
	v_and_b32_e32 v8, 7, v8
	s_delay_alu instid0(VALU_DEP_2) | instskip(NEXT) | instid1(VALU_DEP_2)
	v_cmp_eq_u32_e32 vcc_lo, 0, v5
	v_dual_cndmask_b32 v5, v5, v7 :: v_dual_cndmask_b32 v6, v6, v8
	s_delay_alu instid0(VALU_DEP_1) | instskip(NEXT) | instid1(VALU_DEP_2)
	v_lshl_add_u32 v5, v5, 23, 0x3b800000
	v_lshlrev_b32_e32 v6, 20, v6
	s_delay_alu instid0(VALU_DEP_1) | instskip(NEXT) | instid1(VALU_DEP_1)
	v_and_or_b32 v5, 0x7f800000, v5, v6
	v_cmp_ne_u32_e32 vcc_lo, 0, v5
	s_and_b32 s23, vcc_lo, exec_lo
	s_delay_alu instid0(SALU_CYCLE_1)
	s_or_b32 s22, s22, s23
.LBB118_1333:
	s_or_b32 exec_lo, exec_lo, s24
.LBB118_1334:
	s_mov_b32 s23, -1
.LBB118_1335:
	s_branch .LBB118_1368
.LBB118_1336:
	v_cmp_lt_i16_e32 vcc_lo, 22, v4
	s_cbranch_vccz .LBB118_1346
; %bb.1337:
	v_cmp_gt_i16_e32 vcc_lo, 24, v4
	s_cbranch_vccnz .LBB118_1349
; %bb.1338:
	v_cmp_lt_i16_e32 vcc_lo, 24, v4
	s_cbranch_vccz .LBB118_1350
; %bb.1339:
	global_load_u8 v5, v[0:1], off
	s_mov_b32 s23, exec_lo
                                        ; implicit-def: $sgpr22
	s_waitcnt vmcnt(0)
	v_cmpx_lt_i16_e32 0x7f, v5
	s_xor_b32 s23, exec_lo, s23
	s_cbranch_execz .LBB118_1362
; %bb.1340:
	s_mov_b32 s0, -1
	s_mov_b32 s24, exec_lo
                                        ; implicit-def: $sgpr22
	v_cmpx_eq_u16_e32 0x80, v5
; %bb.1341:
	s_mov_b32 s22, -1
	s_xor_b32 s0, exec_lo, -1
; %bb.1342:
	s_or_b32 exec_lo, exec_lo, s24
	s_delay_alu instid0(SALU_CYCLE_1)
	s_and_b32 s0, s0, exec_lo
	s_and_not1_saveexec_b32 s23, s23
	s_cbranch_execnz .LBB118_1363
.LBB118_1343:
	s_or_b32 exec_lo, exec_lo, s23
	s_and_saveexec_b32 s23, s0
	s_cbranch_execz .LBB118_1345
.LBB118_1344:
	v_and_b32_e32 v5, 0xffff, v5
	s_and_not1_b32 s0, s22, exec_lo
	s_delay_alu instid0(VALU_DEP_1) | instskip(NEXT) | instid1(VALU_DEP_1)
	v_and_b32_e32 v6, 3, v5
	v_clz_i32_u32_e32 v7, v6
	s_delay_alu instid0(VALU_DEP_1) | instskip(NEXT) | instid1(VALU_DEP_1)
	v_min_u32_e32 v7, 32, v7
	v_subrev_nc_u32_e32 v8, 29, v7
	v_sub_nc_u32_e32 v7, 30, v7
	s_delay_alu instid0(VALU_DEP_2) | instskip(SKIP_1) | instid1(VALU_DEP_2)
	v_lshlrev_b32_e32 v8, v8, v5
	v_bfe_u32 v5, v5, 2, 5
	v_and_b32_e32 v8, 3, v8
	s_delay_alu instid0(VALU_DEP_2) | instskip(NEXT) | instid1(VALU_DEP_2)
	v_cmp_eq_u32_e32 vcc_lo, 0, v5
	v_dual_cndmask_b32 v5, v5, v7 :: v_dual_cndmask_b32 v6, v6, v8
	s_delay_alu instid0(VALU_DEP_1) | instskip(NEXT) | instid1(VALU_DEP_2)
	v_lshl_add_u32 v5, v5, 23, 0x37800000
	v_lshlrev_b32_e32 v6, 21, v6
	s_delay_alu instid0(VALU_DEP_1) | instskip(NEXT) | instid1(VALU_DEP_1)
	v_and_or_b32 v5, 0x7f800000, v5, v6
	v_cmp_ne_u32_e32 vcc_lo, 0, v5
	s_and_b32 s22, vcc_lo, exec_lo
	s_delay_alu instid0(SALU_CYCLE_1)
	s_or_b32 s22, s0, s22
.LBB118_1345:
	s_or_b32 exec_lo, exec_lo, s23
	s_mov_b32 s0, 0
	s_branch .LBB118_1351
.LBB118_1346:
	s_mov_b32 s0, -1
                                        ; implicit-def: $sgpr22
	s_branch .LBB118_1357
.LBB118_1347:
	s_and_not1_saveexec_b32 s24, s24
	s_cbranch_execz .LBB118_1331
.LBB118_1348:
	v_cmp_ne_u16_e32 vcc_lo, 0, v5
	s_and_not1_b32 s23, s23, exec_lo
	s_and_not1_b32 s22, s22, exec_lo
	s_and_b32 s25, vcc_lo, exec_lo
	s_delay_alu instid0(SALU_CYCLE_1)
	s_or_b32 s23, s23, s25
	s_or_b32 exec_lo, exec_lo, s24
	s_and_saveexec_b32 s24, s23
	s_cbranch_execnz .LBB118_1332
	s_branch .LBB118_1333
.LBB118_1349:
	s_mov_b32 s0, -1
                                        ; implicit-def: $sgpr22
	s_branch .LBB118_1354
.LBB118_1350:
	s_mov_b32 s0, -1
                                        ; implicit-def: $sgpr22
.LBB118_1351:
	s_delay_alu instid0(SALU_CYCLE_1)
	s_and_b32 vcc_lo, exec_lo, s0
	s_cbranch_vccz .LBB118_1353
; %bb.1352:
	global_load_u8 v5, v[0:1], off
	s_and_not1_b32 s22, s22, exec_lo
	s_waitcnt vmcnt(0)
	v_lshlrev_b32_e32 v5, 24, v5
	s_delay_alu instid0(VALU_DEP_1) | instskip(NEXT) | instid1(VALU_DEP_1)
	v_and_b32_e32 v5, 0x7f000000, v5
	v_clz_i32_u32_e32 v6, v5
	v_add_nc_u32_e32 v8, 0x1000000, v5
	v_cmp_ne_u32_e32 vcc_lo, 0, v5
	s_delay_alu instid0(VALU_DEP_3) | instskip(NEXT) | instid1(VALU_DEP_3)
	v_min_u32_e32 v6, 32, v6
	v_ashrrev_i32_e32 v8, 8, v8
	s_delay_alu instid0(VALU_DEP_2) | instskip(NEXT) | instid1(VALU_DEP_1)
	v_sub_nc_u32_e64 v6, v6, 4 clamp
	v_lshlrev_b32_e32 v7, v6, v5
	v_lshlrev_b32_e32 v6, 23, v6
	s_delay_alu instid0(VALU_DEP_2) | instskip(NEXT) | instid1(VALU_DEP_1)
	v_lshrrev_b32_e32 v7, 4, v7
	v_sub_nc_u32_e32 v6, v7, v6
	v_and_b32_e32 v7, 0x7f800000, v8
	s_delay_alu instid0(VALU_DEP_2) | instskip(NEXT) | instid1(VALU_DEP_1)
	v_add_nc_u32_e32 v6, 0x3c000000, v6
	v_and_or_b32 v6, 0x7ff00000, v6, v7
	s_delay_alu instid0(VALU_DEP_1) | instskip(NEXT) | instid1(VALU_DEP_1)
	v_cmp_ne_u32_e64 s0, 0, v6
	s_and_b32 s0, vcc_lo, s0
	s_delay_alu instid0(SALU_CYCLE_1) | instskip(NEXT) | instid1(SALU_CYCLE_1)
	s_and_b32 s0, s0, exec_lo
	s_or_b32 s22, s22, s0
.LBB118_1353:
	s_mov_b32 s0, 0
.LBB118_1354:
	s_delay_alu instid0(SALU_CYCLE_1)
	s_and_not1_b32 vcc_lo, exec_lo, s0
	s_cbranch_vccnz .LBB118_1356
; %bb.1355:
	global_load_u8 v5, v[0:1], off
	s_and_not1_b32 s0, s22, exec_lo
	s_waitcnt vmcnt(0)
	v_lshlrev_b32_e32 v6, 25, v5
	v_lshlrev_b32_e32 v5, 8, v5
	s_delay_alu instid0(VALU_DEP_2) | instskip(NEXT) | instid1(VALU_DEP_2)
	v_lshrrev_b32_e32 v7, 4, v6
	v_and_or_b32 v5, 0x7f00, v5, 0.5
	s_delay_alu instid0(VALU_DEP_2) | instskip(NEXT) | instid1(VALU_DEP_2)
	v_or_b32_e32 v7, 0x70000000, v7
	v_add_f32_e32 v5, -0.5, v5
	s_delay_alu instid0(VALU_DEP_2) | instskip(SKIP_1) | instid1(VALU_DEP_2)
	v_mul_f32_e32 v7, 0x7800000, v7
	v_cmp_gt_u32_e32 vcc_lo, 0x8000000, v6
	v_cndmask_b32_e32 v5, v7, v5, vcc_lo
	s_delay_alu instid0(VALU_DEP_1) | instskip(SKIP_1) | instid1(SALU_CYCLE_1)
	v_cmp_neq_f32_e32 vcc_lo, 0, v5
	s_and_b32 s22, vcc_lo, exec_lo
	s_or_b32 s22, s0, s22
.LBB118_1356:
	s_mov_b32 s0, 0
	s_mov_b32 s23, -1
.LBB118_1357:
	s_and_not1_b32 vcc_lo, exec_lo, s0
	s_mov_b32 s0, 0
	s_cbranch_vccnz .LBB118_1368
; %bb.1358:
	v_cmp_lt_i16_e32 vcc_lo, 14, v4
	s_cbranch_vccz .LBB118_1361
; %bb.1359:
	v_cmp_eq_u16_e32 vcc_lo, 15, v4
	s_cbranch_vccz .LBB118_1364
; %bb.1360:
	global_load_u16 v5, v[0:1], off
	s_mov_b32 s21, 0
	s_mov_b32 s23, -1
	s_waitcnt vmcnt(0)
	v_and_b32_e32 v5, 0x7fff, v5
	s_delay_alu instid0(VALU_DEP_1)
	v_cmp_ne_u16_e32 vcc_lo, 0, v5
	s_and_b32 s22, vcc_lo, exec_lo
	s_branch .LBB118_1366
.LBB118_1361:
	s_mov_b32 s0, -1
	s_branch .LBB118_1365
.LBB118_1362:
	s_and_not1_saveexec_b32 s23, s23
	s_cbranch_execz .LBB118_1343
.LBB118_1363:
	v_cmp_ne_u16_e32 vcc_lo, 0, v5
	s_and_not1_b32 s0, s0, exec_lo
	s_and_not1_b32 s22, s22, exec_lo
	s_and_b32 s24, vcc_lo, exec_lo
	s_delay_alu instid0(SALU_CYCLE_1)
	s_or_b32 s0, s0, s24
	s_or_b32 exec_lo, exec_lo, s23
	s_and_saveexec_b32 s23, s0
	s_cbranch_execnz .LBB118_1344
	s_branch .LBB118_1345
.LBB118_1364:
	s_mov_b32 s21, -1
.LBB118_1365:
                                        ; implicit-def: $sgpr22
.LBB118_1366:
	s_and_b32 vcc_lo, exec_lo, s0
	s_mov_b32 s0, 0
	s_cbranch_vccz .LBB118_1368
; %bb.1367:
	v_cmp_ne_u16_e32 vcc_lo, 11, v4
	s_and_not1_b32 s21, s21, exec_lo
	s_mov_b32 s0, -1
	s_and_not1_b32 s22, s22, exec_lo
	s_and_b32 s24, vcc_lo, exec_lo
	s_delay_alu instid0(SALU_CYCLE_1)
	s_or_b32 s21, s21, s24
.LBB118_1368:
	s_mov_b32 s24, 0
.LBB118_1369:
	s_and_not1_b32 s20, s20, exec_lo
	s_and_b32 s25, s21, exec_lo
	s_and_b32 s22, s22, exec_lo
	;; [unrolled: 1-line block ×5, first 2 shown]
	s_or_b32 s20, s20, s25
.LBB118_1370:
	s_or_b32 exec_lo, exec_lo, s19
	s_and_saveexec_b32 s0, s20
	s_cbranch_execnz .LBB118_1382
; %bb.1371:
	s_or_b32 exec_lo, exec_lo, s0
	s_and_saveexec_b32 s0, s21
	s_delay_alu instid0(SALU_CYCLE_1)
	s_xor_b32 s0, exec_lo, s0
	s_cbranch_execz .LBB118_1373
.LBB118_1372:
	s_waitcnt vmcnt(0)
	global_load_u8 v5, v[0:1], off
	s_and_not1_b32 s19, s22, exec_lo
	s_or_b32 s23, s23, exec_lo
	s_waitcnt vmcnt(0)
	v_cmp_ne_u16_e32 vcc_lo, 0, v5
	s_and_b32 s20, vcc_lo, exec_lo
	s_delay_alu instid0(SALU_CYCLE_1)
	s_or_b32 s22, s19, s20
.LBB118_1373:
	s_or_b32 exec_lo, exec_lo, s0
	s_and_saveexec_b32 s19, s24
	s_cbranch_execz .LBB118_1421
; %bb.1374:
	v_cmp_gt_i16_e32 vcc_lo, 5, v4
	s_cbranch_vccnz .LBB118_1379
; %bb.1375:
	v_cmp_gt_i16_e32 vcc_lo, 8, v4
	s_cbranch_vccnz .LBB118_1380
	;; [unrolled: 3-line block ×3, first 2 shown]
; %bb.1377:
	v_cmp_lt_i16_e32 vcc_lo, 9, v4
	s_cbranch_vccz .LBB118_1384
; %bb.1378:
	s_waitcnt vmcnt(0)
	global_load_b128 v[5:8], v[0:1], off
	s_mov_b32 s20, 0
	s_waitcnt vmcnt(0)
	v_cmp_neq_f64_e32 vcc_lo, 0, v[5:6]
	v_cmp_neq_f64_e64 s0, 0, v[7:8]
	s_delay_alu instid0(VALU_DEP_1) | instskip(NEXT) | instid1(SALU_CYCLE_1)
	s_or_b32 s0, vcc_lo, s0
	s_and_b32 s0, s0, exec_lo
	s_branch .LBB118_1385
.LBB118_1379:
                                        ; implicit-def: $sgpr0
	s_branch .LBB118_1402
.LBB118_1380:
                                        ; implicit-def: $sgpr0
	s_branch .LBB118_1391
.LBB118_1381:
	s_mov_b32 s20, -1
                                        ; implicit-def: $sgpr0
	s_branch .LBB118_1388
.LBB118_1382:
	s_cbranch_execnz .LBB118_1430
; %bb.1383:
	s_and_not1_b32 s22, s22, exec_lo
	s_or_b32 s1, s1, exec_lo
	s_and_not1_b32 s23, s23, exec_lo
	s_and_not1_b32 s21, s21, exec_lo
	s_or_b32 exec_lo, exec_lo, s0
	s_and_saveexec_b32 s0, s21
	s_delay_alu instid0(SALU_CYCLE_1)
	s_xor_b32 s0, exec_lo, s0
	s_cbranch_execnz .LBB118_1372
	s_branch .LBB118_1373
.LBB118_1384:
	s_mov_b32 s20, -1
                                        ; implicit-def: $sgpr0
.LBB118_1385:
	s_delay_alu instid0(SALU_CYCLE_1)
	s_and_not1_b32 vcc_lo, exec_lo, s20
	s_cbranch_vccnz .LBB118_1387
; %bb.1386:
	s_waitcnt vmcnt(0)
	global_load_b64 v[5:6], v[0:1], off
	s_and_not1_b32 s0, s0, exec_lo
	s_waitcnt vmcnt(0)
	v_or_b32_e32 v5, v5, v6
	s_delay_alu instid0(VALU_DEP_1) | instskip(NEXT) | instid1(VALU_DEP_1)
	v_and_b32_e32 v5, 0x7fffffff, v5
	v_cmp_ne_u32_e32 vcc_lo, 0, v5
	s_and_b32 s20, vcc_lo, exec_lo
	s_delay_alu instid0(SALU_CYCLE_1)
	s_or_b32 s0, s0, s20
.LBB118_1387:
	s_mov_b32 s20, 0
.LBB118_1388:
	s_delay_alu instid0(SALU_CYCLE_1)
	s_and_not1_b32 vcc_lo, exec_lo, s20
	s_cbranch_vccnz .LBB118_1390
; %bb.1389:
	s_waitcnt vmcnt(0)
	global_load_b32 v5, v[0:1], off
	s_and_not1_b32 s0, s0, exec_lo
	s_waitcnt vmcnt(0)
	v_and_b32_e32 v5, 0x7fff7fff, v5
	s_delay_alu instid0(VALU_DEP_1) | instskip(SKIP_1) | instid1(SALU_CYCLE_1)
	v_cmp_ne_u32_e32 vcc_lo, 0, v5
	s_and_b32 s20, vcc_lo, exec_lo
	s_or_b32 s0, s0, s20
.LBB118_1390:
	s_cbranch_execnz .LBB118_1401
.LBB118_1391:
	v_cmp_gt_i16_e32 vcc_lo, 6, v4
	s_cbranch_vccnz .LBB118_1394
; %bb.1392:
	v_cmp_lt_i16_e32 vcc_lo, 6, v4
	s_cbranch_vccz .LBB118_1395
; %bb.1393:
	s_waitcnt vmcnt(0)
	global_load_b64 v[5:6], v[0:1], off
	s_mov_b32 s20, 0
	s_waitcnt vmcnt(0)
	v_cmp_neq_f64_e32 vcc_lo, 0, v[5:6]
	s_and_b32 s0, vcc_lo, exec_lo
	s_branch .LBB118_1396
.LBB118_1394:
	s_mov_b32 s20, -1
                                        ; implicit-def: $sgpr0
	s_branch .LBB118_1399
.LBB118_1395:
	s_mov_b32 s20, -1
                                        ; implicit-def: $sgpr0
.LBB118_1396:
	s_delay_alu instid0(SALU_CYCLE_1)
	s_and_not1_b32 vcc_lo, exec_lo, s20
	s_cbranch_vccnz .LBB118_1398
; %bb.1397:
	s_waitcnt vmcnt(0)
	global_load_b32 v5, v[0:1], off
	s_and_not1_b32 s0, s0, exec_lo
	s_waitcnt vmcnt(0)
	v_cmp_neq_f32_e32 vcc_lo, 0, v5
	s_and_b32 s20, vcc_lo, exec_lo
	s_delay_alu instid0(SALU_CYCLE_1)
	s_or_b32 s0, s0, s20
.LBB118_1398:
	s_mov_b32 s20, 0
.LBB118_1399:
	s_delay_alu instid0(SALU_CYCLE_1)
	s_and_not1_b32 vcc_lo, exec_lo, s20
	s_cbranch_vccnz .LBB118_1401
; %bb.1400:
	s_waitcnt vmcnt(0)
	global_load_u16 v5, v[0:1], off
	s_and_not1_b32 s0, s0, exec_lo
	s_waitcnt vmcnt(0)
	v_and_b32_e32 v5, 0x7fff, v5
	s_delay_alu instid0(VALU_DEP_1) | instskip(SKIP_1) | instid1(SALU_CYCLE_1)
	v_cmp_ne_u16_e32 vcc_lo, 0, v5
	s_and_b32 s20, vcc_lo, exec_lo
	s_or_b32 s0, s0, s20
.LBB118_1401:
	s_cbranch_execnz .LBB118_1420
.LBB118_1402:
	v_cmp_gt_i16_e32 vcc_lo, 2, v4
	s_cbranch_vccnz .LBB118_1406
; %bb.1403:
	v_cmp_gt_i16_e32 vcc_lo, 3, v4
	s_cbranch_vccnz .LBB118_1407
; %bb.1404:
	v_cmp_lt_i16_e32 vcc_lo, 3, v4
	s_cbranch_vccz .LBB118_1408
; %bb.1405:
	s_waitcnt vmcnt(0)
	global_load_b64 v[5:6], v[0:1], off
	s_mov_b32 s20, 0
	s_waitcnt vmcnt(0)
	v_cmp_ne_u64_e32 vcc_lo, 0, v[5:6]
	s_and_b32 s0, vcc_lo, exec_lo
	s_branch .LBB118_1409
.LBB118_1406:
                                        ; implicit-def: $sgpr0
	s_branch .LBB118_1415
.LBB118_1407:
	s_mov_b32 s20, -1
                                        ; implicit-def: $sgpr0
	s_branch .LBB118_1412
.LBB118_1408:
	s_mov_b32 s20, -1
                                        ; implicit-def: $sgpr0
.LBB118_1409:
	s_delay_alu instid0(SALU_CYCLE_1)
	s_and_not1_b32 vcc_lo, exec_lo, s20
	s_cbranch_vccnz .LBB118_1411
; %bb.1410:
	s_waitcnt vmcnt(0)
	global_load_b32 v5, v[0:1], off
	s_and_not1_b32 s0, s0, exec_lo
	s_waitcnt vmcnt(0)
	v_cmp_ne_u32_e32 vcc_lo, 0, v5
	s_and_b32 s20, vcc_lo, exec_lo
	s_delay_alu instid0(SALU_CYCLE_1)
	s_or_b32 s0, s0, s20
.LBB118_1411:
	s_mov_b32 s20, 0
.LBB118_1412:
	s_delay_alu instid0(SALU_CYCLE_1)
	s_and_not1_b32 vcc_lo, exec_lo, s20
	s_cbranch_vccnz .LBB118_1414
; %bb.1413:
	s_waitcnt vmcnt(0)
	global_load_u16 v5, v[0:1], off
	s_and_not1_b32 s0, s0, exec_lo
	s_waitcnt vmcnt(0)
	v_cmp_ne_u16_e32 vcc_lo, 0, v5
	s_and_b32 s20, vcc_lo, exec_lo
	s_delay_alu instid0(SALU_CYCLE_1)
	s_or_b32 s0, s0, s20
.LBB118_1414:
	s_cbranch_execnz .LBB118_1420
.LBB118_1415:
	v_cmp_lt_i16_e32 vcc_lo, 0, v4
	s_mov_b32 s20, 0
	s_cbranch_vccz .LBB118_1417
; %bb.1416:
	s_waitcnt vmcnt(0)
	global_load_u8 v4, v[0:1], off
	s_waitcnt vmcnt(0)
	v_cmp_ne_u16_e32 vcc_lo, 0, v4
	s_and_b32 s0, vcc_lo, exec_lo
	s_branch .LBB118_1418
.LBB118_1417:
	s_mov_b32 s20, -1
                                        ; implicit-def: $sgpr0
.LBB118_1418:
	s_delay_alu instid0(SALU_CYCLE_1)
	s_and_not1_b32 vcc_lo, exec_lo, s20
	s_cbranch_vccnz .LBB118_1420
; %bb.1419:
	s_waitcnt vmcnt(0)
	global_load_u8 v0, v[0:1], off
	s_and_not1_b32 s0, s0, exec_lo
	s_waitcnt vmcnt(0)
	v_cmp_ne_u16_e32 vcc_lo, 0, v0
	s_and_b32 s20, vcc_lo, exec_lo
	s_delay_alu instid0(SALU_CYCLE_1)
	s_or_b32 s0, s0, s20
.LBB118_1420:
	s_and_not1_b32 s20, s22, exec_lo
	s_and_b32 s0, s0, exec_lo
	s_or_b32 s23, s23, exec_lo
	s_or_b32 s22, s20, s0
.LBB118_1421:
	s_or_b32 exec_lo, exec_lo, s19
	s_mov_b32 s0, 0
	s_mov_b32 s20, 0
                                        ; implicit-def: $vgpr6
                                        ; implicit-def: $vgpr4_vgpr5
                                        ; implicit-def: $vgpr0_vgpr1
	s_and_saveexec_b32 s19, s23
	s_cbranch_execz .LBB118_1501
; %bb.1422:
	s_waitcnt vmcnt(0)
	v_cndmask_b32_e64 v0, 0, 1, s22
	v_and_b32_e64 v6, 0xff, s14
	s_delay_alu instid0(VALU_DEP_2) | instskip(NEXT) | instid1(VALU_DEP_2)
	v_cvt_f64_u32_e32 v[0:1], v0
	v_cmp_gt_i16_e32 vcc_lo, 11, v6
	s_and_b32 vcc_lo, exec_lo, vcc_lo
	s_delay_alu instid0(VALU_DEP_2) | instskip(SKIP_1) | instid1(VALU_DEP_1)
	v_mul_f64 v[0:1], v[2:3], v[0:1]
	v_mul_lo_u32 v2, v10, s8
	v_ashrrev_i32_e32 v3, 31, v2
	v_add_co_u32 v4, s0, s4, v2
	s_delay_alu instid0(VALU_DEP_1)
	v_add_co_ci_u32_e64 v5, s0, s5, v3, s0
	v_mul_f64 v[0:1], s[2:3], v[0:1]
	s_cbranch_vccnz .LBB118_1429
; %bb.1423:
	v_cmp_lt_i16_e32 vcc_lo, 25, v6
	s_mov_b32 s20, -1
	s_mov_b32 s0, s18
	s_cbranch_vccz .LBB118_1459
; %bb.1424:
	v_cmp_lt_i16_e32 vcc_lo, 28, v6
	s_mov_b32 s0, s18
	s_cbranch_vccz .LBB118_1443
; %bb.1425:
	v_cmp_lt_i16_e32 vcc_lo, 43, v6
	s_mov_b32 s0, s18
	s_cbranch_vccz .LBB118_1439
; %bb.1426:
	v_cmp_lt_i16_e32 vcc_lo, 45, v6
	s_mov_b32 s0, s18
	s_cbranch_vccz .LBB118_1433
; %bb.1427:
	v_cmp_eq_u16_e32 vcc_lo, 46, v6
	s_mov_b32 s0, -1
	s_cbranch_vccz .LBB118_1432
; %bb.1428:
	v_cvt_f32_f64_e32 v2, v[0:1]
	s_mov_b32 s0, 0
	s_mov_b32 s20, 0
	s_delay_alu instid0(VALU_DEP_1) | instskip(SKIP_1) | instid1(VALU_DEP_2)
	v_bfe_u32 v3, v2, 16, 1
	v_cmp_o_f32_e32 vcc_lo, v2, v2
	v_add3_u32 v3, v2, v3, 0x7fff
	s_delay_alu instid0(VALU_DEP_1) | instskip(NEXT) | instid1(VALU_DEP_1)
	v_lshrrev_b32_e32 v3, 16, v3
	v_cndmask_b32_e32 v2, 0x7fc0, v3, vcc_lo
	global_store_b32 v[4:5], v2, off
	s_branch .LBB118_1433
.LBB118_1429:
	s_mov_b32 s21, 0
	s_mov_b32 s20, -1
	s_mov_b32 s0, s18
	s_branch .LBB118_1500
.LBB118_1430:
	s_trap 2
	s_sendmsg_rtn_b32 s0, sendmsg(MSG_RTN_GET_DOORBELL)
	s_mov_b32 ttmp2, m0
	s_waitcnt lgkmcnt(0)
	s_and_b32 s0, s0, 0x3ff
	s_delay_alu instid0(SALU_CYCLE_1) | instskip(NEXT) | instid1(SALU_CYCLE_1)
	s_bitset1_b32 s0, 10
	s_mov_b32 m0, s0
	s_sendmsg sendmsg(MSG_INTERRUPT)
	s_mov_b32 m0, ttmp2
.LBB118_1431:                           ; =>This Inner Loop Header: Depth=1
	s_sethalt 5
	s_branch .LBB118_1431
.LBB118_1432:
	s_mov_b32 s20, 0
.LBB118_1433:
	s_delay_alu instid0(SALU_CYCLE_1)
	s_and_b32 vcc_lo, exec_lo, s20
	s_cbranch_vccz .LBB118_1438
; %bb.1434:
	v_cmp_eq_u16_e32 vcc_lo, 44, v6
	s_mov_b32 s0, -1
	s_cbranch_vccz .LBB118_1438
; %bb.1435:
	v_cvt_f32_f64_e32 v2, v[0:1]
	v_mov_b32_e32 v3, 0xff
	s_mov_b32 s20, exec_lo
	s_delay_alu instid0(VALU_DEP_2) | instskip(NEXT) | instid1(VALU_DEP_1)
	v_bfe_u32 v7, v2, 23, 8
	v_cmpx_ne_u32_e32 0xff, v7
; %bb.1436:
	v_and_b32_e32 v3, 0x400000, v2
	v_and_or_b32 v7, 0x3fffff, v2, v7
	v_lshrrev_b32_e32 v2, 23, v2
	s_delay_alu instid0(VALU_DEP_3) | instskip(NEXT) | instid1(VALU_DEP_3)
	v_cmp_ne_u32_e32 vcc_lo, 0, v3
	v_cmp_ne_u32_e64 s0, 0, v7
	s_delay_alu instid0(VALU_DEP_1) | instskip(NEXT) | instid1(SALU_CYCLE_1)
	s_and_b32 s0, vcc_lo, s0
	v_cndmask_b32_e64 v3, 0, 1, s0
	s_delay_alu instid0(VALU_DEP_1)
	v_add_nc_u32_e32 v3, v2, v3
; %bb.1437:
	s_or_b32 exec_lo, exec_lo, s20
	s_mov_b32 s0, 0
	global_store_b8 v[4:5], v3, off
.LBB118_1438:
	s_mov_b32 s20, 0
.LBB118_1439:
	s_delay_alu instid0(SALU_CYCLE_1)
	s_and_b32 vcc_lo, exec_lo, s20
	s_cbranch_vccz .LBB118_1442
; %bb.1440:
	v_cmp_eq_u16_e32 vcc_lo, 29, v6
	s_mov_b32 s0, -1
	s_cbranch_vccz .LBB118_1442
; %bb.1441:
	v_trunc_f64_e32 v[2:3], v[0:1]
	s_mov_b32 s0, 0
	s_mov_b32 s20, 0
	s_delay_alu instid0(VALU_DEP_1) | instskip(NEXT) | instid1(VALU_DEP_1)
	v_ldexp_f64 v[7:8], v[2:3], 0xffffffe0
	v_floor_f64_e32 v[7:8], v[7:8]
	s_delay_alu instid0(VALU_DEP_1) | instskip(SKIP_1) | instid1(VALU_DEP_2)
	v_fma_f64 v[2:3], 0xc1f00000, v[7:8], v[2:3]
	v_cvt_u32_f64_e32 v8, v[7:8]
	v_cvt_u32_f64_e32 v7, v[2:3]
	global_store_b64 v[4:5], v[7:8], off
	s_branch .LBB118_1443
.LBB118_1442:
	s_mov_b32 s20, 0
.LBB118_1443:
	s_delay_alu instid0(SALU_CYCLE_1)
	s_and_b32 vcc_lo, exec_lo, s20
	s_cbranch_vccz .LBB118_1458
; %bb.1444:
	v_cmp_gt_i16_e32 vcc_lo, 27, v6
	s_mov_b32 s20, -1
	s_cbranch_vccnz .LBB118_1450
; %bb.1445:
	s_delay_alu instid0(VALU_DEP_4)
	v_cvt_u32_f64_e32 v2, v[0:1]
	v_cmp_lt_i16_e32 vcc_lo, 27, v6
	s_cbranch_vccz .LBB118_1447
; %bb.1446:
	s_mov_b32 s20, 0
	global_store_b32 v[4:5], v2, off
.LBB118_1447:
	s_and_not1_b32 vcc_lo, exec_lo, s20
	s_cbranch_vccnz .LBB118_1449
; %bb.1448:
	global_store_b16 v[4:5], v2, off
.LBB118_1449:
	s_mov_b32 s20, 0
.LBB118_1450:
	s_delay_alu instid0(SALU_CYCLE_1)
	s_and_not1_b32 vcc_lo, exec_lo, s20
	s_cbranch_vccnz .LBB118_1458
; %bb.1451:
	s_delay_alu instid0(VALU_DEP_4) | instskip(SKIP_2) | instid1(VALU_DEP_2)
	v_cvt_f32_f64_e32 v2, v[0:1]
	v_mov_b32_e32 v7, 0x80
	s_mov_b32 s20, exec_lo
	v_and_b32_e32 v3, 0x7fffffff, v2
	s_delay_alu instid0(VALU_DEP_1)
	v_cmpx_gt_u32_e32 0x43800000, v3
	s_cbranch_execz .LBB118_1457
; %bb.1452:
	v_cmp_lt_u32_e32 vcc_lo, 0x3bffffff, v3
	s_mov_b32 s21, 0
                                        ; implicit-def: $vgpr3
	s_and_saveexec_b32 s22, vcc_lo
	s_delay_alu instid0(SALU_CYCLE_1)
	s_xor_b32 s22, exec_lo, s22
	s_cbranch_execz .LBB118_1693
; %bb.1453:
	v_bfe_u32 v3, v2, 20, 1
	s_mov_b32 s21, exec_lo
	s_delay_alu instid0(VALU_DEP_1) | instskip(NEXT) | instid1(VALU_DEP_1)
	v_add3_u32 v3, v2, v3, 0x487ffff
	v_lshrrev_b32_e32 v3, 20, v3
	s_or_saveexec_b32 s22, s22
                                        ; implicit-def: $sgpr23
	s_delay_alu instid0(SALU_CYCLE_1)
	s_xor_b32 exec_lo, exec_lo, s22
	s_cbranch_execnz .LBB118_1694
.LBB118_1454:
	s_or_b32 exec_lo, exec_lo, s22
	v_mov_b32_e32 v7, s23
	s_and_saveexec_b32 s22, s21
.LBB118_1455:
	v_lshrrev_b32_e32 v2, 24, v2
	s_delay_alu instid0(VALU_DEP_1)
	v_and_or_b32 v7, 0x80, v2, v3
.LBB118_1456:
	s_or_b32 exec_lo, exec_lo, s22
.LBB118_1457:
	s_delay_alu instid0(SALU_CYCLE_1)
	s_or_b32 exec_lo, exec_lo, s20
	global_store_b8 v[4:5], v7, off
.LBB118_1458:
	s_mov_b32 s20, 0
.LBB118_1459:
	s_delay_alu instid0(SALU_CYCLE_1)
	s_and_b32 vcc_lo, exec_lo, s20
	s_mov_b32 s20, 0
	s_cbranch_vccz .LBB118_1499
; %bb.1460:
	v_cmp_lt_i16_e32 vcc_lo, 22, v6
	s_mov_b32 s21, -1
	s_cbranch_vccz .LBB118_1492
; %bb.1461:
	v_cmp_gt_i16_e32 vcc_lo, 24, v6
	s_cbranch_vccnz .LBB118_1481
; %bb.1462:
	v_cmp_lt_i16_e32 vcc_lo, 24, v6
	s_cbranch_vccz .LBB118_1470
; %bb.1463:
	v_cvt_f32_f64_e32 v2, v[0:1]
	v_mov_b32_e32 v7, 0x80
	s_mov_b32 s21, exec_lo
	s_delay_alu instid0(VALU_DEP_2) | instskip(NEXT) | instid1(VALU_DEP_1)
	v_and_b32_e32 v3, 0x7fffffff, v2
	v_cmpx_gt_u32_e32 0x47800000, v3
	s_cbranch_execz .LBB118_1469
; %bb.1464:
	v_cmp_lt_u32_e32 vcc_lo, 0x37ffffff, v3
	s_mov_b32 s22, 0
                                        ; implicit-def: $vgpr3
	s_and_saveexec_b32 s23, vcc_lo
	s_delay_alu instid0(SALU_CYCLE_1)
	s_xor_b32 s23, exec_lo, s23
	s_cbranch_execz .LBB118_1823
; %bb.1465:
	v_bfe_u32 v3, v2, 21, 1
	s_mov_b32 s22, exec_lo
	s_delay_alu instid0(VALU_DEP_1) | instskip(NEXT) | instid1(VALU_DEP_1)
	v_add3_u32 v3, v2, v3, 0x88fffff
	v_lshrrev_b32_e32 v3, 21, v3
	s_or_saveexec_b32 s23, s23
                                        ; implicit-def: $sgpr24
	s_delay_alu instid0(SALU_CYCLE_1)
	s_xor_b32 exec_lo, exec_lo, s23
	s_cbranch_execnz .LBB118_1824
.LBB118_1466:
	s_or_b32 exec_lo, exec_lo, s23
	v_mov_b32_e32 v7, s24
	s_and_saveexec_b32 s23, s22
.LBB118_1467:
	v_lshrrev_b32_e32 v2, 24, v2
	s_delay_alu instid0(VALU_DEP_1)
	v_and_or_b32 v7, 0x80, v2, v3
.LBB118_1468:
	s_or_b32 exec_lo, exec_lo, s23
.LBB118_1469:
	s_delay_alu instid0(SALU_CYCLE_1)
	s_or_b32 exec_lo, exec_lo, s21
	s_mov_b32 s21, 0
	global_store_b8 v[4:5], v7, off
.LBB118_1470:
	s_and_b32 vcc_lo, exec_lo, s21
	s_cbranch_vccz .LBB118_1480
; %bb.1471:
	v_cvt_f32_f64_e32 v2, v[0:1]
	s_mov_b32 s21, exec_lo
                                        ; implicit-def: $vgpr3
	s_delay_alu instid0(VALU_DEP_1) | instskip(NEXT) | instid1(VALU_DEP_1)
	v_and_b32_e32 v7, 0x7fffffff, v2
	v_cmpx_gt_u32_e32 0x43f00000, v7
	s_xor_b32 s21, exec_lo, s21
	s_cbranch_execz .LBB118_1477
; %bb.1472:
	s_mov_b32 s22, exec_lo
                                        ; implicit-def: $vgpr3
	v_cmpx_lt_u32_e32 0x3c7fffff, v7
	s_xor_b32 s22, exec_lo, s22
; %bb.1473:
	v_bfe_u32 v3, v2, 20, 1
	s_delay_alu instid0(VALU_DEP_1) | instskip(NEXT) | instid1(VALU_DEP_1)
	v_add3_u32 v3, v2, v3, 0x407ffff
	v_and_b32_e32 v7, 0xff00000, v3
	v_lshrrev_b32_e32 v3, 20, v3
	s_delay_alu instid0(VALU_DEP_2) | instskip(NEXT) | instid1(VALU_DEP_2)
	v_cmp_ne_u32_e32 vcc_lo, 0x7f00000, v7
	v_cndmask_b32_e32 v3, 0x7e, v3, vcc_lo
; %bb.1474:
	s_and_not1_saveexec_b32 s22, s22
; %bb.1475:
	v_add_f32_e64 v3, 0x46800000, |v2|
; %bb.1476:
	s_or_b32 exec_lo, exec_lo, s22
                                        ; implicit-def: $vgpr7
.LBB118_1477:
	s_and_not1_saveexec_b32 s21, s21
; %bb.1478:
	v_mov_b32_e32 v3, 0x7f
	v_cmp_lt_u32_e32 vcc_lo, 0x7f800000, v7
	s_delay_alu instid0(VALU_DEP_2)
	v_cndmask_b32_e32 v3, 0x7e, v3, vcc_lo
; %bb.1479:
	s_or_b32 exec_lo, exec_lo, s21
	v_lshrrev_b32_e32 v2, 24, v2
	s_delay_alu instid0(VALU_DEP_1)
	v_and_or_b32 v2, 0x80, v2, v3
	global_store_b8 v[4:5], v2, off
.LBB118_1480:
	s_mov_b32 s21, 0
.LBB118_1481:
	s_delay_alu instid0(SALU_CYCLE_1)
	s_and_not1_b32 vcc_lo, exec_lo, s21
	s_cbranch_vccnz .LBB118_1491
; %bb.1482:
	s_delay_alu instid0(VALU_DEP_4) | instskip(SKIP_1) | instid1(VALU_DEP_1)
	v_cvt_f32_f64_e32 v2, v[0:1]
	s_mov_b32 s21, exec_lo
                                        ; implicit-def: $vgpr3
	v_and_b32_e32 v7, 0x7fffffff, v2
	s_delay_alu instid0(VALU_DEP_1)
	v_cmpx_gt_u32_e32 0x47800000, v7
	s_xor_b32 s21, exec_lo, s21
	s_cbranch_execz .LBB118_1488
; %bb.1483:
	s_mov_b32 s22, exec_lo
                                        ; implicit-def: $vgpr3
	v_cmpx_lt_u32_e32 0x387fffff, v7
	s_xor_b32 s22, exec_lo, s22
; %bb.1484:
	v_bfe_u32 v3, v2, 21, 1
	s_delay_alu instid0(VALU_DEP_1) | instskip(NEXT) | instid1(VALU_DEP_1)
	v_add3_u32 v3, v2, v3, 0x80fffff
	v_lshrrev_b32_e32 v3, 21, v3
; %bb.1485:
	s_and_not1_saveexec_b32 s22, s22
; %bb.1486:
	v_add_f32_e64 v3, 0x43000000, |v2|
; %bb.1487:
	s_or_b32 exec_lo, exec_lo, s22
                                        ; implicit-def: $vgpr7
.LBB118_1488:
	s_and_not1_saveexec_b32 s21, s21
; %bb.1489:
	v_mov_b32_e32 v3, 0x7f
	v_cmp_lt_u32_e32 vcc_lo, 0x7f800000, v7
	s_delay_alu instid0(VALU_DEP_2)
	v_cndmask_b32_e32 v3, 0x7c, v3, vcc_lo
; %bb.1490:
	s_or_b32 exec_lo, exec_lo, s21
	v_lshrrev_b32_e32 v2, 24, v2
	s_delay_alu instid0(VALU_DEP_1)
	v_and_or_b32 v2, 0x80, v2, v3
	global_store_b8 v[4:5], v2, off
.LBB118_1491:
	s_mov_b32 s21, 0
.LBB118_1492:
	s_delay_alu instid0(SALU_CYCLE_1)
	s_and_not1_b32 vcc_lo, exec_lo, s21
	s_mov_b32 s21, 0
	s_cbranch_vccnz .LBB118_1500
; %bb.1493:
	v_cmp_lt_i16_e32 vcc_lo, 14, v6
	s_mov_b32 s21, -1
	s_cbranch_vccz .LBB118_1497
; %bb.1494:
	v_cmp_eq_u16_e32 vcc_lo, 15, v6
	s_mov_b32 s0, -1
	s_cbranch_vccz .LBB118_1496
; %bb.1495:
	v_cvt_f32_f64_e32 v2, v[0:1]
	s_mov_b32 s0, 0
	s_delay_alu instid0(VALU_DEP_1) | instskip(SKIP_1) | instid1(VALU_DEP_2)
	v_bfe_u32 v3, v2, 16, 1
	v_cmp_o_f32_e32 vcc_lo, v2, v2
	v_add3_u32 v3, v2, v3, 0x7fff
	s_delay_alu instid0(VALU_DEP_1) | instskip(NEXT) | instid1(VALU_DEP_1)
	v_lshrrev_b32_e32 v3, 16, v3
	v_cndmask_b32_e32 v2, 0x7fc0, v3, vcc_lo
	global_store_b16 v[4:5], v2, off
.LBB118_1496:
	s_mov_b32 s21, 0
.LBB118_1497:
	s_delay_alu instid0(SALU_CYCLE_1)
	s_and_b32 vcc_lo, exec_lo, s21
	s_mov_b32 s21, 0
	s_cbranch_vccz .LBB118_1500
; %bb.1498:
	v_cmp_ne_u16_e32 vcc_lo, 11, v6
	s_and_not1_b32 s0, s0, exec_lo
	s_mov_b32 s21, -1
	s_and_b32 s22, vcc_lo, exec_lo
	s_delay_alu instid0(SALU_CYCLE_1)
	s_or_b32 s0, s0, s22
	s_branch .LBB118_1500
.LBB118_1499:
	s_mov_b32 s21, 0
.LBB118_1500:
	s_and_not1_b32 s18, s18, exec_lo
	s_and_b32 s22, s0, exec_lo
	s_and_b32 s20, s20, exec_lo
	;; [unrolled: 1-line block ×3, first 2 shown]
	s_or_b32 s18, s18, s22
.LBB118_1501:
	s_or_b32 exec_lo, exec_lo, s19
	s_and_saveexec_b32 s19, s18
	s_cbranch_execnz .LBB118_1563
; %bb.1502:
	s_or_b32 exec_lo, exec_lo, s19
	s_and_saveexec_b32 s18, s0
	s_delay_alu instid0(SALU_CYCLE_1)
	s_xor_b32 s0, exec_lo, s18
	s_cbranch_execz .LBB118_1504
.LBB118_1503:
	s_waitcnt vmcnt(0)
	s_delay_alu instid0(VALU_DEP_1)
	v_cmp_neq_f64_e32 vcc_lo, 0, v[0:1]
	v_cndmask_b32_e64 v2, 0, 1, vcc_lo
	global_store_b8 v[4:5], v2, off
.LBB118_1504:
	s_or_b32 exec_lo, exec_lo, s0
	s_and_saveexec_b32 s0, s20
	s_delay_alu instid0(SALU_CYCLE_1)
	s_xor_b32 s0, exec_lo, s0
	s_cbranch_execz .LBB118_1542
; %bb.1505:
	v_cmp_gt_i16_e32 vcc_lo, 5, v6
	s_mov_b32 s18, -1
	s_cbranch_vccnz .LBB118_1526
; %bb.1506:
	v_cmp_gt_i16_e32 vcc_lo, 8, v6
	s_cbranch_vccnz .LBB118_1516
; %bb.1507:
	v_cmp_gt_i16_e32 vcc_lo, 9, v6
	s_cbranch_vccnz .LBB118_1513
; %bb.1508:
	v_cmp_lt_i16_e32 vcc_lo, 9, v6
	s_cbranch_vccz .LBB118_1510
; %bb.1509:
	s_waitcnt vmcnt(0)
	v_mov_b32_e32 v2, 0
	s_mov_b32 s18, 0
	s_delay_alu instid0(VALU_DEP_1)
	v_mov_b32_e32 v3, v2
	global_store_b128 v[4:5], v[0:3], off
.LBB118_1510:
	s_and_not1_b32 vcc_lo, exec_lo, s18
	s_cbranch_vccnz .LBB118_1512
; %bb.1511:
	s_waitcnt vmcnt(0)
	v_cvt_f32_f64_e32 v2, v[0:1]
	v_mov_b32_e32 v3, 0
	global_store_b64 v[4:5], v[2:3], off
.LBB118_1512:
	s_mov_b32 s18, 0
.LBB118_1513:
	s_delay_alu instid0(SALU_CYCLE_1)
	s_and_not1_b32 vcc_lo, exec_lo, s18
	s_cbranch_vccnz .LBB118_1515
; %bb.1514:
	s_waitcnt vmcnt(0)
	s_delay_alu instid0(VALU_DEP_4) | instskip(NEXT) | instid1(VALU_DEP_1)
	v_cvt_f32_f64_e32 v2, v[0:1]
	v_cvt_f16_f32_e32 v2, v2
	s_delay_alu instid0(VALU_DEP_1)
	v_and_b32_e32 v2, 0xffff, v2
	global_store_b32 v[4:5], v2, off
.LBB118_1515:
	s_mov_b32 s18, 0
.LBB118_1516:
	s_delay_alu instid0(SALU_CYCLE_1)
	s_and_not1_b32 vcc_lo, exec_lo, s18
	s_cbranch_vccnz .LBB118_1525
; %bb.1517:
	v_cmp_gt_i16_e32 vcc_lo, 6, v6
	s_mov_b32 s18, -1
	s_cbranch_vccnz .LBB118_1523
; %bb.1518:
	v_cmp_lt_i16_e32 vcc_lo, 6, v6
	s_cbranch_vccz .LBB118_1520
; %bb.1519:
	s_mov_b32 s18, 0
	s_waitcnt vmcnt(0)
	global_store_b64 v[4:5], v[0:1], off
.LBB118_1520:
	s_and_not1_b32 vcc_lo, exec_lo, s18
	s_cbranch_vccnz .LBB118_1522
; %bb.1521:
	s_waitcnt vmcnt(0)
	v_cvt_f32_f64_e32 v2, v[0:1]
	global_store_b32 v[4:5], v2, off
.LBB118_1522:
	s_mov_b32 s18, 0
.LBB118_1523:
	s_delay_alu instid0(SALU_CYCLE_1)
	s_and_not1_b32 vcc_lo, exec_lo, s18
	s_cbranch_vccnz .LBB118_1525
; %bb.1524:
	s_waitcnt vmcnt(0)
	s_delay_alu instid0(VALU_DEP_4) | instskip(NEXT) | instid1(VALU_DEP_1)
	v_cvt_f32_f64_e32 v2, v[0:1]
	v_cvt_f16_f32_e32 v2, v2
	global_store_b16 v[4:5], v2, off
.LBB118_1525:
	s_mov_b32 s18, 0
.LBB118_1526:
	s_delay_alu instid0(SALU_CYCLE_1)
	s_and_not1_b32 vcc_lo, exec_lo, s18
	s_cbranch_vccnz .LBB118_1542
; %bb.1527:
	v_cmp_gt_i16_e32 vcc_lo, 2, v6
	s_mov_b32 s18, -1
	s_cbranch_vccnz .LBB118_1537
; %bb.1528:
	v_cmp_gt_i16_e32 vcc_lo, 3, v6
	s_cbranch_vccnz .LBB118_1534
; %bb.1529:
	v_cmp_lt_i16_e32 vcc_lo, 3, v6
	s_cbranch_vccz .LBB118_1531
; %bb.1530:
	s_waitcnt vmcnt(0)
	v_trunc_f64_e32 v[2:3], v[0:1]
	s_mov_b32 s18, 0
	s_delay_alu instid0(VALU_DEP_1) | instskip(NEXT) | instid1(VALU_DEP_1)
	v_ldexp_f64 v[7:8], v[2:3], 0xffffffe0
	v_floor_f64_e32 v[7:8], v[7:8]
	s_delay_alu instid0(VALU_DEP_1) | instskip(SKIP_1) | instid1(VALU_DEP_2)
	v_fma_f64 v[2:3], 0xc1f00000, v[7:8], v[2:3]
	v_cvt_i32_f64_e32 v8, v[7:8]
	v_cvt_u32_f64_e32 v7, v[2:3]
	global_store_b64 v[4:5], v[7:8], off
.LBB118_1531:
	s_and_not1_b32 vcc_lo, exec_lo, s18
	s_cbranch_vccnz .LBB118_1533
; %bb.1532:
	s_waitcnt vmcnt(0)
	v_cvt_i32_f64_e32 v2, v[0:1]
	global_store_b32 v[4:5], v2, off
.LBB118_1533:
	s_mov_b32 s18, 0
.LBB118_1534:
	s_delay_alu instid0(SALU_CYCLE_1)
	s_and_not1_b32 vcc_lo, exec_lo, s18
	s_cbranch_vccnz .LBB118_1536
; %bb.1535:
	s_waitcnt vmcnt(0)
	s_delay_alu instid0(VALU_DEP_4)
	v_cvt_i32_f64_e32 v2, v[0:1]
	global_store_b16 v[4:5], v2, off
.LBB118_1536:
	s_mov_b32 s18, 0
.LBB118_1537:
	s_delay_alu instid0(SALU_CYCLE_1)
	s_and_not1_b32 vcc_lo, exec_lo, s18
	s_cbranch_vccnz .LBB118_1542
; %bb.1538:
	v_cmp_lt_i16_e32 vcc_lo, 0, v6
	s_mov_b32 s18, -1
	s_cbranch_vccz .LBB118_1540
; %bb.1539:
	s_waitcnt vmcnt(0)
	s_delay_alu instid0(VALU_DEP_4)
	v_cvt_i32_f64_e32 v2, v[0:1]
	s_mov_b32 s18, 0
	global_store_b8 v[4:5], v2, off
.LBB118_1540:
	s_and_not1_b32 vcc_lo, exec_lo, s18
	s_cbranch_vccnz .LBB118_1542
; %bb.1541:
	s_waitcnt vmcnt(0)
	v_trunc_f64_e32 v[0:1], v[0:1]
	s_delay_alu instid0(VALU_DEP_1) | instskip(NEXT) | instid1(VALU_DEP_1)
	v_ldexp_f64 v[2:3], v[0:1], 0xffffffe0
	v_floor_f64_e32 v[2:3], v[2:3]
	s_delay_alu instid0(VALU_DEP_1) | instskip(NEXT) | instid1(VALU_DEP_1)
	v_fma_f64 v[0:1], 0xc1f00000, v[2:3], v[0:1]
	v_cvt_u32_f64_e32 v0, v[0:1]
	global_store_b8 v[4:5], v0, off
.LBB118_1542:
	s_or_b32 exec_lo, exec_lo, s0
	s_delay_alu instid0(SALU_CYCLE_1)
	s_and_b32 s18, s1, exec_lo
                                        ; implicit-def: $vgpr10
.LBB118_1543:
	s_or_saveexec_b32 s17, s17
	s_mov_b32 s0, 0
                                        ; implicit-def: $vgpr12
                                        ; implicit-def: $vgpr4_vgpr5
                                        ; implicit-def: $vgpr0_vgpr1
	s_xor_b32 exec_lo, exec_lo, s17
	s_cbranch_execz .LBB118_3038
; %bb.1544:
	v_mul_lo_u32 v4, s9, v10
	v_and_b32_e64 v12, 0xff, s16
	s_delay_alu instid0(VALU_DEP_1) | instskip(SKIP_1) | instid1(VALU_DEP_3)
	v_cmp_gt_i16_e32 vcc_lo, 11, v12
	s_waitcnt vmcnt(0)
	v_ashrrev_i32_e32 v0, 31, v4
	v_add_co_u32 v2, s0, s6, v4
	s_delay_alu instid0(VALU_DEP_1)
	v_add_co_ci_u32_e64 v3, s0, s7, v0, s0
	s_cbranch_vccnz .LBB118_1551
; %bb.1545:
	v_cmp_lt_i16_e32 vcc_lo, 25, v12
	s_mov_b32 s16, 0
	s_cbranch_vccz .LBB118_1557
; %bb.1546:
	v_cmp_lt_i16_e32 vcc_lo, 28, v12
	s_cbranch_vccz .LBB118_1559
; %bb.1547:
	v_cmp_lt_i16_e32 vcc_lo, 43, v12
	;; [unrolled: 3-line block ×3, first 2 shown]
	s_cbranch_vccz .LBB118_1565
; %bb.1549:
	v_cmp_eq_u16_e32 vcc_lo, 46, v12
	s_mov_b32 s1, 0
	s_cbranch_vccz .LBB118_1605
; %bb.1550:
	global_load_b32 v0, v[2:3], off
	s_mov_b32 s0, -1
	s_waitcnt vmcnt(0)
	v_lshlrev_b32_e32 v0, 16, v0
	s_delay_alu instid0(VALU_DEP_1)
	v_cvt_f64_f32_e32 v[0:1], v0
	s_branch .LBB118_1607
.LBB118_1551:
	s_mov_b32 s0, 0
	s_mov_b32 s15, s18
                                        ; implicit-def: $vgpr0_vgpr1
	s_cbranch_execz .LBB118_1670
; %bb.1552:
	v_cmp_gt_i16_e32 vcc_lo, 5, v12
	s_cbranch_vccnz .LBB118_1558
; %bb.1553:
	v_cmp_gt_i16_e32 vcc_lo, 8, v12
	s_cbranch_vccnz .LBB118_1560
	;; [unrolled: 3-line block ×3, first 2 shown]
; %bb.1555:
	v_cmp_lt_i16_e32 vcc_lo, 9, v12
	s_cbranch_vccz .LBB118_1566
; %bb.1556:
	global_load_b64 v[0:1], v[2:3], off
	s_mov_b32 s0, 0
	s_branch .LBB118_1567
.LBB118_1557:
	s_mov_b32 s0, 0
                                        ; implicit-def: $vgpr0_vgpr1
	s_cbranch_execnz .LBB118_1637
	s_branch .LBB118_1666
.LBB118_1558:
                                        ; implicit-def: $vgpr0_vgpr1
	s_branch .LBB118_1584
.LBB118_1559:
	s_mov_b32 s1, -1
	s_mov_b32 s0, 0
                                        ; implicit-def: $vgpr0_vgpr1
	s_branch .LBB118_1616
.LBB118_1560:
                                        ; implicit-def: $vgpr0_vgpr1
	s_branch .LBB118_1573
.LBB118_1561:
	s_mov_b32 s0, 0
                                        ; implicit-def: $vgpr0_vgpr1
	s_cbranch_execnz .LBB118_1612
	s_branch .LBB118_1615
.LBB118_1562:
	s_mov_b32 s0, -1
                                        ; implicit-def: $vgpr0_vgpr1
	s_branch .LBB118_1570
.LBB118_1563:
	s_cbranch_execnz .LBB118_1603
; %bb.1564:
	s_or_b32 s1, s1, exec_lo
	s_and_not1_b32 s0, s0, exec_lo
	s_or_b32 exec_lo, exec_lo, s19
	s_and_saveexec_b32 s18, s0
	s_delay_alu instid0(SALU_CYCLE_1)
	s_xor_b32 s0, exec_lo, s18
	s_cbranch_execnz .LBB118_1503
	s_branch .LBB118_1504
.LBB118_1565:
	s_mov_b32 s1, -1
	s_branch .LBB118_1606
.LBB118_1566:
	s_mov_b32 s0, -1
                                        ; implicit-def: $vgpr0_vgpr1
.LBB118_1567:
	s_delay_alu instid0(SALU_CYCLE_1)
	s_and_not1_b32 vcc_lo, exec_lo, s0
	s_cbranch_vccnz .LBB118_1569
; %bb.1568:
	global_load_b32 v0, v[2:3], off
	s_waitcnt vmcnt(0)
	v_cvt_f64_f32_e32 v[0:1], v0
.LBB118_1569:
	s_mov_b32 s0, 0
.LBB118_1570:
	s_delay_alu instid0(SALU_CYCLE_1)
	s_and_not1_b32 vcc_lo, exec_lo, s0
	s_cbranch_vccnz .LBB118_1572
; %bb.1571:
	global_load_b32 v0, v[2:3], off
	s_waitcnt vmcnt(0)
	v_cvt_f32_f16_e32 v0, v0
	s_delay_alu instid0(VALU_DEP_1)
	v_cvt_f64_f32_e32 v[0:1], v0
.LBB118_1572:
	s_cbranch_execnz .LBB118_1583
.LBB118_1573:
	v_cmp_gt_i16_e32 vcc_lo, 6, v12
	s_cbranch_vccnz .LBB118_1576
; %bb.1574:
	v_cmp_lt_i16_e32 vcc_lo, 6, v12
	s_cbranch_vccz .LBB118_1577
; %bb.1575:
	global_load_b64 v[0:1], v[2:3], off
	s_mov_b32 s0, 0
	s_branch .LBB118_1578
.LBB118_1576:
	s_mov_b32 s0, -1
                                        ; implicit-def: $vgpr0_vgpr1
	s_branch .LBB118_1581
.LBB118_1577:
	s_mov_b32 s0, -1
                                        ; implicit-def: $vgpr0_vgpr1
.LBB118_1578:
	s_delay_alu instid0(SALU_CYCLE_1)
	s_and_not1_b32 vcc_lo, exec_lo, s0
	s_cbranch_vccnz .LBB118_1580
; %bb.1579:
	global_load_b32 v0, v[2:3], off
	s_waitcnt vmcnt(0)
	v_cvt_f64_f32_e32 v[0:1], v0
.LBB118_1580:
	s_mov_b32 s0, 0
.LBB118_1581:
	s_delay_alu instid0(SALU_CYCLE_1)
	s_and_not1_b32 vcc_lo, exec_lo, s0
	s_cbranch_vccnz .LBB118_1583
; %bb.1582:
	global_load_u16 v0, v[2:3], off
	s_waitcnt vmcnt(0)
	v_cvt_f32_f16_e32 v0, v0
	s_delay_alu instid0(VALU_DEP_1)
	v_cvt_f64_f32_e32 v[0:1], v0
.LBB118_1583:
	s_cbranch_execnz .LBB118_1602
.LBB118_1584:
	v_cmp_gt_i16_e32 vcc_lo, 2, v12
	s_cbranch_vccnz .LBB118_1588
; %bb.1585:
	v_cmp_gt_i16_e32 vcc_lo, 3, v12
	s_cbranch_vccnz .LBB118_1589
; %bb.1586:
	v_cmp_lt_i16_e32 vcc_lo, 3, v12
	s_cbranch_vccz .LBB118_1590
; %bb.1587:
	global_load_b64 v[0:1], v[2:3], off
	s_mov_b32 s0, 0
	s_waitcnt vmcnt(0)
	v_cvt_f64_i32_e32 v[5:6], v1
	v_cvt_f64_u32_e32 v[0:1], v0
	s_delay_alu instid0(VALU_DEP_2) | instskip(NEXT) | instid1(VALU_DEP_1)
	v_ldexp_f64 v[5:6], v[5:6], 32
	v_add_f64 v[0:1], v[5:6], v[0:1]
	s_branch .LBB118_1591
.LBB118_1588:
                                        ; implicit-def: $vgpr0_vgpr1
	s_branch .LBB118_1597
.LBB118_1589:
	s_mov_b32 s0, -1
                                        ; implicit-def: $vgpr0_vgpr1
	s_branch .LBB118_1594
.LBB118_1590:
	s_mov_b32 s0, -1
                                        ; implicit-def: $vgpr0_vgpr1
.LBB118_1591:
	s_delay_alu instid0(SALU_CYCLE_1)
	s_and_not1_b32 vcc_lo, exec_lo, s0
	s_cbranch_vccnz .LBB118_1593
; %bb.1592:
	global_load_b32 v0, v[2:3], off
	s_waitcnt vmcnt(0)
	v_cvt_f64_i32_e32 v[0:1], v0
.LBB118_1593:
	s_mov_b32 s0, 0
.LBB118_1594:
	s_delay_alu instid0(SALU_CYCLE_1)
	s_and_not1_b32 vcc_lo, exec_lo, s0
	s_cbranch_vccnz .LBB118_1596
; %bb.1595:
	global_load_i16 v0, v[2:3], off
	s_waitcnt vmcnt(0)
	v_cvt_f64_i32_e32 v[0:1], v0
.LBB118_1596:
	s_cbranch_execnz .LBB118_1602
.LBB118_1597:
	v_cmp_lt_i16_e32 vcc_lo, 0, v12
	s_mov_b32 s0, 0
	s_cbranch_vccz .LBB118_1599
; %bb.1598:
	global_load_i8 v0, v[2:3], off
	s_waitcnt vmcnt(0)
	v_cvt_f64_i32_e32 v[0:1], v0
	s_branch .LBB118_1600
.LBB118_1599:
	s_mov_b32 s0, -1
                                        ; implicit-def: $vgpr0_vgpr1
.LBB118_1600:
	s_delay_alu instid0(SALU_CYCLE_1)
	s_and_not1_b32 vcc_lo, exec_lo, s0
	s_cbranch_vccnz .LBB118_1602
; %bb.1601:
	global_load_u8 v0, v[2:3], off
	s_waitcnt vmcnt(0)
	v_cvt_f64_u32_e32 v[0:1], v0
.LBB118_1602:
                                        ; implicit-def: $vgpr2_vgpr3
	s_branch .LBB118_1671
.LBB118_1603:
	s_trap 2
	s_sendmsg_rtn_b32 s0, sendmsg(MSG_RTN_GET_DOORBELL)
	s_mov_b32 ttmp2, m0
	s_waitcnt lgkmcnt(0)
	s_and_b32 s0, s0, 0x3ff
	s_delay_alu instid0(SALU_CYCLE_1) | instskip(NEXT) | instid1(SALU_CYCLE_1)
	s_bitset1_b32 s0, 10
	s_mov_b32 m0, s0
	s_sendmsg sendmsg(MSG_INTERRUPT)
	s_mov_b32 m0, ttmp2
.LBB118_1604:                           ; =>This Inner Loop Header: Depth=1
	s_sethalt 5
	s_branch .LBB118_1604
.LBB118_1605:
	s_mov_b32 s15, -1
.LBB118_1606:
	s_mov_b32 s0, 0
                                        ; implicit-def: $vgpr0_vgpr1
.LBB118_1607:
	s_and_b32 vcc_lo, exec_lo, s1
	s_cbranch_vccz .LBB118_1610
; %bb.1608:
	v_cmp_eq_u16_e32 vcc_lo, 44, v12
	s_cbranch_vccz .LBB118_1611
; %bb.1609:
	global_load_u8 v5, v[2:3], off
	s_mov_b32 s15, 0
	s_mov_b32 s0, -1
	s_waitcnt vmcnt(0)
	v_lshlrev_b32_e32 v0, 23, v5
	v_cmp_ne_u32_e32 vcc_lo, 0xff, v5
	s_delay_alu instid0(VALU_DEP_2) | instskip(NEXT) | instid1(VALU_DEP_1)
	v_cvt_f64_f32_e32 v[0:1], v0
	v_cndmask_b32_e32 v0, 0x20000000, v0, vcc_lo
	s_delay_alu instid0(VALU_DEP_2) | instskip(SKIP_1) | instid1(VALU_DEP_2)
	v_cndmask_b32_e32 v1, 0x7ff80000, v1, vcc_lo
	v_cmp_ne_u32_e32 vcc_lo, 0, v5
	v_cndmask_b32_e32 v1, 0x38000000, v1, vcc_lo
	s_delay_alu instid0(VALU_DEP_4)
	v_cndmask_b32_e32 v0, 0, v0, vcc_lo
.LBB118_1610:
	s_branch .LBB118_1615
.LBB118_1611:
	s_mov_b32 s15, -1
                                        ; implicit-def: $vgpr0_vgpr1
	s_branch .LBB118_1615
.LBB118_1612:
	v_cmp_eq_u16_e32 vcc_lo, 29, v12
	s_cbranch_vccz .LBB118_1614
; %bb.1613:
	global_load_b64 v[0:1], v[2:3], off
	s_mov_b32 s15, 0
	s_mov_b32 s0, -1
	s_mov_b32 s1, 0
	s_waitcnt vmcnt(0)
	v_cvt_f64_u32_e32 v[5:6], v1
	v_cvt_f64_u32_e32 v[0:1], v0
	s_delay_alu instid0(VALU_DEP_2) | instskip(NEXT) | instid1(VALU_DEP_1)
	v_ldexp_f64 v[5:6], v[5:6], 32
	v_add_f64 v[0:1], v[5:6], v[0:1]
	s_branch .LBB118_1616
.LBB118_1614:
	s_mov_b32 s15, -1
                                        ; implicit-def: $vgpr0_vgpr1
.LBB118_1615:
	s_mov_b32 s1, 0
.LBB118_1616:
	s_delay_alu instid0(SALU_CYCLE_1)
	s_and_b32 vcc_lo, exec_lo, s1
	s_cbranch_vccz .LBB118_1636
; %bb.1617:
	v_cmp_gt_i16_e32 vcc_lo, 27, v12
	s_cbranch_vccnz .LBB118_1620
; %bb.1618:
	v_cmp_lt_i16_e32 vcc_lo, 27, v12
	s_cbranch_vccz .LBB118_1621
; %bb.1619:
	global_load_b32 v0, v[2:3], off
	s_mov_b32 s0, 0
	s_waitcnt vmcnt(0)
	v_cvt_f64_u32_e32 v[0:1], v0
	s_branch .LBB118_1622
.LBB118_1620:
	s_mov_b32 s0, -1
                                        ; implicit-def: $vgpr0_vgpr1
	s_branch .LBB118_1625
.LBB118_1621:
	s_mov_b32 s0, -1
                                        ; implicit-def: $vgpr0_vgpr1
.LBB118_1622:
	s_delay_alu instid0(SALU_CYCLE_1)
	s_and_not1_b32 vcc_lo, exec_lo, s0
	s_cbranch_vccnz .LBB118_1624
; %bb.1623:
	global_load_u16 v0, v[2:3], off
	s_waitcnt vmcnt(0)
	v_cvt_f64_u32_e32 v[0:1], v0
.LBB118_1624:
	s_mov_b32 s0, 0
.LBB118_1625:
	s_delay_alu instid0(SALU_CYCLE_1)
	s_and_not1_b32 vcc_lo, exec_lo, s0
	s_cbranch_vccnz .LBB118_1635
; %bb.1626:
	global_load_u8 v5, v[2:3], off
	s_mov_b32 s19, 0
	s_mov_b32 s20, exec_lo
                                        ; implicit-def: $sgpr0_sgpr1
	s_waitcnt vmcnt(0)
	v_cmpx_lt_i16_e32 0x7f, v5
	s_xor_b32 s20, exec_lo, s20
	s_cbranch_execz .LBB118_1630
; %bb.1627:
	s_mov_b32 s21, -1
	s_mov_b32 s19, exec_lo
                                        ; implicit-def: $sgpr0_sgpr1
	v_cmpx_eq_u16_e32 0x80, v5
; %bb.1628:
	s_mov_b32 s1, 0x7ff80000
	s_brev_b32 s0, 4
	s_xor_b32 s21, exec_lo, -1
; %bb.1629:
	s_or_b32 exec_lo, exec_lo, s19
	s_delay_alu instid0(SALU_CYCLE_1)
	s_and_b32 s19, s21, exec_lo
.LBB118_1630:
	s_or_saveexec_b32 s20, s20
	v_dual_mov_b32 v0, s0 :: v_dual_mov_b32 v1, s1
	s_xor_b32 exec_lo, exec_lo, s20
; %bb.1631:
	v_cmp_ne_u16_e32 vcc_lo, 0, v5
	v_mov_b32_e32 v0, 0
	v_mov_b32_e32 v1, 0
	s_and_not1_b32 s0, s19, exec_lo
	s_and_b32 s1, vcc_lo, exec_lo
	s_delay_alu instid0(SALU_CYCLE_1)
	s_or_b32 s19, s0, s1
; %bb.1632:
	s_or_b32 exec_lo, exec_lo, s20
	s_and_saveexec_b32 s0, s19
	s_cbranch_execz .LBB118_1634
; %bb.1633:
	v_and_b32_e32 v0, 0xffff, v5
	v_lshlrev_b32_e32 v5, 24, v5
	s_delay_alu instid0(VALU_DEP_2) | instskip(NEXT) | instid1(VALU_DEP_2)
	v_and_b32_e32 v1, 7, v0
	v_and_b32_e32 v5, 0x80000000, v5
	s_delay_alu instid0(VALU_DEP_2) | instskip(NEXT) | instid1(VALU_DEP_1)
	v_clz_i32_u32_e32 v6, v1
	v_min_u32_e32 v6, 32, v6
	s_delay_alu instid0(VALU_DEP_1) | instskip(SKIP_1) | instid1(VALU_DEP_2)
	v_subrev_nc_u32_e32 v7, 28, v6
	v_sub_nc_u32_e32 v6, 29, v6
	v_lshlrev_b32_e32 v7, v7, v0
	v_bfe_u32 v0, v0, 3, 4
	s_delay_alu instid0(VALU_DEP_2) | instskip(NEXT) | instid1(VALU_DEP_2)
	v_and_b32_e32 v7, 7, v7
	v_cmp_eq_u32_e32 vcc_lo, 0, v0
	s_delay_alu instid0(VALU_DEP_2) | instskip(NEXT) | instid1(VALU_DEP_1)
	v_dual_cndmask_b32 v0, v0, v6 :: v_dual_cndmask_b32 v1, v1, v7
	v_lshl_add_u32 v0, v0, 23, 0x3b800000
	s_delay_alu instid0(VALU_DEP_2) | instskip(NEXT) | instid1(VALU_DEP_1)
	v_lshlrev_b32_e32 v1, 20, v1
	v_or3_b32 v0, v5, v0, v1
	s_delay_alu instid0(VALU_DEP_1)
	v_cvt_f64_f32_e32 v[0:1], v0
.LBB118_1634:
	s_or_b32 exec_lo, exec_lo, s0
.LBB118_1635:
	s_mov_b32 s0, -1
.LBB118_1636:
	s_branch .LBB118_1666
.LBB118_1637:
	v_cmp_lt_i16_e32 vcc_lo, 22, v12
	s_cbranch_vccz .LBB118_1649
; %bb.1638:
	v_cmp_gt_i16_e32 vcc_lo, 24, v12
	s_cbranch_vccnz .LBB118_1650
; %bb.1639:
	v_cmp_lt_i16_e32 vcc_lo, 24, v12
	s_cbranch_vccz .LBB118_1651
; %bb.1640:
	global_load_u8 v5, v[2:3], off
	s_mov_b32 s19, exec_lo
                                        ; implicit-def: $sgpr0_sgpr1
	s_waitcnt vmcnt(0)
	v_cmpx_lt_i16_e32 0x7f, v5
	s_xor_b32 s19, exec_lo, s19
	s_cbranch_execz .LBB118_1644
; %bb.1641:
	s_mov_b32 s20, -1
	s_mov_b32 s16, exec_lo
                                        ; implicit-def: $sgpr0_sgpr1
	v_cmpx_eq_u16_e32 0x80, v5
; %bb.1642:
	s_mov_b32 s1, 0x7ff80000
	s_brev_b32 s0, 4
	s_xor_b32 s20, exec_lo, -1
; %bb.1643:
	s_or_b32 exec_lo, exec_lo, s16
	s_delay_alu instid0(SALU_CYCLE_1)
	s_and_b32 s16, s20, exec_lo
.LBB118_1644:
	s_or_saveexec_b32 s19, s19
	v_dual_mov_b32 v0, s0 :: v_dual_mov_b32 v1, s1
	s_xor_b32 exec_lo, exec_lo, s19
; %bb.1645:
	v_cmp_ne_u16_e32 vcc_lo, 0, v5
	v_mov_b32_e32 v0, 0
	v_mov_b32_e32 v1, 0
	s_and_not1_b32 s0, s16, exec_lo
	s_and_b32 s1, vcc_lo, exec_lo
	s_delay_alu instid0(SALU_CYCLE_1)
	s_or_b32 s16, s0, s1
; %bb.1646:
	s_or_b32 exec_lo, exec_lo, s19
	s_and_saveexec_b32 s0, s16
	s_cbranch_execz .LBB118_1648
; %bb.1647:
	v_and_b32_e32 v0, 0xffff, v5
	v_lshlrev_b32_e32 v5, 24, v5
	s_delay_alu instid0(VALU_DEP_2) | instskip(NEXT) | instid1(VALU_DEP_2)
	v_and_b32_e32 v1, 3, v0
	v_and_b32_e32 v5, 0x80000000, v5
	s_delay_alu instid0(VALU_DEP_2) | instskip(NEXT) | instid1(VALU_DEP_1)
	v_clz_i32_u32_e32 v6, v1
	v_min_u32_e32 v6, 32, v6
	s_delay_alu instid0(VALU_DEP_1) | instskip(SKIP_1) | instid1(VALU_DEP_2)
	v_subrev_nc_u32_e32 v7, 29, v6
	v_sub_nc_u32_e32 v6, 30, v6
	v_lshlrev_b32_e32 v7, v7, v0
	v_bfe_u32 v0, v0, 2, 5
	s_delay_alu instid0(VALU_DEP_2) | instskip(NEXT) | instid1(VALU_DEP_2)
	v_and_b32_e32 v7, 3, v7
	v_cmp_eq_u32_e32 vcc_lo, 0, v0
	s_delay_alu instid0(VALU_DEP_2) | instskip(NEXT) | instid1(VALU_DEP_1)
	v_dual_cndmask_b32 v0, v0, v6 :: v_dual_cndmask_b32 v1, v1, v7
	v_lshl_add_u32 v0, v0, 23, 0x37800000
	s_delay_alu instid0(VALU_DEP_2) | instskip(NEXT) | instid1(VALU_DEP_1)
	v_lshlrev_b32_e32 v1, 21, v1
	v_or3_b32 v0, v5, v0, v1
	s_delay_alu instid0(VALU_DEP_1)
	v_cvt_f64_f32_e32 v[0:1], v0
.LBB118_1648:
	s_or_b32 exec_lo, exec_lo, s0
	s_mov_b32 s0, 0
	s_branch .LBB118_1652
.LBB118_1649:
                                        ; implicit-def: $vgpr0_vgpr1
	s_mov_b32 s16, 0
	s_branch .LBB118_1658
.LBB118_1650:
	s_mov_b32 s0, -1
                                        ; implicit-def: $vgpr0_vgpr1
	s_branch .LBB118_1655
.LBB118_1651:
	s_mov_b32 s0, -1
                                        ; implicit-def: $vgpr0_vgpr1
.LBB118_1652:
	s_delay_alu instid0(SALU_CYCLE_1)
	s_and_b32 vcc_lo, exec_lo, s0
	s_cbranch_vccz .LBB118_1654
; %bb.1653:
	global_load_u8 v0, v[2:3], off
	s_waitcnt vmcnt(0)
	v_lshlrev_b32_e32 v0, 24, v0
	s_delay_alu instid0(VALU_DEP_1) | instskip(NEXT) | instid1(VALU_DEP_1)
	v_and_b32_e32 v1, 0x7f000000, v0
	v_clz_i32_u32_e32 v5, v1
	v_add_nc_u32_e32 v7, 0x1000000, v1
	v_cmp_ne_u32_e32 vcc_lo, 0, v1
	s_delay_alu instid0(VALU_DEP_3) | instskip(NEXT) | instid1(VALU_DEP_1)
	v_min_u32_e32 v5, 32, v5
	v_sub_nc_u32_e64 v5, v5, 4 clamp
	s_delay_alu instid0(VALU_DEP_1) | instskip(SKIP_1) | instid1(VALU_DEP_2)
	v_lshlrev_b32_e32 v6, v5, v1
	v_lshlrev_b32_e32 v5, 23, v5
	v_lshrrev_b32_e32 v6, 4, v6
	s_delay_alu instid0(VALU_DEP_1) | instskip(SKIP_1) | instid1(VALU_DEP_2)
	v_sub_nc_u32_e32 v5, v6, v5
	v_ashrrev_i32_e32 v6, 8, v7
	v_add_nc_u32_e32 v5, 0x3c000000, v5
	s_delay_alu instid0(VALU_DEP_1) | instskip(NEXT) | instid1(VALU_DEP_1)
	v_and_or_b32 v5, 0x7f800000, v6, v5
	v_cndmask_b32_e32 v1, 0, v5, vcc_lo
	s_delay_alu instid0(VALU_DEP_1) | instskip(NEXT) | instid1(VALU_DEP_1)
	v_and_or_b32 v0, 0x80000000, v0, v1
	v_cvt_f64_f32_e32 v[0:1], v0
.LBB118_1654:
	s_mov_b32 s0, 0
.LBB118_1655:
	s_delay_alu instid0(SALU_CYCLE_1)
	s_and_not1_b32 vcc_lo, exec_lo, s0
	s_cbranch_vccnz .LBB118_1657
; %bb.1656:
	global_load_u8 v0, v[2:3], off
	s_waitcnt vmcnt(0)
	v_lshlrev_b32_e32 v1, 25, v0
	v_lshlrev_b16 v0, 8, v0
	s_delay_alu instid0(VALU_DEP_1) | instskip(SKIP_1) | instid1(VALU_DEP_2)
	v_and_or_b32 v6, 0x7f00, v0, 0.5
	v_bfe_i32 v0, v0, 0, 16
	v_add_f32_e32 v6, -0.5, v6
	v_lshrrev_b32_e32 v5, 4, v1
	v_cmp_gt_u32_e32 vcc_lo, 0x8000000, v1
	s_delay_alu instid0(VALU_DEP_2) | instskip(NEXT) | instid1(VALU_DEP_1)
	v_or_b32_e32 v5, 0x70000000, v5
	v_mul_f32_e32 v5, 0x7800000, v5
	s_delay_alu instid0(VALU_DEP_1) | instskip(NEXT) | instid1(VALU_DEP_1)
	v_cndmask_b32_e32 v1, v5, v6, vcc_lo
	v_and_or_b32 v0, 0x80000000, v0, v1
	s_delay_alu instid0(VALU_DEP_1)
	v_cvt_f64_f32_e32 v[0:1], v0
.LBB118_1657:
	s_mov_b32 s0, -1
	s_mov_b32 s16, 0
	s_cbranch_execnz .LBB118_1666
.LBB118_1658:
	v_cmp_lt_i16_e32 vcc_lo, 14, v12
	s_cbranch_vccz .LBB118_1661
; %bb.1659:
	v_cmp_eq_u16_e32 vcc_lo, 15, v12
	s_cbranch_vccz .LBB118_1662
; %bb.1660:
	global_load_u16 v0, v[2:3], off
	s_mov_b32 s15, 0
	s_mov_b32 s0, -1
	s_waitcnt vmcnt(0)
	v_lshlrev_b32_e32 v0, 16, v0
	s_delay_alu instid0(VALU_DEP_1)
	v_cvt_f64_f32_e32 v[0:1], v0
	s_branch .LBB118_1663
.LBB118_1661:
	s_mov_b32 s1, -1
                                        ; implicit-def: $vgpr0_vgpr1
	s_branch .LBB118_1664
.LBB118_1662:
	s_mov_b32 s15, -1
                                        ; implicit-def: $vgpr0_vgpr1
.LBB118_1663:
	s_mov_b32 s1, 0
.LBB118_1664:
	s_delay_alu instid0(SALU_CYCLE_1)
	s_and_b32 vcc_lo, exec_lo, s1
	s_cbranch_vccz .LBB118_1666
; %bb.1665:
	v_cmp_ne_u16_e64 s15, 11, v12
	s_mov_b32 s16, -1
                                        ; implicit-def: $vgpr0_vgpr1
.LBB118_1666:
	s_delay_alu instid0(VALU_DEP_1)
	s_and_b32 vcc_lo, exec_lo, s15
	s_mov_b32 s15, s18
	s_cbranch_vccnz .LBB118_1690
; %bb.1667:
	s_and_not1_b32 vcc_lo, exec_lo, s16
	s_cbranch_vccnz .LBB118_1669
.LBB118_1668:
	global_load_u8 v0, v[2:3], off
	s_mov_b32 s0, -1
	s_waitcnt vmcnt(0)
	v_cmp_ne_u16_e32 vcc_lo, 0, v0
	v_mov_b32_e32 v0, 0
	v_cndmask_b32_e64 v1, 0, 0x3ff00000, vcc_lo
.LBB118_1669:
.LBB118_1670:
	s_and_not1_b32 vcc_lo, exec_lo, s0
                                        ; implicit-def: $vgpr2_vgpr3
	s_cbranch_vccnz .LBB118_3036
.LBB118_1671:
	v_mul_lo_u32 v6, s10, v10
	v_and_b32_e64 v11, 0xff, s11
	s_delay_alu instid0(VALU_DEP_1) | instskip(NEXT) | instid1(VALU_DEP_3)
	v_cmp_gt_i16_e32 vcc_lo, 11, v11
	v_ashrrev_i32_e32 v3, 31, v6
	v_add_co_u32 v2, s0, s12, v6
	s_delay_alu instid0(VALU_DEP_1)
	v_add_co_ci_u32_e64 v3, s0, s13, v3, s0
	s_cbranch_vccnz .LBB118_1678
; %bb.1672:
	v_cmp_lt_i16_e32 vcc_lo, 25, v11
	s_mov_b32 s0, 0
	s_cbranch_vccz .LBB118_1684
; %bb.1673:
	v_cmp_lt_i16_e32 vcc_lo, 28, v11
	s_cbranch_vccz .LBB118_1686
; %bb.1674:
	v_cmp_lt_i16_e32 vcc_lo, 43, v11
	;; [unrolled: 3-line block ×3, first 2 shown]
	s_cbranch_vccz .LBB118_1692
; %bb.1676:
	v_cmp_eq_u16_e32 vcc_lo, 46, v11
	s_mov_b32 s19, 0
	s_cbranch_vccz .LBB118_1736
; %bb.1677:
	global_load_b32 v5, v[2:3], off
	s_mov_b32 s1, 0
	s_mov_b32 s16, -1
	s_waitcnt vmcnt(0)
	v_and_b32_e32 v5, 0x7fff7fff, v5
	s_delay_alu instid0(VALU_DEP_1)
	v_cmp_ne_u32_e32 vcc_lo, 0, v5
	s_and_b32 s11, vcc_lo, exec_lo
	s_branch .LBB118_1738
.LBB118_1678:
	s_mov_b32 s16, 0
                                        ; implicit-def: $sgpr11
	s_cbranch_execz .LBB118_1801
; %bb.1679:
	v_cmp_gt_i16_e32 vcc_lo, 5, v11
	s_cbranch_vccnz .LBB118_1685
; %bb.1680:
	v_cmp_gt_i16_e32 vcc_lo, 8, v11
	s_cbranch_vccnz .LBB118_1687
	;; [unrolled: 3-line block ×3, first 2 shown]
; %bb.1682:
	v_cmp_lt_i16_e32 vcc_lo, 9, v11
	s_cbranch_vccz .LBB118_1695
; %bb.1683:
	global_load_b128 v[13:16], v[2:3], off
	s_waitcnt vmcnt(0)
	v_cmp_neq_f64_e32 vcc_lo, 0, v[13:14]
	v_cmp_neq_f64_e64 s0, 0, v[15:16]
	s_delay_alu instid0(VALU_DEP_1)
	s_or_b32 s1, vcc_lo, s0
	s_mov_b32 s0, 0
	s_and_b32 s11, s1, exec_lo
	s_branch .LBB118_1696
.LBB118_1684:
	s_mov_b32 s16, 0
	s_mov_b32 s1, 0
                                        ; implicit-def: $sgpr11
	s_cbranch_execnz .LBB118_1765
	s_branch .LBB118_1797
.LBB118_1685:
                                        ; implicit-def: $sgpr11
	s_branch .LBB118_1714
.LBB118_1686:
	s_mov_b32 s19, -1
	s_mov_b32 s16, 0
	s_mov_b32 s1, 0
                                        ; implicit-def: $sgpr11
	s_branch .LBB118_1746
.LBB118_1687:
	s_mov_b32 s0, -1
                                        ; implicit-def: $sgpr11
	s_branch .LBB118_1702
.LBB118_1688:
	s_mov_b32 s19, -1
	s_mov_b32 s16, 0
	s_mov_b32 s1, 0
                                        ; implicit-def: $sgpr11
	s_branch .LBB118_1741
.LBB118_1689:
	s_mov_b32 s0, -1
                                        ; implicit-def: $sgpr11
	s_branch .LBB118_1699
.LBB118_1690:
	s_cbranch_execnz .LBB118_1734
; %bb.1691:
	s_or_b32 s15, s18, exec_lo
                                        ; implicit-def: $vgpr0_vgpr1
	s_cbranch_execz .LBB118_1668
	s_branch .LBB118_1669
.LBB118_1692:
	s_mov_b32 s19, -1
	s_mov_b32 s16, 0
	s_mov_b32 s1, 0
	s_branch .LBB118_1737
.LBB118_1693:
	s_or_saveexec_b32 s22, s22
                                        ; implicit-def: $sgpr23
	s_delay_alu instid0(SALU_CYCLE_1)
	s_xor_b32 exec_lo, exec_lo, s22
	s_cbranch_execz .LBB118_1454
.LBB118_1694:
	v_add_f32_e64 v3, 0x46000000, |v2|
	s_and_not1_b32 s21, s21, exec_lo
	s_mov_b32 s23, 0
	s_delay_alu instid0(VALU_DEP_1) | instskip(NEXT) | instid1(VALU_DEP_1)
	v_and_b32_e32 v3, 0xff, v3
	v_cmp_ne_u32_e32 vcc_lo, 0, v3
	s_and_b32 s24, vcc_lo, exec_lo
	s_delay_alu instid0(SALU_CYCLE_1)
	s_or_b32 s21, s21, s24
	s_or_b32 exec_lo, exec_lo, s22
	v_mov_b32_e32 v7, s23
	s_and_saveexec_b32 s22, s21
	s_cbranch_execnz .LBB118_1455
	s_branch .LBB118_1456
.LBB118_1695:
	s_mov_b32 s0, -1
                                        ; implicit-def: $sgpr11
.LBB118_1696:
	s_delay_alu instid0(SALU_CYCLE_1)
	s_and_not1_b32 vcc_lo, exec_lo, s0
	s_cbranch_vccnz .LBB118_1698
; %bb.1697:
	global_load_b64 v[7:8], v[2:3], off
	s_and_not1_b32 s0, s11, exec_lo
	s_waitcnt vmcnt(0)
	v_or_b32_e32 v5, v7, v8
	s_delay_alu instid0(VALU_DEP_1) | instskip(NEXT) | instid1(VALU_DEP_1)
	v_and_b32_e32 v5, 0x7fffffff, v5
	v_cmp_ne_u32_e32 vcc_lo, 0, v5
	s_and_b32 s1, vcc_lo, exec_lo
	s_delay_alu instid0(SALU_CYCLE_1)
	s_or_b32 s11, s0, s1
.LBB118_1698:
	s_mov_b32 s0, 0
.LBB118_1699:
	s_delay_alu instid0(SALU_CYCLE_1)
	s_and_not1_b32 vcc_lo, exec_lo, s0
	s_cbranch_vccnz .LBB118_1701
; %bb.1700:
	global_load_b32 v5, v[2:3], off
	s_and_not1_b32 s0, s11, exec_lo
	s_waitcnt vmcnt(0)
	v_and_b32_e32 v5, 0x7fff7fff, v5
	s_delay_alu instid0(VALU_DEP_1) | instskip(SKIP_1) | instid1(SALU_CYCLE_1)
	v_cmp_ne_u32_e32 vcc_lo, 0, v5
	s_and_b32 s1, vcc_lo, exec_lo
	s_or_b32 s11, s0, s1
.LBB118_1701:
	s_mov_b32 s0, 0
.LBB118_1702:
	s_delay_alu instid0(SALU_CYCLE_1)
	s_and_not1_b32 vcc_lo, exec_lo, s0
	s_cbranch_vccnz .LBB118_1713
; %bb.1703:
	v_cmp_gt_i16_e32 vcc_lo, 6, v11
	s_cbranch_vccnz .LBB118_1706
; %bb.1704:
	v_cmp_lt_i16_e32 vcc_lo, 6, v11
	s_cbranch_vccz .LBB118_1707
; %bb.1705:
	global_load_b64 v[7:8], v[2:3], off
	s_mov_b32 s0, 0
	s_waitcnt vmcnt(0)
	v_cmp_neq_f64_e32 vcc_lo, 0, v[7:8]
	s_and_b32 s11, vcc_lo, exec_lo
	s_branch .LBB118_1708
.LBB118_1706:
	s_mov_b32 s0, -1
                                        ; implicit-def: $sgpr11
	s_branch .LBB118_1711
.LBB118_1707:
	s_mov_b32 s0, -1
                                        ; implicit-def: $sgpr11
.LBB118_1708:
	s_delay_alu instid0(SALU_CYCLE_1)
	s_and_not1_b32 vcc_lo, exec_lo, s0
	s_cbranch_vccnz .LBB118_1710
; %bb.1709:
	global_load_b32 v5, v[2:3], off
	s_and_not1_b32 s0, s11, exec_lo
	s_waitcnt vmcnt(0)
	v_cmp_neq_f32_e32 vcc_lo, 0, v5
	s_and_b32 s1, vcc_lo, exec_lo
	s_delay_alu instid0(SALU_CYCLE_1)
	s_or_b32 s11, s0, s1
.LBB118_1710:
	s_mov_b32 s0, 0
.LBB118_1711:
	s_delay_alu instid0(SALU_CYCLE_1)
	s_and_not1_b32 vcc_lo, exec_lo, s0
	s_cbranch_vccnz .LBB118_1713
; %bb.1712:
	global_load_u16 v5, v[2:3], off
	s_and_not1_b32 s0, s11, exec_lo
	s_waitcnt vmcnt(0)
	v_and_b32_e32 v5, 0x7fff, v5
	s_delay_alu instid0(VALU_DEP_1) | instskip(SKIP_1) | instid1(SALU_CYCLE_1)
	v_cmp_ne_u16_e32 vcc_lo, 0, v5
	s_and_b32 s1, vcc_lo, exec_lo
	s_or_b32 s11, s0, s1
.LBB118_1713:
	s_cbranch_execnz .LBB118_1733
.LBB118_1714:
	v_cmp_gt_i16_e32 vcc_lo, 2, v11
	s_cbranch_vccnz .LBB118_1718
; %bb.1715:
	v_cmp_gt_i16_e32 vcc_lo, 3, v11
	s_cbranch_vccnz .LBB118_1719
; %bb.1716:
	v_cmp_lt_i16_e32 vcc_lo, 3, v11
	s_cbranch_vccz .LBB118_1720
; %bb.1717:
	global_load_b64 v[7:8], v[2:3], off
	s_mov_b32 s0, 0
	s_waitcnt vmcnt(0)
	v_cmp_ne_u64_e32 vcc_lo, 0, v[7:8]
	s_and_b32 s11, vcc_lo, exec_lo
	s_branch .LBB118_1721
.LBB118_1718:
	s_mov_b32 s0, -1
                                        ; implicit-def: $sgpr11
	s_branch .LBB118_1727
.LBB118_1719:
	s_mov_b32 s0, -1
                                        ; implicit-def: $sgpr11
	s_branch .LBB118_1724
.LBB118_1720:
	s_mov_b32 s0, -1
                                        ; implicit-def: $sgpr11
.LBB118_1721:
	s_delay_alu instid0(SALU_CYCLE_1)
	s_and_not1_b32 vcc_lo, exec_lo, s0
	s_cbranch_vccnz .LBB118_1723
; %bb.1722:
	global_load_b32 v5, v[2:3], off
	s_and_not1_b32 s0, s11, exec_lo
	s_waitcnt vmcnt(0)
	v_cmp_ne_u32_e32 vcc_lo, 0, v5
	s_and_b32 s1, vcc_lo, exec_lo
	s_delay_alu instid0(SALU_CYCLE_1)
	s_or_b32 s11, s0, s1
.LBB118_1723:
	s_mov_b32 s0, 0
.LBB118_1724:
	s_delay_alu instid0(SALU_CYCLE_1)
	s_and_not1_b32 vcc_lo, exec_lo, s0
	s_cbranch_vccnz .LBB118_1726
; %bb.1725:
	global_load_u16 v5, v[2:3], off
	s_and_not1_b32 s0, s11, exec_lo
	s_waitcnt vmcnt(0)
	v_cmp_ne_u16_e32 vcc_lo, 0, v5
	s_and_b32 s1, vcc_lo, exec_lo
	s_delay_alu instid0(SALU_CYCLE_1)
	s_or_b32 s11, s0, s1
.LBB118_1726:
	s_mov_b32 s0, 0
.LBB118_1727:
	s_delay_alu instid0(SALU_CYCLE_1)
	s_and_not1_b32 vcc_lo, exec_lo, s0
	s_cbranch_vccnz .LBB118_1733
; %bb.1728:
	v_cmp_lt_i16_e32 vcc_lo, 0, v11
	s_mov_b32 s0, 0
	s_cbranch_vccz .LBB118_1730
; %bb.1729:
	global_load_u8 v5, v[2:3], off
	s_waitcnt vmcnt(0)
	v_cmp_ne_u16_e32 vcc_lo, 0, v5
	s_and_b32 s11, vcc_lo, exec_lo
	s_branch .LBB118_1731
.LBB118_1730:
	s_mov_b32 s0, -1
                                        ; implicit-def: $sgpr11
.LBB118_1731:
	s_delay_alu instid0(SALU_CYCLE_1)
	s_and_not1_b32 vcc_lo, exec_lo, s0
	s_cbranch_vccnz .LBB118_1733
; %bb.1732:
	global_load_u8 v2, v[2:3], off
	s_and_not1_b32 s0, s11, exec_lo
	s_waitcnt vmcnt(0)
	v_cmp_ne_u16_e32 vcc_lo, 0, v2
	s_and_b32 s1, vcc_lo, exec_lo
	s_delay_alu instid0(SALU_CYCLE_1)
	s_or_b32 s11, s0, s1
.LBB118_1733:
	s_branch .LBB118_1802
.LBB118_1734:
	s_trap 2
	s_sendmsg_rtn_b32 s0, sendmsg(MSG_RTN_GET_DOORBELL)
	s_mov_b32 ttmp2, m0
	s_waitcnt lgkmcnt(0)
	s_and_b32 s0, s0, 0x3ff
	s_delay_alu instid0(SALU_CYCLE_1) | instskip(NEXT) | instid1(SALU_CYCLE_1)
	s_bitset1_b32 s0, 10
	s_mov_b32 m0, s0
	s_sendmsg sendmsg(MSG_INTERRUPT)
	s_mov_b32 m0, ttmp2
.LBB118_1735:                           ; =>This Inner Loop Header: Depth=1
	s_sethalt 5
	s_branch .LBB118_1735
.LBB118_1736:
	s_mov_b32 s1, -1
	s_mov_b32 s16, 0
.LBB118_1737:
                                        ; implicit-def: $sgpr11
.LBB118_1738:
	s_and_b32 vcc_lo, exec_lo, s19
	s_cbranch_vccz .LBB118_1740
; %bb.1739:
	v_cmp_ne_u16_e64 s1, 44, v11
	s_mov_b32 s16, -1
	s_or_b32 s11, s11, exec_lo
.LBB118_1740:
	s_mov_b32 s19, 0
.LBB118_1741:
	s_delay_alu instid0(SALU_CYCLE_1)
	s_and_b32 vcc_lo, exec_lo, s19
	s_cbranch_vccz .LBB118_1745
; %bb.1742:
	v_cmp_eq_u16_e32 vcc_lo, 29, v11
	s_cbranch_vccz .LBB118_1744
; %bb.1743:
	global_load_b64 v[7:8], v[2:3], off
	s_mov_b32 s1, 0
	s_mov_b32 s16, -1
	s_mov_b32 s19, 0
	s_waitcnt vmcnt(0)
	v_cmp_ne_u64_e32 vcc_lo, 0, v[7:8]
	s_and_b32 s11, vcc_lo, exec_lo
	s_branch .LBB118_1746
.LBB118_1744:
	s_mov_b32 s1, -1
                                        ; implicit-def: $sgpr11
.LBB118_1745:
	s_mov_b32 s19, 0
.LBB118_1746:
	s_delay_alu instid0(SALU_CYCLE_1)
	s_and_b32 vcc_lo, exec_lo, s19
	s_cbranch_vccz .LBB118_1764
; %bb.1747:
	v_cmp_gt_i16_e32 vcc_lo, 27, v11
	s_cbranch_vccnz .LBB118_1750
; %bb.1748:
	v_cmp_lt_i16_e32 vcc_lo, 27, v11
	s_cbranch_vccz .LBB118_1751
; %bb.1749:
	global_load_b32 v5, v[2:3], off
	s_mov_b32 s16, 0
	s_waitcnt vmcnt(0)
	v_cmp_ne_u32_e32 vcc_lo, 0, v5
	s_and_b32 s11, vcc_lo, exec_lo
	s_branch .LBB118_1752
.LBB118_1750:
	s_mov_b32 s16, -1
                                        ; implicit-def: $sgpr11
	s_branch .LBB118_1755
.LBB118_1751:
	s_mov_b32 s16, -1
                                        ; implicit-def: $sgpr11
.LBB118_1752:
	s_delay_alu instid0(SALU_CYCLE_1)
	s_and_not1_b32 vcc_lo, exec_lo, s16
	s_cbranch_vccnz .LBB118_1754
; %bb.1753:
	global_load_u16 v5, v[2:3], off
	s_and_not1_b32 s11, s11, exec_lo
	s_waitcnt vmcnt(0)
	v_cmp_ne_u16_e32 vcc_lo, 0, v5
	s_and_b32 s16, vcc_lo, exec_lo
	s_delay_alu instid0(SALU_CYCLE_1)
	s_or_b32 s11, s11, s16
.LBB118_1754:
	s_mov_b32 s16, 0
.LBB118_1755:
	s_delay_alu instid0(SALU_CYCLE_1)
	s_and_not1_b32 vcc_lo, exec_lo, s16
	s_cbranch_vccnz .LBB118_1763
; %bb.1756:
	global_load_u8 v5, v[2:3], off
	s_mov_b32 s16, 0
	s_mov_b32 s19, exec_lo
                                        ; implicit-def: $sgpr11
	s_waitcnt vmcnt(0)
	v_cmpx_lt_i16_e32 0x7f, v5
	s_xor_b32 s19, exec_lo, s19
	s_cbranch_execz .LBB118_1776
; %bb.1757:
	s_mov_b32 s16, -1
	s_mov_b32 s20, exec_lo
                                        ; implicit-def: $sgpr11
	v_cmpx_eq_u16_e32 0x80, v5
; %bb.1758:
	s_mov_b32 s11, -1
	s_xor_b32 s16, exec_lo, -1
; %bb.1759:
	s_or_b32 exec_lo, exec_lo, s20
	s_delay_alu instid0(SALU_CYCLE_1)
	s_and_b32 s16, s16, exec_lo
	s_and_not1_saveexec_b32 s19, s19
	s_cbranch_execnz .LBB118_1777
.LBB118_1760:
	s_or_b32 exec_lo, exec_lo, s19
	s_and_saveexec_b32 s19, s16
	s_cbranch_execz .LBB118_1762
.LBB118_1761:
	v_and_b32_e32 v5, 0xffff, v5
	s_and_not1_b32 s11, s11, exec_lo
	s_delay_alu instid0(VALU_DEP_1) | instskip(NEXT) | instid1(VALU_DEP_1)
	v_and_b32_e32 v7, 7, v5
	v_clz_i32_u32_e32 v8, v7
	s_delay_alu instid0(VALU_DEP_1) | instskip(NEXT) | instid1(VALU_DEP_1)
	v_min_u32_e32 v8, 32, v8
	v_subrev_nc_u32_e32 v9, 28, v8
	v_sub_nc_u32_e32 v8, 29, v8
	s_delay_alu instid0(VALU_DEP_2) | instskip(SKIP_1) | instid1(VALU_DEP_2)
	v_lshlrev_b32_e32 v9, v9, v5
	v_bfe_u32 v5, v5, 3, 4
	v_and_b32_e32 v9, 7, v9
	s_delay_alu instid0(VALU_DEP_2) | instskip(SKIP_1) | instid1(VALU_DEP_3)
	v_cmp_eq_u32_e32 vcc_lo, 0, v5
	v_cndmask_b32_e32 v5, v5, v8, vcc_lo
	v_cndmask_b32_e32 v7, v7, v9, vcc_lo
	s_delay_alu instid0(VALU_DEP_2) | instskip(NEXT) | instid1(VALU_DEP_2)
	v_lshl_add_u32 v5, v5, 23, 0x3b800000
	v_lshlrev_b32_e32 v7, 20, v7
	s_delay_alu instid0(VALU_DEP_1) | instskip(NEXT) | instid1(VALU_DEP_1)
	v_and_or_b32 v5, 0x7f800000, v5, v7
	v_cmp_ne_u32_e32 vcc_lo, 0, v5
	s_and_b32 s16, vcc_lo, exec_lo
	s_delay_alu instid0(SALU_CYCLE_1)
	s_or_b32 s11, s11, s16
.LBB118_1762:
	s_or_b32 exec_lo, exec_lo, s19
.LBB118_1763:
	s_mov_b32 s16, -1
.LBB118_1764:
	s_branch .LBB118_1797
.LBB118_1765:
	v_cmp_lt_i16_e32 vcc_lo, 22, v11
	s_cbranch_vccz .LBB118_1775
; %bb.1766:
	v_cmp_gt_i16_e32 vcc_lo, 24, v11
	s_cbranch_vccnz .LBB118_1778
; %bb.1767:
	v_cmp_lt_i16_e32 vcc_lo, 24, v11
	s_cbranch_vccz .LBB118_1779
; %bb.1768:
	global_load_u8 v5, v[2:3], off
	s_mov_b32 s16, exec_lo
                                        ; implicit-def: $sgpr11
	s_waitcnt vmcnt(0)
	v_cmpx_lt_i16_e32 0x7f, v5
	s_xor_b32 s16, exec_lo, s16
	s_cbranch_execz .LBB118_1791
; %bb.1769:
	s_mov_b32 s0, -1
	s_mov_b32 s19, exec_lo
                                        ; implicit-def: $sgpr11
	v_cmpx_eq_u16_e32 0x80, v5
; %bb.1770:
	s_mov_b32 s11, -1
	s_xor_b32 s0, exec_lo, -1
; %bb.1771:
	s_or_b32 exec_lo, exec_lo, s19
	s_delay_alu instid0(SALU_CYCLE_1)
	s_and_b32 s0, s0, exec_lo
	s_and_not1_saveexec_b32 s16, s16
	s_cbranch_execnz .LBB118_1792
.LBB118_1772:
	s_or_b32 exec_lo, exec_lo, s16
	s_and_saveexec_b32 s16, s0
	s_cbranch_execz .LBB118_1774
.LBB118_1773:
	v_and_b32_e32 v5, 0xffff, v5
	s_and_not1_b32 s0, s11, exec_lo
	s_delay_alu instid0(VALU_DEP_1) | instskip(NEXT) | instid1(VALU_DEP_1)
	v_and_b32_e32 v7, 3, v5
	v_clz_i32_u32_e32 v8, v7
	s_delay_alu instid0(VALU_DEP_1) | instskip(NEXT) | instid1(VALU_DEP_1)
	v_min_u32_e32 v8, 32, v8
	v_subrev_nc_u32_e32 v9, 29, v8
	v_sub_nc_u32_e32 v8, 30, v8
	s_delay_alu instid0(VALU_DEP_2) | instskip(SKIP_1) | instid1(VALU_DEP_2)
	v_lshlrev_b32_e32 v9, v9, v5
	v_bfe_u32 v5, v5, 2, 5
	v_and_b32_e32 v9, 3, v9
	s_delay_alu instid0(VALU_DEP_2) | instskip(SKIP_1) | instid1(VALU_DEP_3)
	v_cmp_eq_u32_e32 vcc_lo, 0, v5
	v_cndmask_b32_e32 v5, v5, v8, vcc_lo
	v_cndmask_b32_e32 v7, v7, v9, vcc_lo
	s_delay_alu instid0(VALU_DEP_2) | instskip(NEXT) | instid1(VALU_DEP_2)
	v_lshl_add_u32 v5, v5, 23, 0x37800000
	v_lshlrev_b32_e32 v7, 21, v7
	s_delay_alu instid0(VALU_DEP_1) | instskip(NEXT) | instid1(VALU_DEP_1)
	v_and_or_b32 v5, 0x7f800000, v5, v7
	v_cmp_ne_u32_e32 vcc_lo, 0, v5
	s_and_b32 s11, vcc_lo, exec_lo
	s_delay_alu instid0(SALU_CYCLE_1)
	s_or_b32 s11, s0, s11
.LBB118_1774:
	s_or_b32 exec_lo, exec_lo, s16
	s_mov_b32 s0, 0
	s_branch .LBB118_1780
.LBB118_1775:
	s_mov_b32 s0, -1
                                        ; implicit-def: $sgpr11
	s_branch .LBB118_1786
.LBB118_1776:
	s_and_not1_saveexec_b32 s19, s19
	s_cbranch_execz .LBB118_1760
.LBB118_1777:
	v_cmp_ne_u16_e32 vcc_lo, 0, v5
	s_and_not1_b32 s16, s16, exec_lo
	s_and_not1_b32 s11, s11, exec_lo
	s_and_b32 s20, vcc_lo, exec_lo
	s_delay_alu instid0(SALU_CYCLE_1)
	s_or_b32 s16, s16, s20
	s_or_b32 exec_lo, exec_lo, s19
	s_and_saveexec_b32 s19, s16
	s_cbranch_execnz .LBB118_1761
	s_branch .LBB118_1762
.LBB118_1778:
	s_mov_b32 s0, -1
                                        ; implicit-def: $sgpr11
	s_branch .LBB118_1783
.LBB118_1779:
	s_mov_b32 s0, -1
                                        ; implicit-def: $sgpr11
.LBB118_1780:
	s_delay_alu instid0(SALU_CYCLE_1)
	s_and_b32 vcc_lo, exec_lo, s0
	s_cbranch_vccz .LBB118_1782
; %bb.1781:
	global_load_u8 v5, v[2:3], off
	s_and_not1_b32 s11, s11, exec_lo
	s_waitcnt vmcnt(0)
	v_lshlrev_b32_e32 v5, 24, v5
	s_delay_alu instid0(VALU_DEP_1) | instskip(NEXT) | instid1(VALU_DEP_1)
	v_and_b32_e32 v5, 0x7f000000, v5
	v_clz_i32_u32_e32 v7, v5
	v_add_nc_u32_e32 v9, 0x1000000, v5
	v_cmp_ne_u32_e32 vcc_lo, 0, v5
	s_delay_alu instid0(VALU_DEP_3) | instskip(NEXT) | instid1(VALU_DEP_3)
	v_min_u32_e32 v7, 32, v7
	v_ashrrev_i32_e32 v9, 8, v9
	s_delay_alu instid0(VALU_DEP_2) | instskip(NEXT) | instid1(VALU_DEP_1)
	v_sub_nc_u32_e64 v7, v7, 4 clamp
	v_lshlrev_b32_e32 v8, v7, v5
	v_lshlrev_b32_e32 v7, 23, v7
	s_delay_alu instid0(VALU_DEP_2) | instskip(NEXT) | instid1(VALU_DEP_1)
	v_lshrrev_b32_e32 v8, 4, v8
	v_sub_nc_u32_e32 v7, v8, v7
	v_and_b32_e32 v8, 0x7f800000, v9
	s_delay_alu instid0(VALU_DEP_2) | instskip(NEXT) | instid1(VALU_DEP_1)
	v_add_nc_u32_e32 v7, 0x3c000000, v7
	v_and_or_b32 v7, 0x7ff00000, v7, v8
	s_delay_alu instid0(VALU_DEP_1) | instskip(NEXT) | instid1(VALU_DEP_1)
	v_cmp_ne_u32_e64 s0, 0, v7
	s_and_b32 s0, vcc_lo, s0
	s_delay_alu instid0(SALU_CYCLE_1) | instskip(NEXT) | instid1(SALU_CYCLE_1)
	s_and_b32 s0, s0, exec_lo
	s_or_b32 s11, s11, s0
.LBB118_1782:
	s_mov_b32 s0, 0
.LBB118_1783:
	s_delay_alu instid0(SALU_CYCLE_1)
	s_and_not1_b32 vcc_lo, exec_lo, s0
	s_cbranch_vccnz .LBB118_1785
; %bb.1784:
	global_load_u8 v5, v[2:3], off
	s_and_not1_b32 s0, s11, exec_lo
	s_waitcnt vmcnt(0)
	v_lshlrev_b32_e32 v7, 25, v5
	v_lshlrev_b32_e32 v5, 8, v5
	s_delay_alu instid0(VALU_DEP_2) | instskip(NEXT) | instid1(VALU_DEP_2)
	v_lshrrev_b32_e32 v8, 4, v7
	v_and_or_b32 v5, 0x7f00, v5, 0.5
	s_delay_alu instid0(VALU_DEP_2) | instskip(NEXT) | instid1(VALU_DEP_1)
	v_or_b32_e32 v8, 0x70000000, v8
	v_dual_add_f32 v5, -0.5, v5 :: v_dual_mul_f32 v8, 0x7800000, v8
	v_cmp_gt_u32_e32 vcc_lo, 0x8000000, v7
	s_delay_alu instid0(VALU_DEP_2) | instskip(NEXT) | instid1(VALU_DEP_1)
	v_cndmask_b32_e32 v5, v8, v5, vcc_lo
	v_cmp_neq_f32_e32 vcc_lo, 0, v5
	s_and_b32 s11, vcc_lo, exec_lo
	s_delay_alu instid0(SALU_CYCLE_1)
	s_or_b32 s11, s0, s11
.LBB118_1785:
	s_mov_b32 s0, 0
	s_mov_b32 s16, -1
.LBB118_1786:
	s_and_not1_b32 vcc_lo, exec_lo, s0
	s_mov_b32 s0, 0
	s_cbranch_vccnz .LBB118_1797
; %bb.1787:
	v_cmp_lt_i16_e32 vcc_lo, 14, v11
	s_cbranch_vccz .LBB118_1790
; %bb.1788:
	v_cmp_eq_u16_e32 vcc_lo, 15, v11
	s_cbranch_vccz .LBB118_1793
; %bb.1789:
	global_load_u16 v5, v[2:3], off
	s_mov_b32 s1, 0
	s_mov_b32 s16, -1
	s_waitcnt vmcnt(0)
	v_and_b32_e32 v5, 0x7fff, v5
	s_delay_alu instid0(VALU_DEP_1)
	v_cmp_ne_u16_e32 vcc_lo, 0, v5
	s_and_b32 s11, vcc_lo, exec_lo
	s_branch .LBB118_1795
.LBB118_1790:
	s_mov_b32 s0, -1
	s_branch .LBB118_1794
.LBB118_1791:
	s_and_not1_saveexec_b32 s16, s16
	s_cbranch_execz .LBB118_1772
.LBB118_1792:
	v_cmp_ne_u16_e32 vcc_lo, 0, v5
	s_and_not1_b32 s0, s0, exec_lo
	s_and_not1_b32 s11, s11, exec_lo
	s_and_b32 s19, vcc_lo, exec_lo
	s_delay_alu instid0(SALU_CYCLE_1)
	s_or_b32 s0, s0, s19
	s_or_b32 exec_lo, exec_lo, s16
	s_and_saveexec_b32 s16, s0
	s_cbranch_execnz .LBB118_1773
	s_branch .LBB118_1774
.LBB118_1793:
	s_mov_b32 s1, -1
.LBB118_1794:
                                        ; implicit-def: $sgpr11
.LBB118_1795:
	s_and_b32 vcc_lo, exec_lo, s0
	s_mov_b32 s0, 0
	s_cbranch_vccz .LBB118_1797
; %bb.1796:
	v_cmp_ne_u16_e64 s1, 11, v11
	s_mov_b32 s0, -1
	s_and_not1_b32 s11, s11, exec_lo
.LBB118_1797:
	s_delay_alu instid0(VALU_DEP_1)
	s_and_b32 vcc_lo, exec_lo, s1
	s_cbranch_vccnz .LBB118_1821
; %bb.1798:
	s_and_not1_b32 vcc_lo, exec_lo, s0
	s_cbranch_vccnz .LBB118_1800
.LBB118_1799:
	global_load_u8 v5, v[2:3], off
	s_and_not1_b32 s0, s11, exec_lo
	s_mov_b32 s16, -1
	s_waitcnt vmcnt(0)
	v_cmp_ne_u16_e32 vcc_lo, 0, v5
	s_and_b32 s1, vcc_lo, exec_lo
	s_delay_alu instid0(SALU_CYCLE_1)
	s_or_b32 s11, s0, s1
.LBB118_1800:
.LBB118_1801:
	s_and_not1_b32 vcc_lo, exec_lo, s16
	s_cbranch_vccnz .LBB118_3036
.LBB118_1802:
	s_lshl_b32 s16, s9, 7
	v_cmp_gt_i16_e32 vcc_lo, 11, v12
	v_add_nc_u32_e32 v7, s16, v4
	s_delay_alu instid0(VALU_DEP_1) | instskip(SKIP_1) | instid1(VALU_DEP_1)
	v_ashrrev_i32_e32 v3, 31, v7
	v_add_co_u32 v2, s0, s6, v7
	v_add_co_ci_u32_e64 v3, s0, s7, v3, s0
	s_cbranch_vccnz .LBB118_1809
; %bb.1803:
	v_cmp_lt_i16_e32 vcc_lo, 25, v12
	s_mov_b32 s19, 0
	s_cbranch_vccz .LBB118_1815
; %bb.1804:
	v_cmp_lt_i16_e32 vcc_lo, 28, v12
	s_cbranch_vccz .LBB118_1817
; %bb.1805:
	v_cmp_lt_i16_e32 vcc_lo, 43, v12
	s_cbranch_vccz .LBB118_1819
; %bb.1806:
	v_cmp_lt_i16_e32 vcc_lo, 45, v12
	s_cbranch_vccz .LBB118_1825
; %bb.1807:
	v_cmp_eq_u16_e32 vcc_lo, 46, v12
	s_mov_b32 s1, 0
	s_cbranch_vccz .LBB118_1868
; %bb.1808:
	global_load_b32 v4, v[2:3], off
	s_mov_b32 s9, 0
	s_mov_b32 s0, -1
	s_waitcnt vmcnt(0)
	v_lshlrev_b32_e32 v4, 16, v4
	s_delay_alu instid0(VALU_DEP_1)
	v_cvt_f64_f32_e32 v[4:5], v4
	s_branch .LBB118_1870
.LBB118_1809:
	s_mov_b32 s0, 0
                                        ; implicit-def: $vgpr4_vgpr5
	s_cbranch_execz .LBB118_1936
; %bb.1810:
	v_cmp_gt_i16_e32 vcc_lo, 5, v12
	s_cbranch_vccnz .LBB118_1816
; %bb.1811:
	v_cmp_gt_i16_e32 vcc_lo, 8, v12
	s_cbranch_vccnz .LBB118_1818
	;; [unrolled: 3-line block ×3, first 2 shown]
; %bb.1813:
	v_cmp_lt_i16_e32 vcc_lo, 9, v12
	s_cbranch_vccz .LBB118_1826
; %bb.1814:
	global_load_b64 v[4:5], v[2:3], off
	s_mov_b32 s0, 0
	s_branch .LBB118_1827
.LBB118_1815:
	s_mov_b32 s1, -1
	s_mov_b32 s0, 0
	s_mov_b32 s9, 0
                                        ; implicit-def: $vgpr4_vgpr5
	s_branch .LBB118_1901
.LBB118_1816:
	s_mov_b32 s0, -1
                                        ; implicit-def: $vgpr4_vgpr5
	s_branch .LBB118_1845
.LBB118_1817:
	s_mov_b32 s1, -1
	s_mov_b32 s0, 0
	s_mov_b32 s9, 0
                                        ; implicit-def: $vgpr4_vgpr5
	s_branch .LBB118_1880
.LBB118_1818:
	s_mov_b32 s0, -1
                                        ; implicit-def: $vgpr4_vgpr5
	s_branch .LBB118_1833
.LBB118_1819:
	s_mov_b32 s1, -1
	s_mov_b32 s0, 0
	s_mov_b32 s9, 0
                                        ; implicit-def: $vgpr4_vgpr5
	s_branch .LBB118_1875
.LBB118_1820:
	s_mov_b32 s0, -1
                                        ; implicit-def: $vgpr4_vgpr5
	s_branch .LBB118_1830
.LBB118_1821:
	s_cbranch_execnz .LBB118_1866
; %bb.1822:
	s_mov_b32 s16, 0
	s_and_not1_b32 s11, s11, exec_lo
	s_or_b32 s15, s15, exec_lo
	s_cbranch_execz .LBB118_1799
	s_branch .LBB118_1800
.LBB118_1823:
	s_or_saveexec_b32 s23, s23
                                        ; implicit-def: $sgpr24
	s_delay_alu instid0(SALU_CYCLE_1)
	s_xor_b32 exec_lo, exec_lo, s23
	s_cbranch_execz .LBB118_1466
.LBB118_1824:
	v_add_f32_e64 v3, 0x42800000, |v2|
	s_and_not1_b32 s22, s22, exec_lo
	s_mov_b32 s24, 0
	s_delay_alu instid0(VALU_DEP_1) | instskip(NEXT) | instid1(VALU_DEP_1)
	v_and_b32_e32 v3, 0xff, v3
	v_cmp_ne_u32_e32 vcc_lo, 0, v3
	s_and_b32 s25, vcc_lo, exec_lo
	s_delay_alu instid0(SALU_CYCLE_1)
	s_or_b32 s22, s22, s25
	s_or_b32 exec_lo, exec_lo, s23
	v_mov_b32_e32 v7, s24
	s_and_saveexec_b32 s23, s22
	s_cbranch_execnz .LBB118_1467
	s_branch .LBB118_1468
.LBB118_1825:
	s_mov_b32 s1, -1
	s_mov_b32 s0, 0
	s_mov_b32 s9, 0
	s_branch .LBB118_1869
.LBB118_1826:
	s_mov_b32 s0, -1
                                        ; implicit-def: $vgpr4_vgpr5
.LBB118_1827:
	s_delay_alu instid0(SALU_CYCLE_1)
	s_and_not1_b32 vcc_lo, exec_lo, s0
	s_cbranch_vccnz .LBB118_1829
; %bb.1828:
	global_load_b32 v4, v[2:3], off
	s_waitcnt vmcnt(0)
	v_cvt_f64_f32_e32 v[4:5], v4
.LBB118_1829:
	s_mov_b32 s0, 0
.LBB118_1830:
	s_delay_alu instid0(SALU_CYCLE_1)
	s_and_not1_b32 vcc_lo, exec_lo, s0
	s_cbranch_vccnz .LBB118_1832
; %bb.1831:
	global_load_b32 v4, v[2:3], off
	s_waitcnt vmcnt(0)
	v_cvt_f32_f16_e32 v4, v4
	s_delay_alu instid0(VALU_DEP_1)
	v_cvt_f64_f32_e32 v[4:5], v4
.LBB118_1832:
	s_mov_b32 s0, 0
.LBB118_1833:
	s_delay_alu instid0(SALU_CYCLE_1)
	s_and_not1_b32 vcc_lo, exec_lo, s0
	s_cbranch_vccnz .LBB118_1844
; %bb.1834:
	v_cmp_gt_i16_e32 vcc_lo, 6, v12
	s_cbranch_vccnz .LBB118_1837
; %bb.1835:
	v_cmp_lt_i16_e32 vcc_lo, 6, v12
	s_cbranch_vccz .LBB118_1838
; %bb.1836:
	global_load_b64 v[4:5], v[2:3], off
	s_mov_b32 s0, 0
	s_branch .LBB118_1839
.LBB118_1837:
	s_mov_b32 s0, -1
                                        ; implicit-def: $vgpr4_vgpr5
	s_branch .LBB118_1842
.LBB118_1838:
	s_mov_b32 s0, -1
                                        ; implicit-def: $vgpr4_vgpr5
.LBB118_1839:
	s_delay_alu instid0(SALU_CYCLE_1)
	s_and_not1_b32 vcc_lo, exec_lo, s0
	s_cbranch_vccnz .LBB118_1841
; %bb.1840:
	global_load_b32 v4, v[2:3], off
	s_waitcnt vmcnt(0)
	v_cvt_f64_f32_e32 v[4:5], v4
.LBB118_1841:
	s_mov_b32 s0, 0
.LBB118_1842:
	s_delay_alu instid0(SALU_CYCLE_1)
	s_and_not1_b32 vcc_lo, exec_lo, s0
	s_cbranch_vccnz .LBB118_1844
; %bb.1843:
	global_load_u16 v4, v[2:3], off
	s_waitcnt vmcnt(0)
	v_cvt_f32_f16_e32 v4, v4
	s_delay_alu instid0(VALU_DEP_1)
	v_cvt_f64_f32_e32 v[4:5], v4
.LBB118_1844:
	s_mov_b32 s0, 0
.LBB118_1845:
	s_delay_alu instid0(SALU_CYCLE_1)
	s_and_not1_b32 vcc_lo, exec_lo, s0
	s_cbranch_vccnz .LBB118_1865
; %bb.1846:
	v_cmp_gt_i16_e32 vcc_lo, 2, v12
	s_cbranch_vccnz .LBB118_1850
; %bb.1847:
	v_cmp_gt_i16_e32 vcc_lo, 3, v12
	s_cbranch_vccnz .LBB118_1851
; %bb.1848:
	v_cmp_lt_i16_e32 vcc_lo, 3, v12
	s_cbranch_vccz .LBB118_1852
; %bb.1849:
	global_load_b64 v[4:5], v[2:3], off
	s_mov_b32 s0, 0
	s_waitcnt vmcnt(0)
	v_cvt_f64_i32_e32 v[8:9], v5
	v_cvt_f64_u32_e32 v[4:5], v4
	s_delay_alu instid0(VALU_DEP_2) | instskip(NEXT) | instid1(VALU_DEP_1)
	v_ldexp_f64 v[8:9], v[8:9], 32
	v_add_f64 v[4:5], v[8:9], v[4:5]
	s_branch .LBB118_1853
.LBB118_1850:
	s_mov_b32 s0, -1
                                        ; implicit-def: $vgpr4_vgpr5
	s_branch .LBB118_1859
.LBB118_1851:
	s_mov_b32 s0, -1
                                        ; implicit-def: $vgpr4_vgpr5
	s_branch .LBB118_1856
.LBB118_1852:
	s_mov_b32 s0, -1
                                        ; implicit-def: $vgpr4_vgpr5
.LBB118_1853:
	s_delay_alu instid0(SALU_CYCLE_1)
	s_and_not1_b32 vcc_lo, exec_lo, s0
	s_cbranch_vccnz .LBB118_1855
; %bb.1854:
	global_load_b32 v4, v[2:3], off
	s_waitcnt vmcnt(0)
	v_cvt_f64_i32_e32 v[4:5], v4
.LBB118_1855:
	s_mov_b32 s0, 0
.LBB118_1856:
	s_delay_alu instid0(SALU_CYCLE_1)
	s_and_not1_b32 vcc_lo, exec_lo, s0
	s_cbranch_vccnz .LBB118_1858
; %bb.1857:
	global_load_i16 v4, v[2:3], off
	s_waitcnt vmcnt(0)
	v_cvt_f64_i32_e32 v[4:5], v4
.LBB118_1858:
	s_mov_b32 s0, 0
.LBB118_1859:
	s_delay_alu instid0(SALU_CYCLE_1)
	s_and_not1_b32 vcc_lo, exec_lo, s0
	s_cbranch_vccnz .LBB118_1865
; %bb.1860:
	v_cmp_lt_i16_e32 vcc_lo, 0, v12
	s_mov_b32 s0, 0
	s_cbranch_vccz .LBB118_1862
; %bb.1861:
	global_load_i8 v4, v[2:3], off
	s_waitcnt vmcnt(0)
	v_cvt_f64_i32_e32 v[4:5], v4
	s_branch .LBB118_1863
.LBB118_1862:
	s_mov_b32 s0, -1
                                        ; implicit-def: $vgpr4_vgpr5
.LBB118_1863:
	s_delay_alu instid0(SALU_CYCLE_1)
	s_and_not1_b32 vcc_lo, exec_lo, s0
	s_cbranch_vccnz .LBB118_1865
; %bb.1864:
	global_load_u8 v2, v[2:3], off
	s_waitcnt vmcnt(0)
	v_cvt_f64_u32_e32 v[4:5], v2
.LBB118_1865:
	s_branch .LBB118_1937
.LBB118_1866:
	s_trap 2
	s_sendmsg_rtn_b32 s0, sendmsg(MSG_RTN_GET_DOORBELL)
	s_mov_b32 ttmp2, m0
	s_waitcnt lgkmcnt(0)
	s_and_b32 s0, s0, 0x3ff
	s_delay_alu instid0(SALU_CYCLE_1) | instskip(NEXT) | instid1(SALU_CYCLE_1)
	s_bitset1_b32 s0, 10
	s_mov_b32 m0, s0
	s_sendmsg sendmsg(MSG_INTERRUPT)
	s_mov_b32 m0, ttmp2
.LBB118_1867:                           ; =>This Inner Loop Header: Depth=1
	s_sethalt 5
	s_branch .LBB118_1867
.LBB118_1868:
	s_mov_b32 s9, -1
	s_mov_b32 s0, 0
.LBB118_1869:
                                        ; implicit-def: $vgpr4_vgpr5
.LBB118_1870:
	s_and_b32 vcc_lo, exec_lo, s1
	s_cbranch_vccz .LBB118_1874
; %bb.1871:
	v_cmp_eq_u16_e32 vcc_lo, 44, v12
	s_cbranch_vccz .LBB118_1873
; %bb.1872:
	global_load_u8 v8, v[2:3], off
	s_mov_b32 s9, 0
	s_mov_b32 s0, -1
	s_waitcnt vmcnt(0)
	v_cmp_ne_u32_e32 vcc_lo, 0xff, v8
	v_lshlrev_b32_e32 v4, 23, v8
	s_delay_alu instid0(VALU_DEP_1) | instskip(NEXT) | instid1(VALU_DEP_1)
	v_cvt_f64_f32_e32 v[4:5], v4
	v_cndmask_b32_e32 v5, 0x7ff80000, v5, vcc_lo
	s_delay_alu instid0(VALU_DEP_2) | instskip(SKIP_1) | instid1(VALU_DEP_3)
	v_cndmask_b32_e32 v4, 0x20000000, v4, vcc_lo
	v_cmp_ne_u32_e32 vcc_lo, 0, v8
	v_cndmask_b32_e32 v5, 0x38000000, v5, vcc_lo
	s_delay_alu instid0(VALU_DEP_3)
	v_cndmask_b32_e32 v4, 0, v4, vcc_lo
	s_branch .LBB118_1874
.LBB118_1873:
	s_mov_b32 s9, -1
                                        ; implicit-def: $vgpr4_vgpr5
.LBB118_1874:
	s_mov_b32 s1, 0
.LBB118_1875:
	s_delay_alu instid0(SALU_CYCLE_1)
	s_and_b32 vcc_lo, exec_lo, s1
	s_cbranch_vccz .LBB118_1879
; %bb.1876:
	v_cmp_eq_u16_e32 vcc_lo, 29, v12
	s_cbranch_vccz .LBB118_1878
; %bb.1877:
	global_load_b64 v[4:5], v[2:3], off
	s_mov_b32 s9, 0
	s_mov_b32 s0, -1
	s_mov_b32 s1, 0
	s_waitcnt vmcnt(0)
	v_cvt_f64_u32_e32 v[8:9], v5
	v_cvt_f64_u32_e32 v[4:5], v4
	s_delay_alu instid0(VALU_DEP_2) | instskip(NEXT) | instid1(VALU_DEP_1)
	v_ldexp_f64 v[8:9], v[8:9], 32
	v_add_f64 v[4:5], v[8:9], v[4:5]
	s_branch .LBB118_1880
.LBB118_1878:
	s_mov_b32 s9, -1
                                        ; implicit-def: $vgpr4_vgpr5
.LBB118_1879:
	s_mov_b32 s1, 0
.LBB118_1880:
	s_delay_alu instid0(SALU_CYCLE_1)
	s_and_b32 vcc_lo, exec_lo, s1
	s_cbranch_vccz .LBB118_1900
; %bb.1881:
	v_cmp_gt_i16_e32 vcc_lo, 27, v12
	s_cbranch_vccnz .LBB118_1884
; %bb.1882:
	v_cmp_lt_i16_e32 vcc_lo, 27, v12
	s_cbranch_vccz .LBB118_1885
; %bb.1883:
	global_load_b32 v4, v[2:3], off
	s_mov_b32 s0, 0
	s_waitcnt vmcnt(0)
	v_cvt_f64_u32_e32 v[4:5], v4
	s_branch .LBB118_1886
.LBB118_1884:
	s_mov_b32 s0, -1
                                        ; implicit-def: $vgpr4_vgpr5
	s_branch .LBB118_1889
.LBB118_1885:
	s_mov_b32 s0, -1
                                        ; implicit-def: $vgpr4_vgpr5
.LBB118_1886:
	s_delay_alu instid0(SALU_CYCLE_1)
	s_and_not1_b32 vcc_lo, exec_lo, s0
	s_cbranch_vccnz .LBB118_1888
; %bb.1887:
	global_load_u16 v4, v[2:3], off
	s_waitcnt vmcnt(0)
	v_cvt_f64_u32_e32 v[4:5], v4
.LBB118_1888:
	s_mov_b32 s0, 0
.LBB118_1889:
	s_delay_alu instid0(SALU_CYCLE_1)
	s_and_not1_b32 vcc_lo, exec_lo, s0
	s_cbranch_vccnz .LBB118_1899
; %bb.1890:
	global_load_u8 v8, v[2:3], off
	s_mov_b32 s20, 0
	s_mov_b32 s21, exec_lo
                                        ; implicit-def: $sgpr0_sgpr1
	s_waitcnt vmcnt(0)
	v_cmpx_lt_i16_e32 0x7f, v8
	s_xor_b32 s21, exec_lo, s21
	s_cbranch_execz .LBB118_1894
; %bb.1891:
	s_mov_b32 s22, -1
	s_mov_b32 s20, exec_lo
                                        ; implicit-def: $sgpr0_sgpr1
	v_cmpx_eq_u16_e32 0x80, v8
; %bb.1892:
	s_mov_b32 s1, 0x7ff80000
	s_brev_b32 s0, 4
	s_xor_b32 s22, exec_lo, -1
; %bb.1893:
	s_or_b32 exec_lo, exec_lo, s20
	s_delay_alu instid0(SALU_CYCLE_1)
	s_and_b32 s20, s22, exec_lo
.LBB118_1894:
	s_or_saveexec_b32 s21, s21
	v_dual_mov_b32 v5, s1 :: v_dual_mov_b32 v4, s0
	s_xor_b32 exec_lo, exec_lo, s21
; %bb.1895:
	v_cmp_ne_u16_e32 vcc_lo, 0, v8
	v_mov_b32_e32 v4, 0
	v_mov_b32_e32 v5, 0
	s_and_not1_b32 s0, s20, exec_lo
	s_and_b32 s1, vcc_lo, exec_lo
	s_delay_alu instid0(SALU_CYCLE_1)
	s_or_b32 s20, s0, s1
; %bb.1896:
	s_or_b32 exec_lo, exec_lo, s21
	s_and_saveexec_b32 s0, s20
	s_cbranch_execz .LBB118_1898
; %bb.1897:
	v_and_b32_e32 v4, 0xffff, v8
	v_lshlrev_b32_e32 v8, 24, v8
	s_delay_alu instid0(VALU_DEP_2) | instskip(NEXT) | instid1(VALU_DEP_2)
	v_and_b32_e32 v5, 7, v4
	v_and_b32_e32 v8, 0x80000000, v8
	s_delay_alu instid0(VALU_DEP_2) | instskip(NEXT) | instid1(VALU_DEP_1)
	v_clz_i32_u32_e32 v9, v5
	v_min_u32_e32 v9, 32, v9
	s_delay_alu instid0(VALU_DEP_1) | instskip(SKIP_1) | instid1(VALU_DEP_2)
	v_subrev_nc_u32_e32 v13, 28, v9
	v_sub_nc_u32_e32 v9, 29, v9
	v_lshlrev_b32_e32 v13, v13, v4
	v_bfe_u32 v4, v4, 3, 4
	s_delay_alu instid0(VALU_DEP_2) | instskip(NEXT) | instid1(VALU_DEP_2)
	v_and_b32_e32 v13, 7, v13
	v_cmp_eq_u32_e32 vcc_lo, 0, v4
	v_cndmask_b32_e32 v4, v4, v9, vcc_lo
	s_delay_alu instid0(VALU_DEP_3) | instskip(NEXT) | instid1(VALU_DEP_2)
	v_cndmask_b32_e32 v5, v5, v13, vcc_lo
	v_lshl_add_u32 v4, v4, 23, 0x3b800000
	s_delay_alu instid0(VALU_DEP_2) | instskip(NEXT) | instid1(VALU_DEP_1)
	v_lshlrev_b32_e32 v5, 20, v5
	v_or3_b32 v4, v8, v4, v5
	s_delay_alu instid0(VALU_DEP_1)
	v_cvt_f64_f32_e32 v[4:5], v4
.LBB118_1898:
	s_or_b32 exec_lo, exec_lo, s0
.LBB118_1899:
	s_mov_b32 s0, -1
.LBB118_1900:
	s_mov_b32 s1, 0
.LBB118_1901:
	s_delay_alu instid0(SALU_CYCLE_1)
	s_and_b32 vcc_lo, exec_lo, s1
	s_cbranch_vccz .LBB118_1932
; %bb.1902:
	v_cmp_lt_i16_e32 vcc_lo, 22, v12
	s_cbranch_vccz .LBB118_1914
; %bb.1903:
	v_cmp_gt_i16_e32 vcc_lo, 24, v12
	s_cbranch_vccnz .LBB118_1915
; %bb.1904:
	v_cmp_lt_i16_e32 vcc_lo, 24, v12
	s_cbranch_vccz .LBB118_1916
; %bb.1905:
	global_load_u8 v8, v[2:3], off
	s_mov_b32 s20, exec_lo
                                        ; implicit-def: $sgpr0_sgpr1
	s_waitcnt vmcnt(0)
	v_cmpx_lt_i16_e32 0x7f, v8
	s_xor_b32 s20, exec_lo, s20
	s_cbranch_execz .LBB118_1909
; %bb.1906:
	s_mov_b32 s21, -1
	s_mov_b32 s19, exec_lo
                                        ; implicit-def: $sgpr0_sgpr1
	v_cmpx_eq_u16_e32 0x80, v8
; %bb.1907:
	s_mov_b32 s1, 0x7ff80000
	s_brev_b32 s0, 4
	s_xor_b32 s21, exec_lo, -1
; %bb.1908:
	s_or_b32 exec_lo, exec_lo, s19
	s_delay_alu instid0(SALU_CYCLE_1)
	s_and_b32 s19, s21, exec_lo
.LBB118_1909:
	s_or_saveexec_b32 s20, s20
	v_dual_mov_b32 v5, s1 :: v_dual_mov_b32 v4, s0
	s_xor_b32 exec_lo, exec_lo, s20
; %bb.1910:
	v_cmp_ne_u16_e32 vcc_lo, 0, v8
	v_mov_b32_e32 v4, 0
	v_mov_b32_e32 v5, 0
	s_and_not1_b32 s0, s19, exec_lo
	s_and_b32 s1, vcc_lo, exec_lo
	s_delay_alu instid0(SALU_CYCLE_1)
	s_or_b32 s19, s0, s1
; %bb.1911:
	s_or_b32 exec_lo, exec_lo, s20
	s_and_saveexec_b32 s0, s19
	s_cbranch_execz .LBB118_1913
; %bb.1912:
	v_and_b32_e32 v4, 0xffff, v8
	v_lshlrev_b32_e32 v8, 24, v8
	s_delay_alu instid0(VALU_DEP_2) | instskip(NEXT) | instid1(VALU_DEP_2)
	v_and_b32_e32 v5, 3, v4
	v_and_b32_e32 v8, 0x80000000, v8
	s_delay_alu instid0(VALU_DEP_2) | instskip(NEXT) | instid1(VALU_DEP_1)
	v_clz_i32_u32_e32 v9, v5
	v_min_u32_e32 v9, 32, v9
	s_delay_alu instid0(VALU_DEP_1) | instskip(SKIP_1) | instid1(VALU_DEP_2)
	v_subrev_nc_u32_e32 v13, 29, v9
	v_sub_nc_u32_e32 v9, 30, v9
	v_lshlrev_b32_e32 v13, v13, v4
	v_bfe_u32 v4, v4, 2, 5
	s_delay_alu instid0(VALU_DEP_2) | instskip(NEXT) | instid1(VALU_DEP_2)
	v_and_b32_e32 v13, 3, v13
	v_cmp_eq_u32_e32 vcc_lo, 0, v4
	v_cndmask_b32_e32 v4, v4, v9, vcc_lo
	s_delay_alu instid0(VALU_DEP_3) | instskip(NEXT) | instid1(VALU_DEP_2)
	v_cndmask_b32_e32 v5, v5, v13, vcc_lo
	v_lshl_add_u32 v4, v4, 23, 0x37800000
	s_delay_alu instid0(VALU_DEP_2) | instskip(NEXT) | instid1(VALU_DEP_1)
	v_lshlrev_b32_e32 v5, 21, v5
	v_or3_b32 v4, v8, v4, v5
	s_delay_alu instid0(VALU_DEP_1)
	v_cvt_f64_f32_e32 v[4:5], v4
.LBB118_1913:
	s_or_b32 exec_lo, exec_lo, s0
	s_mov_b32 s0, 0
	s_branch .LBB118_1917
.LBB118_1914:
	s_mov_b32 s1, -1
                                        ; implicit-def: $vgpr4_vgpr5
	s_branch .LBB118_1923
.LBB118_1915:
	s_mov_b32 s0, -1
                                        ; implicit-def: $vgpr4_vgpr5
	s_branch .LBB118_1920
.LBB118_1916:
	s_mov_b32 s0, -1
                                        ; implicit-def: $vgpr4_vgpr5
.LBB118_1917:
	s_delay_alu instid0(SALU_CYCLE_1)
	s_and_b32 vcc_lo, exec_lo, s0
	s_cbranch_vccz .LBB118_1919
; %bb.1918:
	global_load_u8 v4, v[2:3], off
	s_waitcnt vmcnt(0)
	v_lshlrev_b32_e32 v4, 24, v4
	s_delay_alu instid0(VALU_DEP_1) | instskip(NEXT) | instid1(VALU_DEP_1)
	v_and_b32_e32 v5, 0x7f000000, v4
	v_clz_i32_u32_e32 v8, v5
	v_add_nc_u32_e32 v13, 0x1000000, v5
	v_cmp_ne_u32_e32 vcc_lo, 0, v5
	s_delay_alu instid0(VALU_DEP_3) | instskip(NEXT) | instid1(VALU_DEP_1)
	v_min_u32_e32 v8, 32, v8
	v_sub_nc_u32_e64 v8, v8, 4 clamp
	s_delay_alu instid0(VALU_DEP_1) | instskip(SKIP_1) | instid1(VALU_DEP_2)
	v_lshlrev_b32_e32 v9, v8, v5
	v_lshlrev_b32_e32 v8, 23, v8
	v_lshrrev_b32_e32 v9, 4, v9
	s_delay_alu instid0(VALU_DEP_1) | instskip(SKIP_1) | instid1(VALU_DEP_2)
	v_sub_nc_u32_e32 v8, v9, v8
	v_ashrrev_i32_e32 v9, 8, v13
	v_add_nc_u32_e32 v8, 0x3c000000, v8
	s_delay_alu instid0(VALU_DEP_1) | instskip(NEXT) | instid1(VALU_DEP_1)
	v_and_or_b32 v8, 0x7f800000, v9, v8
	v_cndmask_b32_e32 v5, 0, v8, vcc_lo
	s_delay_alu instid0(VALU_DEP_1) | instskip(NEXT) | instid1(VALU_DEP_1)
	v_and_or_b32 v4, 0x80000000, v4, v5
	v_cvt_f64_f32_e32 v[4:5], v4
.LBB118_1919:
	s_mov_b32 s0, 0
.LBB118_1920:
	s_delay_alu instid0(SALU_CYCLE_1)
	s_and_not1_b32 vcc_lo, exec_lo, s0
	s_cbranch_vccnz .LBB118_1922
; %bb.1921:
	global_load_u8 v4, v[2:3], off
	s_waitcnt vmcnt(0)
	v_lshlrev_b32_e32 v5, 25, v4
	v_lshlrev_b16 v4, 8, v4
	s_delay_alu instid0(VALU_DEP_2) | instskip(NEXT) | instid1(VALU_DEP_2)
	v_lshrrev_b32_e32 v8, 4, v5
	v_and_or_b32 v9, 0x7f00, v4, 0.5
	v_cmp_gt_u32_e32 vcc_lo, 0x8000000, v5
	v_bfe_i32 v4, v4, 0, 16
	s_delay_alu instid0(VALU_DEP_4) | instskip(NEXT) | instid1(VALU_DEP_1)
	v_or_b32_e32 v8, 0x70000000, v8
	v_dual_add_f32 v9, -0.5, v9 :: v_dual_mul_f32 v8, 0x7800000, v8
	s_delay_alu instid0(VALU_DEP_1) | instskip(NEXT) | instid1(VALU_DEP_1)
	v_cndmask_b32_e32 v5, v8, v9, vcc_lo
	v_and_or_b32 v4, 0x80000000, v4, v5
	s_delay_alu instid0(VALU_DEP_1)
	v_cvt_f64_f32_e32 v[4:5], v4
.LBB118_1922:
	s_mov_b32 s1, 0
	s_mov_b32 s0, -1
.LBB118_1923:
	s_and_not1_b32 vcc_lo, exec_lo, s1
	s_mov_b32 s19, 0
	s_cbranch_vccnz .LBB118_1932
; %bb.1924:
	v_cmp_lt_i16_e32 vcc_lo, 14, v12
	s_cbranch_vccz .LBB118_1927
; %bb.1925:
	v_cmp_eq_u16_e32 vcc_lo, 15, v12
	s_cbranch_vccz .LBB118_1928
; %bb.1926:
	global_load_u16 v4, v[2:3], off
	s_mov_b32 s9, 0
	s_mov_b32 s0, -1
	s_waitcnt vmcnt(0)
	v_lshlrev_b32_e32 v4, 16, v4
	s_delay_alu instid0(VALU_DEP_1)
	v_cvt_f64_f32_e32 v[4:5], v4
	s_branch .LBB118_1929
.LBB118_1927:
	s_mov_b32 s1, -1
                                        ; implicit-def: $vgpr4_vgpr5
	s_branch .LBB118_1930
.LBB118_1928:
	s_mov_b32 s9, -1
                                        ; implicit-def: $vgpr4_vgpr5
.LBB118_1929:
	s_mov_b32 s1, 0
.LBB118_1930:
	s_delay_alu instid0(SALU_CYCLE_1)
	s_and_b32 vcc_lo, exec_lo, s1
	s_cbranch_vccz .LBB118_1932
; %bb.1931:
	v_cmp_ne_u16_e64 s9, 11, v12
	s_mov_b32 s19, -1
                                        ; implicit-def: $vgpr4_vgpr5
.LBB118_1932:
	s_delay_alu instid0(VALU_DEP_1)
	s_and_b32 vcc_lo, exec_lo, s9
	s_cbranch_vccnz .LBB118_1948
; %bb.1933:
	s_and_not1_b32 vcc_lo, exec_lo, s19
	s_cbranch_vccnz .LBB118_1935
.LBB118_1934:
	global_load_u8 v4, v[2:3], off
	s_mov_b32 s0, -1
	s_waitcnt vmcnt(0)
	v_cmp_ne_u16_e32 vcc_lo, 0, v4
	v_mov_b32_e32 v4, 0
	v_cndmask_b32_e64 v5, 0, 0x3ff00000, vcc_lo
.LBB118_1935:
.LBB118_1936:
	s_and_not1_b32 vcc_lo, exec_lo, s0
	s_cbranch_vccnz .LBB118_3036
.LBB118_1937:
	s_lshl_b32 s19, s10, 7
	v_cmp_gt_i16_e32 vcc_lo, 11, v11
	v_add_nc_u32_e32 v8, s19, v6
	s_delay_alu instid0(VALU_DEP_1) | instskip(SKIP_1) | instid1(VALU_DEP_1)
	v_ashrrev_i32_e32 v3, 31, v8
	v_add_co_u32 v2, s0, s12, v8
	v_add_co_ci_u32_e64 v3, s0, s13, v3, s0
	s_cbranch_vccnz .LBB118_1944
; %bb.1938:
	v_cmp_lt_i16_e32 vcc_lo, 25, v11
	s_mov_b32 s0, 0
	s_cbranch_vccz .LBB118_1945
; %bb.1939:
	v_cmp_lt_i16_e32 vcc_lo, 28, v11
	s_cbranch_vccz .LBB118_1946
; %bb.1940:
	v_cmp_lt_i16_e32 vcc_lo, 43, v11
	;; [unrolled: 3-line block ×3, first 2 shown]
	s_cbranch_vccz .LBB118_1950
; %bb.1942:
	v_cmp_eq_u16_e32 vcc_lo, 46, v11
	s_mov_b32 s20, 0
	s_cbranch_vccz .LBB118_1953
; %bb.1943:
	global_load_b32 v6, v[2:3], off
	s_mov_b32 s1, 0
	s_mov_b32 s10, -1
	s_waitcnt vmcnt(0)
	v_and_b32_e32 v6, 0x7fff7fff, v6
	s_delay_alu instid0(VALU_DEP_1)
	v_cmp_ne_u32_e32 vcc_lo, 0, v6
	s_and_b32 s9, vcc_lo, exec_lo
	s_branch .LBB118_1955
.LBB118_1944:
	s_mov_b32 s0, -1
	s_mov_b32 s10, 0
                                        ; implicit-def: $sgpr9
	s_branch .LBB118_2019
.LBB118_1945:
	s_mov_b32 s20, -1
	s_mov_b32 s10, 0
	s_mov_b32 s1, 0
                                        ; implicit-def: $sgpr9
	s_branch .LBB118_1982
.LBB118_1946:
	s_mov_b32 s20, -1
	s_mov_b32 s10, 0
	s_mov_b32 s1, 0
                                        ; implicit-def: $sgpr9
	s_branch .LBB118_1963
.LBB118_1947:
	s_mov_b32 s20, -1
	s_mov_b32 s10, 0
	s_mov_b32 s1, 0
                                        ; implicit-def: $sgpr9
	s_branch .LBB118_1958
.LBB118_1948:
	s_cbranch_execnz .LBB118_1951
; %bb.1949:
	s_or_b32 s15, s15, exec_lo
                                        ; implicit-def: $vgpr4_vgpr5
	s_cbranch_execz .LBB118_1934
	s_branch .LBB118_1935
.LBB118_1950:
	s_mov_b32 s20, -1
	s_mov_b32 s10, 0
	s_mov_b32 s1, 0
	s_branch .LBB118_1954
.LBB118_1951:
	s_trap 2
	s_sendmsg_rtn_b32 s0, sendmsg(MSG_RTN_GET_DOORBELL)
	s_mov_b32 ttmp2, m0
	s_waitcnt lgkmcnt(0)
	s_and_b32 s0, s0, 0x3ff
	s_delay_alu instid0(SALU_CYCLE_1) | instskip(NEXT) | instid1(SALU_CYCLE_1)
	s_bitset1_b32 s0, 10
	s_mov_b32 m0, s0
	s_sendmsg sendmsg(MSG_INTERRUPT)
	s_mov_b32 m0, ttmp2
.LBB118_1952:                           ; =>This Inner Loop Header: Depth=1
	s_sethalt 5
	s_branch .LBB118_1952
.LBB118_1953:
	s_mov_b32 s1, -1
	s_mov_b32 s10, 0
.LBB118_1954:
                                        ; implicit-def: $sgpr9
.LBB118_1955:
	s_and_b32 vcc_lo, exec_lo, s20
	s_cbranch_vccz .LBB118_1957
; %bb.1956:
	v_cmp_ne_u16_e64 s1, 44, v11
	s_mov_b32 s10, -1
	s_or_b32 s9, s9, exec_lo
.LBB118_1957:
	s_mov_b32 s20, 0
.LBB118_1958:
	s_delay_alu instid0(SALU_CYCLE_1)
	s_and_b32 vcc_lo, exec_lo, s20
	s_cbranch_vccz .LBB118_1962
; %bb.1959:
	v_cmp_eq_u16_e32 vcc_lo, 29, v11
	s_cbranch_vccz .LBB118_1961
; %bb.1960:
	global_load_b64 v[13:14], v[2:3], off
	s_mov_b32 s1, 0
	s_mov_b32 s10, -1
	s_mov_b32 s20, 0
	s_waitcnt vmcnt(0)
	v_cmp_ne_u64_e32 vcc_lo, 0, v[13:14]
	s_and_b32 s9, vcc_lo, exec_lo
	s_branch .LBB118_1963
.LBB118_1961:
	s_mov_b32 s1, -1
                                        ; implicit-def: $sgpr9
.LBB118_1962:
	s_mov_b32 s20, 0
.LBB118_1963:
	s_delay_alu instid0(SALU_CYCLE_1)
	s_and_b32 vcc_lo, exec_lo, s20
	s_cbranch_vccz .LBB118_1981
; %bb.1964:
	v_cmp_gt_i16_e32 vcc_lo, 27, v11
	s_cbranch_vccnz .LBB118_1967
; %bb.1965:
	v_cmp_lt_i16_e32 vcc_lo, 27, v11
	s_cbranch_vccz .LBB118_1968
; %bb.1966:
	global_load_b32 v6, v[2:3], off
	s_mov_b32 s10, 0
	s_waitcnt vmcnt(0)
	v_cmp_ne_u32_e32 vcc_lo, 0, v6
	s_and_b32 s9, vcc_lo, exec_lo
	s_branch .LBB118_1969
.LBB118_1967:
	s_mov_b32 s10, -1
                                        ; implicit-def: $sgpr9
	s_branch .LBB118_1972
.LBB118_1968:
	s_mov_b32 s10, -1
                                        ; implicit-def: $sgpr9
.LBB118_1969:
	s_delay_alu instid0(SALU_CYCLE_1)
	s_and_not1_b32 vcc_lo, exec_lo, s10
	s_cbranch_vccnz .LBB118_1971
; %bb.1970:
	global_load_u16 v6, v[2:3], off
	s_and_not1_b32 s9, s9, exec_lo
	s_waitcnt vmcnt(0)
	v_cmp_ne_u16_e32 vcc_lo, 0, v6
	s_and_b32 s10, vcc_lo, exec_lo
	s_delay_alu instid0(SALU_CYCLE_1)
	s_or_b32 s9, s9, s10
.LBB118_1971:
	s_mov_b32 s10, 0
.LBB118_1972:
	s_delay_alu instid0(SALU_CYCLE_1)
	s_and_not1_b32 vcc_lo, exec_lo, s10
	s_cbranch_vccnz .LBB118_1980
; %bb.1973:
	global_load_u8 v6, v[2:3], off
	s_mov_b32 s10, 0
	s_mov_b32 s20, exec_lo
                                        ; implicit-def: $sgpr9
	s_waitcnt vmcnt(0)
	v_cmpx_lt_i16_e32 0x7f, v6
	s_xor_b32 s20, exec_lo, s20
	s_cbranch_execz .LBB118_1994
; %bb.1974:
	s_mov_b32 s10, -1
	s_mov_b32 s21, exec_lo
                                        ; implicit-def: $sgpr9
	v_cmpx_eq_u16_e32 0x80, v6
; %bb.1975:
	s_mov_b32 s9, -1
	s_xor_b32 s10, exec_lo, -1
; %bb.1976:
	s_or_b32 exec_lo, exec_lo, s21
	s_delay_alu instid0(SALU_CYCLE_1)
	s_and_b32 s10, s10, exec_lo
	s_and_not1_saveexec_b32 s20, s20
	s_cbranch_execnz .LBB118_1995
.LBB118_1977:
	s_or_b32 exec_lo, exec_lo, s20
	s_and_saveexec_b32 s20, s10
	s_cbranch_execz .LBB118_1979
.LBB118_1978:
	v_and_b32_e32 v6, 0xffff, v6
	s_and_not1_b32 s9, s9, exec_lo
	s_delay_alu instid0(VALU_DEP_1) | instskip(NEXT) | instid1(VALU_DEP_1)
	v_and_b32_e32 v9, 7, v6
	v_clz_i32_u32_e32 v13, v9
	s_delay_alu instid0(VALU_DEP_1) | instskip(NEXT) | instid1(VALU_DEP_1)
	v_min_u32_e32 v13, 32, v13
	v_subrev_nc_u32_e32 v14, 28, v13
	v_sub_nc_u32_e32 v13, 29, v13
	s_delay_alu instid0(VALU_DEP_2) | instskip(SKIP_1) | instid1(VALU_DEP_2)
	v_lshlrev_b32_e32 v14, v14, v6
	v_bfe_u32 v6, v6, 3, 4
	v_and_b32_e32 v14, 7, v14
	s_delay_alu instid0(VALU_DEP_2) | instskip(NEXT) | instid1(VALU_DEP_2)
	v_cmp_eq_u32_e32 vcc_lo, 0, v6
	v_dual_cndmask_b32 v6, v6, v13 :: v_dual_cndmask_b32 v9, v9, v14
	s_delay_alu instid0(VALU_DEP_1) | instskip(NEXT) | instid1(VALU_DEP_2)
	v_lshl_add_u32 v6, v6, 23, 0x3b800000
	v_lshlrev_b32_e32 v9, 20, v9
	s_delay_alu instid0(VALU_DEP_1) | instskip(NEXT) | instid1(VALU_DEP_1)
	v_and_or_b32 v6, 0x7f800000, v6, v9
	v_cmp_ne_u32_e32 vcc_lo, 0, v6
	s_and_b32 s10, vcc_lo, exec_lo
	s_delay_alu instid0(SALU_CYCLE_1)
	s_or_b32 s9, s9, s10
.LBB118_1979:
	s_or_b32 exec_lo, exec_lo, s20
.LBB118_1980:
	s_mov_b32 s10, -1
.LBB118_1981:
	s_mov_b32 s20, 0
.LBB118_1982:
	s_delay_alu instid0(SALU_CYCLE_1)
	s_and_b32 vcc_lo, exec_lo, s20
	s_cbranch_vccz .LBB118_2015
; %bb.1983:
	v_cmp_lt_i16_e32 vcc_lo, 22, v11
	s_cbranch_vccz .LBB118_1993
; %bb.1984:
	v_cmp_gt_i16_e32 vcc_lo, 24, v11
	s_cbranch_vccnz .LBB118_1996
; %bb.1985:
	v_cmp_lt_i16_e32 vcc_lo, 24, v11
	s_cbranch_vccz .LBB118_1997
; %bb.1986:
	global_load_u8 v6, v[2:3], off
	s_mov_b32 s10, exec_lo
                                        ; implicit-def: $sgpr9
	s_waitcnt vmcnt(0)
	v_cmpx_lt_i16_e32 0x7f, v6
	s_xor_b32 s10, exec_lo, s10
	s_cbranch_execz .LBB118_2009
; %bb.1987:
	s_mov_b32 s0, -1
	s_mov_b32 s20, exec_lo
                                        ; implicit-def: $sgpr9
	v_cmpx_eq_u16_e32 0x80, v6
; %bb.1988:
	s_mov_b32 s9, -1
	s_xor_b32 s0, exec_lo, -1
; %bb.1989:
	s_or_b32 exec_lo, exec_lo, s20
	s_delay_alu instid0(SALU_CYCLE_1)
	s_and_b32 s0, s0, exec_lo
	s_and_not1_saveexec_b32 s10, s10
	s_cbranch_execnz .LBB118_2010
.LBB118_1990:
	s_or_b32 exec_lo, exec_lo, s10
	s_and_saveexec_b32 s10, s0
	s_cbranch_execz .LBB118_1992
.LBB118_1991:
	v_and_b32_e32 v6, 0xffff, v6
	s_and_not1_b32 s0, s9, exec_lo
	s_delay_alu instid0(VALU_DEP_1) | instskip(NEXT) | instid1(VALU_DEP_1)
	v_and_b32_e32 v9, 3, v6
	v_clz_i32_u32_e32 v13, v9
	s_delay_alu instid0(VALU_DEP_1) | instskip(NEXT) | instid1(VALU_DEP_1)
	v_min_u32_e32 v13, 32, v13
	v_subrev_nc_u32_e32 v14, 29, v13
	v_sub_nc_u32_e32 v13, 30, v13
	s_delay_alu instid0(VALU_DEP_2) | instskip(SKIP_1) | instid1(VALU_DEP_2)
	v_lshlrev_b32_e32 v14, v14, v6
	v_bfe_u32 v6, v6, 2, 5
	v_and_b32_e32 v14, 3, v14
	s_delay_alu instid0(VALU_DEP_2) | instskip(NEXT) | instid1(VALU_DEP_2)
	v_cmp_eq_u32_e32 vcc_lo, 0, v6
	v_dual_cndmask_b32 v6, v6, v13 :: v_dual_cndmask_b32 v9, v9, v14
	s_delay_alu instid0(VALU_DEP_1) | instskip(NEXT) | instid1(VALU_DEP_2)
	v_lshl_add_u32 v6, v6, 23, 0x37800000
	v_lshlrev_b32_e32 v9, 21, v9
	s_delay_alu instid0(VALU_DEP_1) | instskip(NEXT) | instid1(VALU_DEP_1)
	v_and_or_b32 v6, 0x7f800000, v6, v9
	v_cmp_ne_u32_e32 vcc_lo, 0, v6
	s_and_b32 s9, vcc_lo, exec_lo
	s_delay_alu instid0(SALU_CYCLE_1)
	s_or_b32 s9, s0, s9
.LBB118_1992:
	s_or_b32 exec_lo, exec_lo, s10
	s_mov_b32 s0, 0
	s_branch .LBB118_1998
.LBB118_1993:
	s_mov_b32 s0, -1
                                        ; implicit-def: $sgpr9
	s_branch .LBB118_2004
.LBB118_1994:
	s_and_not1_saveexec_b32 s20, s20
	s_cbranch_execz .LBB118_1977
.LBB118_1995:
	v_cmp_ne_u16_e32 vcc_lo, 0, v6
	s_and_not1_b32 s10, s10, exec_lo
	s_and_not1_b32 s9, s9, exec_lo
	s_and_b32 s21, vcc_lo, exec_lo
	s_delay_alu instid0(SALU_CYCLE_1)
	s_or_b32 s10, s10, s21
	s_or_b32 exec_lo, exec_lo, s20
	s_and_saveexec_b32 s20, s10
	s_cbranch_execnz .LBB118_1978
	s_branch .LBB118_1979
.LBB118_1996:
	s_mov_b32 s0, -1
                                        ; implicit-def: $sgpr9
	s_branch .LBB118_2001
.LBB118_1997:
	s_mov_b32 s0, -1
                                        ; implicit-def: $sgpr9
.LBB118_1998:
	s_delay_alu instid0(SALU_CYCLE_1)
	s_and_b32 vcc_lo, exec_lo, s0
	s_cbranch_vccz .LBB118_2000
; %bb.1999:
	global_load_u8 v6, v[2:3], off
	s_and_not1_b32 s9, s9, exec_lo
	s_waitcnt vmcnt(0)
	v_lshlrev_b32_e32 v6, 24, v6
	s_delay_alu instid0(VALU_DEP_1) | instskip(NEXT) | instid1(VALU_DEP_1)
	v_and_b32_e32 v6, 0x7f000000, v6
	v_clz_i32_u32_e32 v9, v6
	v_add_nc_u32_e32 v14, 0x1000000, v6
	v_cmp_ne_u32_e32 vcc_lo, 0, v6
	s_delay_alu instid0(VALU_DEP_3) | instskip(NEXT) | instid1(VALU_DEP_3)
	v_min_u32_e32 v9, 32, v9
	v_ashrrev_i32_e32 v14, 8, v14
	s_delay_alu instid0(VALU_DEP_2) | instskip(NEXT) | instid1(VALU_DEP_1)
	v_sub_nc_u32_e64 v9, v9, 4 clamp
	v_lshlrev_b32_e32 v13, v9, v6
	v_lshlrev_b32_e32 v9, 23, v9
	s_delay_alu instid0(VALU_DEP_2) | instskip(NEXT) | instid1(VALU_DEP_1)
	v_lshrrev_b32_e32 v13, 4, v13
	v_sub_nc_u32_e32 v9, v13, v9
	v_and_b32_e32 v13, 0x7f800000, v14
	s_delay_alu instid0(VALU_DEP_2) | instskip(NEXT) | instid1(VALU_DEP_1)
	v_add_nc_u32_e32 v9, 0x3c000000, v9
	v_and_or_b32 v9, 0x7ff00000, v9, v13
	s_delay_alu instid0(VALU_DEP_1) | instskip(NEXT) | instid1(VALU_DEP_1)
	v_cmp_ne_u32_e64 s0, 0, v9
	s_and_b32 s0, vcc_lo, s0
	s_delay_alu instid0(SALU_CYCLE_1) | instskip(NEXT) | instid1(SALU_CYCLE_1)
	s_and_b32 s0, s0, exec_lo
	s_or_b32 s9, s9, s0
.LBB118_2000:
	s_mov_b32 s0, 0
.LBB118_2001:
	s_delay_alu instid0(SALU_CYCLE_1)
	s_and_not1_b32 vcc_lo, exec_lo, s0
	s_cbranch_vccnz .LBB118_2003
; %bb.2002:
	global_load_u8 v6, v[2:3], off
	s_and_not1_b32 s0, s9, exec_lo
	s_waitcnt vmcnt(0)
	v_lshlrev_b32_e32 v9, 25, v6
	s_delay_alu instid0(VALU_DEP_1) | instskip(SKIP_1) | instid1(VALU_DEP_2)
	v_lshrrev_b32_e32 v13, 4, v9
	v_cmp_gt_u32_e32 vcc_lo, 0x8000000, v9
	v_or_b32_e32 v13, 0x70000000, v13
	s_delay_alu instid0(VALU_DEP_1) | instskip(NEXT) | instid1(VALU_DEP_1)
	v_dual_mul_f32 v13, 0x7800000, v13 :: v_dual_lshlrev_b32 v6, 8, v6
	v_and_or_b32 v6, 0x7f00, v6, 0.5
	s_delay_alu instid0(VALU_DEP_1) | instskip(NEXT) | instid1(VALU_DEP_1)
	v_add_f32_e32 v6, -0.5, v6
	v_cndmask_b32_e32 v6, v13, v6, vcc_lo
	s_delay_alu instid0(VALU_DEP_1) | instskip(SKIP_1) | instid1(SALU_CYCLE_1)
	v_cmp_neq_f32_e32 vcc_lo, 0, v6
	s_and_b32 s9, vcc_lo, exec_lo
	s_or_b32 s9, s0, s9
.LBB118_2003:
	s_mov_b32 s0, 0
	s_mov_b32 s10, -1
.LBB118_2004:
	s_and_not1_b32 vcc_lo, exec_lo, s0
	s_mov_b32 s0, 0
	s_cbranch_vccnz .LBB118_2015
; %bb.2005:
	v_cmp_lt_i16_e32 vcc_lo, 14, v11
	s_cbranch_vccz .LBB118_2008
; %bb.2006:
	v_cmp_eq_u16_e32 vcc_lo, 15, v11
	s_cbranch_vccz .LBB118_2011
; %bb.2007:
	global_load_u16 v6, v[2:3], off
	s_mov_b32 s1, 0
	s_mov_b32 s10, -1
	s_waitcnt vmcnt(0)
	v_and_b32_e32 v6, 0x7fff, v6
	s_delay_alu instid0(VALU_DEP_1)
	v_cmp_ne_u16_e32 vcc_lo, 0, v6
	s_and_b32 s9, vcc_lo, exec_lo
	s_branch .LBB118_2013
.LBB118_2008:
	s_mov_b32 s0, -1
	s_branch .LBB118_2012
.LBB118_2009:
	s_and_not1_saveexec_b32 s10, s10
	s_cbranch_execz .LBB118_1990
.LBB118_2010:
	v_cmp_ne_u16_e32 vcc_lo, 0, v6
	s_and_not1_b32 s0, s0, exec_lo
	s_and_not1_b32 s9, s9, exec_lo
	s_and_b32 s20, vcc_lo, exec_lo
	s_delay_alu instid0(SALU_CYCLE_1)
	s_or_b32 s0, s0, s20
	s_or_b32 exec_lo, exec_lo, s10
	s_and_saveexec_b32 s10, s0
	s_cbranch_execnz .LBB118_1991
	s_branch .LBB118_1992
.LBB118_2011:
	s_mov_b32 s1, -1
.LBB118_2012:
                                        ; implicit-def: $sgpr9
.LBB118_2013:
	s_and_b32 vcc_lo, exec_lo, s0
	s_mov_b32 s0, 0
	s_cbranch_vccz .LBB118_2015
; %bb.2014:
	v_cmp_ne_u16_e64 s1, 11, v11
	s_mov_b32 s0, -1
	s_and_not1_b32 s9, s9, exec_lo
.LBB118_2015:
	s_delay_alu instid0(VALU_DEP_1)
	s_and_b32 vcc_lo, exec_lo, s1
	s_cbranch_vccnz .LBB118_2080
; %bb.2016:
	s_and_not1_b32 vcc_lo, exec_lo, s0
	s_cbranch_vccnz .LBB118_2018
.LBB118_2017:
	global_load_u8 v6, v[2:3], off
	s_and_not1_b32 s0, s9, exec_lo
	s_mov_b32 s10, -1
	s_waitcnt vmcnt(0)
	v_cmp_ne_u16_e32 vcc_lo, 0, v6
	s_and_b32 s1, vcc_lo, exec_lo
	s_delay_alu instid0(SALU_CYCLE_1)
	s_or_b32 s9, s0, s1
.LBB118_2018:
	s_mov_b32 s0, 0
.LBB118_2019:
	s_delay_alu instid0(SALU_CYCLE_1)
	s_and_b32 vcc_lo, exec_lo, s0
	s_cbranch_vccz .LBB118_2068
; %bb.2020:
	v_cmp_gt_i16_e32 vcc_lo, 5, v11
	s_cbranch_vccnz .LBB118_2025
; %bb.2021:
	v_cmp_gt_i16_e32 vcc_lo, 8, v11
	s_cbranch_vccnz .LBB118_2026
	;; [unrolled: 3-line block ×3, first 2 shown]
; %bb.2023:
	v_cmp_lt_i16_e32 vcc_lo, 9, v11
	s_cbranch_vccz .LBB118_2028
; %bb.2024:
	global_load_b128 v[13:16], v[2:3], off
	s_waitcnt vmcnt(0)
	v_cmp_neq_f64_e32 vcc_lo, 0, v[13:14]
	v_cmp_neq_f64_e64 s0, 0, v[15:16]
	s_delay_alu instid0(VALU_DEP_1)
	s_or_b32 s1, vcc_lo, s0
	s_mov_b32 s0, 0
	s_and_b32 s9, s1, exec_lo
	s_branch .LBB118_2029
.LBB118_2025:
	s_mov_b32 s0, -1
                                        ; implicit-def: $sgpr9
	s_branch .LBB118_2047
.LBB118_2026:
	s_mov_b32 s0, -1
                                        ; implicit-def: $sgpr9
	s_branch .LBB118_2035
.LBB118_2027:
	s_mov_b32 s0, -1
                                        ; implicit-def: $sgpr9
	s_branch .LBB118_2032
.LBB118_2028:
	s_mov_b32 s0, -1
                                        ; implicit-def: $sgpr9
.LBB118_2029:
	s_delay_alu instid0(SALU_CYCLE_1)
	s_and_not1_b32 vcc_lo, exec_lo, s0
	s_cbranch_vccnz .LBB118_2031
; %bb.2030:
	global_load_b64 v[13:14], v[2:3], off
	s_and_not1_b32 s0, s9, exec_lo
	s_waitcnt vmcnt(0)
	v_or_b32_e32 v6, v13, v14
	s_delay_alu instid0(VALU_DEP_1) | instskip(NEXT) | instid1(VALU_DEP_1)
	v_and_b32_e32 v6, 0x7fffffff, v6
	v_cmp_ne_u32_e32 vcc_lo, 0, v6
	s_and_b32 s1, vcc_lo, exec_lo
	s_delay_alu instid0(SALU_CYCLE_1)
	s_or_b32 s9, s0, s1
.LBB118_2031:
	s_mov_b32 s0, 0
.LBB118_2032:
	s_delay_alu instid0(SALU_CYCLE_1)
	s_and_not1_b32 vcc_lo, exec_lo, s0
	s_cbranch_vccnz .LBB118_2034
; %bb.2033:
	global_load_b32 v6, v[2:3], off
	s_and_not1_b32 s0, s9, exec_lo
	s_waitcnt vmcnt(0)
	v_and_b32_e32 v6, 0x7fff7fff, v6
	s_delay_alu instid0(VALU_DEP_1) | instskip(SKIP_1) | instid1(SALU_CYCLE_1)
	v_cmp_ne_u32_e32 vcc_lo, 0, v6
	s_and_b32 s1, vcc_lo, exec_lo
	s_or_b32 s9, s0, s1
.LBB118_2034:
	s_mov_b32 s0, 0
.LBB118_2035:
	s_delay_alu instid0(SALU_CYCLE_1)
	s_and_not1_b32 vcc_lo, exec_lo, s0
	s_cbranch_vccnz .LBB118_2046
; %bb.2036:
	v_cmp_gt_i16_e32 vcc_lo, 6, v11
	s_cbranch_vccnz .LBB118_2039
; %bb.2037:
	v_cmp_lt_i16_e32 vcc_lo, 6, v11
	s_cbranch_vccz .LBB118_2040
; %bb.2038:
	global_load_b64 v[13:14], v[2:3], off
	s_mov_b32 s0, 0
	s_waitcnt vmcnt(0)
	v_cmp_neq_f64_e32 vcc_lo, 0, v[13:14]
	s_and_b32 s9, vcc_lo, exec_lo
	s_branch .LBB118_2041
.LBB118_2039:
	s_mov_b32 s0, -1
                                        ; implicit-def: $sgpr9
	s_branch .LBB118_2044
.LBB118_2040:
	s_mov_b32 s0, -1
                                        ; implicit-def: $sgpr9
.LBB118_2041:
	s_delay_alu instid0(SALU_CYCLE_1)
	s_and_not1_b32 vcc_lo, exec_lo, s0
	s_cbranch_vccnz .LBB118_2043
; %bb.2042:
	global_load_b32 v6, v[2:3], off
	s_and_not1_b32 s0, s9, exec_lo
	s_waitcnt vmcnt(0)
	v_cmp_neq_f32_e32 vcc_lo, 0, v6
	s_and_b32 s1, vcc_lo, exec_lo
	s_delay_alu instid0(SALU_CYCLE_1)
	s_or_b32 s9, s0, s1
.LBB118_2043:
	s_mov_b32 s0, 0
.LBB118_2044:
	s_delay_alu instid0(SALU_CYCLE_1)
	s_and_not1_b32 vcc_lo, exec_lo, s0
	s_cbranch_vccnz .LBB118_2046
; %bb.2045:
	global_load_u16 v6, v[2:3], off
	s_and_not1_b32 s0, s9, exec_lo
	s_waitcnt vmcnt(0)
	v_and_b32_e32 v6, 0x7fff, v6
	s_delay_alu instid0(VALU_DEP_1) | instskip(SKIP_1) | instid1(SALU_CYCLE_1)
	v_cmp_ne_u16_e32 vcc_lo, 0, v6
	s_and_b32 s1, vcc_lo, exec_lo
	s_or_b32 s9, s0, s1
.LBB118_2046:
	s_mov_b32 s0, 0
.LBB118_2047:
	s_delay_alu instid0(SALU_CYCLE_1)
	s_and_not1_b32 vcc_lo, exec_lo, s0
	s_cbranch_vccnz .LBB118_2067
; %bb.2048:
	v_cmp_gt_i16_e32 vcc_lo, 2, v11
	s_cbranch_vccnz .LBB118_2052
; %bb.2049:
	v_cmp_gt_i16_e32 vcc_lo, 3, v11
	s_cbranch_vccnz .LBB118_2053
; %bb.2050:
	v_cmp_lt_i16_e32 vcc_lo, 3, v11
	s_cbranch_vccz .LBB118_2054
; %bb.2051:
	global_load_b64 v[13:14], v[2:3], off
	s_mov_b32 s0, 0
	s_waitcnt vmcnt(0)
	v_cmp_ne_u64_e32 vcc_lo, 0, v[13:14]
	s_and_b32 s9, vcc_lo, exec_lo
	s_branch .LBB118_2055
.LBB118_2052:
	s_mov_b32 s0, -1
                                        ; implicit-def: $sgpr9
	s_branch .LBB118_2061
.LBB118_2053:
	s_mov_b32 s0, -1
                                        ; implicit-def: $sgpr9
	s_branch .LBB118_2058
.LBB118_2054:
	s_mov_b32 s0, -1
                                        ; implicit-def: $sgpr9
.LBB118_2055:
	s_delay_alu instid0(SALU_CYCLE_1)
	s_and_not1_b32 vcc_lo, exec_lo, s0
	s_cbranch_vccnz .LBB118_2057
; %bb.2056:
	global_load_b32 v6, v[2:3], off
	s_and_not1_b32 s0, s9, exec_lo
	s_waitcnt vmcnt(0)
	v_cmp_ne_u32_e32 vcc_lo, 0, v6
	s_and_b32 s1, vcc_lo, exec_lo
	s_delay_alu instid0(SALU_CYCLE_1)
	s_or_b32 s9, s0, s1
.LBB118_2057:
	s_mov_b32 s0, 0
.LBB118_2058:
	s_delay_alu instid0(SALU_CYCLE_1)
	s_and_not1_b32 vcc_lo, exec_lo, s0
	s_cbranch_vccnz .LBB118_2060
; %bb.2059:
	global_load_u16 v6, v[2:3], off
	s_and_not1_b32 s0, s9, exec_lo
	s_waitcnt vmcnt(0)
	v_cmp_ne_u16_e32 vcc_lo, 0, v6
	s_and_b32 s1, vcc_lo, exec_lo
	s_delay_alu instid0(SALU_CYCLE_1)
	s_or_b32 s9, s0, s1
.LBB118_2060:
	s_mov_b32 s0, 0
.LBB118_2061:
	s_delay_alu instid0(SALU_CYCLE_1)
	s_and_not1_b32 vcc_lo, exec_lo, s0
	s_cbranch_vccnz .LBB118_2067
; %bb.2062:
	v_cmp_lt_i16_e32 vcc_lo, 0, v11
	s_mov_b32 s0, 0
	s_cbranch_vccz .LBB118_2064
; %bb.2063:
	global_load_u8 v6, v[2:3], off
	s_waitcnt vmcnt(0)
	v_cmp_ne_u16_e32 vcc_lo, 0, v6
	s_and_b32 s9, vcc_lo, exec_lo
	s_branch .LBB118_2065
.LBB118_2064:
	s_mov_b32 s0, -1
                                        ; implicit-def: $sgpr9
.LBB118_2065:
	s_delay_alu instid0(SALU_CYCLE_1)
	s_and_not1_b32 vcc_lo, exec_lo, s0
	s_cbranch_vccnz .LBB118_2067
; %bb.2066:
	global_load_u8 v2, v[2:3], off
	s_and_not1_b32 s0, s9, exec_lo
	s_waitcnt vmcnt(0)
	v_cmp_ne_u16_e32 vcc_lo, 0, v2
	s_and_b32 s1, vcc_lo, exec_lo
	s_delay_alu instid0(SALU_CYCLE_1)
	s_or_b32 s9, s0, s1
.LBB118_2067:
	s_mov_b32 s10, -1
.LBB118_2068:
	s_delay_alu instid0(SALU_CYCLE_1)
	s_and_not1_b32 vcc_lo, exec_lo, s10
	s_cbranch_vccnz .LBB118_3036
; %bb.2069:
	v_add_nc_u32_e32 v9, s16, v7
	v_cmp_gt_i16_e32 vcc_lo, 11, v12
	s_delay_alu instid0(VALU_DEP_2) | instskip(SKIP_1) | instid1(VALU_DEP_1)
	v_ashrrev_i32_e32 v3, 31, v9
	v_add_co_u32 v2, s0, s6, v9
	v_add_co_ci_u32_e64 v3, s0, s7, v3, s0
	s_cbranch_vccnz .LBB118_2076
; %bb.2070:
	v_cmp_lt_i16_e32 vcc_lo, 25, v12
	s_mov_b32 s20, 0
	s_cbranch_vccz .LBB118_2077
; %bb.2071:
	v_cmp_lt_i16_e32 vcc_lo, 28, v12
	s_cbranch_vccz .LBB118_2078
; %bb.2072:
	v_cmp_lt_i16_e32 vcc_lo, 43, v12
	;; [unrolled: 3-line block ×3, first 2 shown]
	s_cbranch_vccz .LBB118_2082
; %bb.2074:
	v_cmp_eq_u16_e32 vcc_lo, 46, v12
	s_mov_b32 s1, 0
	s_cbranch_vccz .LBB118_2085
; %bb.2075:
	global_load_b32 v6, v[2:3], off
	s_mov_b32 s10, 0
	s_mov_b32 s0, -1
	s_waitcnt vmcnt(0)
	v_lshlrev_b32_e32 v6, 16, v6
	s_delay_alu instid0(VALU_DEP_1)
	v_cvt_f64_f32_e32 v[6:7], v6
	s_branch .LBB118_2087
.LBB118_2076:
	s_mov_b32 s1, -1
	s_mov_b32 s0, 0
                                        ; implicit-def: $vgpr6_vgpr7
	s_branch .LBB118_2153
.LBB118_2077:
	s_mov_b32 s1, -1
	s_mov_b32 s0, 0
	s_mov_b32 s10, 0
                                        ; implicit-def: $vgpr6_vgpr7
	s_branch .LBB118_2118
.LBB118_2078:
	s_mov_b32 s1, -1
	s_mov_b32 s0, 0
	s_mov_b32 s10, 0
                                        ; implicit-def: $vgpr6_vgpr7
	s_branch .LBB118_2097
.LBB118_2079:
	s_mov_b32 s1, -1
	s_mov_b32 s0, 0
	s_mov_b32 s10, 0
                                        ; implicit-def: $vgpr6_vgpr7
	s_branch .LBB118_2092
.LBB118_2080:
	s_cbranch_execnz .LBB118_2083
; %bb.2081:
	s_mov_b32 s10, 0
	s_and_not1_b32 s9, s9, exec_lo
	s_or_b32 s15, s15, exec_lo
	s_cbranch_execz .LBB118_2017
	s_branch .LBB118_2018
.LBB118_2082:
	s_mov_b32 s1, -1
	s_mov_b32 s0, 0
	s_mov_b32 s10, 0
	s_branch .LBB118_2086
.LBB118_2083:
	s_trap 2
	s_sendmsg_rtn_b32 s0, sendmsg(MSG_RTN_GET_DOORBELL)
	s_mov_b32 ttmp2, m0
	s_waitcnt lgkmcnt(0)
	s_and_b32 s0, s0, 0x3ff
	s_delay_alu instid0(SALU_CYCLE_1) | instskip(NEXT) | instid1(SALU_CYCLE_1)
	s_bitset1_b32 s0, 10
	s_mov_b32 m0, s0
	s_sendmsg sendmsg(MSG_INTERRUPT)
	s_mov_b32 m0, ttmp2
.LBB118_2084:                           ; =>This Inner Loop Header: Depth=1
	s_sethalt 5
	s_branch .LBB118_2084
.LBB118_2085:
	s_mov_b32 s10, -1
	s_mov_b32 s0, 0
.LBB118_2086:
                                        ; implicit-def: $vgpr6_vgpr7
.LBB118_2087:
	s_and_b32 vcc_lo, exec_lo, s1
	s_cbranch_vccz .LBB118_2091
; %bb.2088:
	v_cmp_eq_u16_e32 vcc_lo, 44, v12
	s_cbranch_vccz .LBB118_2090
; %bb.2089:
	global_load_u8 v13, v[2:3], off
	s_mov_b32 s10, 0
	s_mov_b32 s0, -1
	s_waitcnt vmcnt(0)
	v_cmp_ne_u32_e32 vcc_lo, 0xff, v13
	v_lshlrev_b32_e32 v6, 23, v13
	s_delay_alu instid0(VALU_DEP_1) | instskip(NEXT) | instid1(VALU_DEP_1)
	v_cvt_f64_f32_e32 v[6:7], v6
	v_cndmask_b32_e32 v7, 0x7ff80000, v7, vcc_lo
	s_delay_alu instid0(VALU_DEP_2) | instskip(SKIP_1) | instid1(VALU_DEP_3)
	v_cndmask_b32_e32 v6, 0x20000000, v6, vcc_lo
	v_cmp_ne_u32_e32 vcc_lo, 0, v13
	v_cndmask_b32_e32 v7, 0x38000000, v7, vcc_lo
	s_delay_alu instid0(VALU_DEP_3)
	v_cndmask_b32_e32 v6, 0, v6, vcc_lo
	s_branch .LBB118_2091
.LBB118_2090:
	s_mov_b32 s10, -1
                                        ; implicit-def: $vgpr6_vgpr7
.LBB118_2091:
	s_mov_b32 s1, 0
.LBB118_2092:
	s_delay_alu instid0(SALU_CYCLE_1)
	s_and_b32 vcc_lo, exec_lo, s1
	s_cbranch_vccz .LBB118_2096
; %bb.2093:
	v_cmp_eq_u16_e32 vcc_lo, 29, v12
	s_cbranch_vccz .LBB118_2095
; %bb.2094:
	global_load_b64 v[6:7], v[2:3], off
	s_mov_b32 s10, 0
	s_mov_b32 s0, -1
	s_mov_b32 s1, 0
	s_waitcnt vmcnt(0)
	v_cvt_f64_u32_e32 v[13:14], v7
	v_cvt_f64_u32_e32 v[6:7], v6
	s_delay_alu instid0(VALU_DEP_2) | instskip(NEXT) | instid1(VALU_DEP_1)
	v_ldexp_f64 v[13:14], v[13:14], 32
	v_add_f64 v[6:7], v[13:14], v[6:7]
	s_branch .LBB118_2097
.LBB118_2095:
	s_mov_b32 s10, -1
                                        ; implicit-def: $vgpr6_vgpr7
.LBB118_2096:
	s_mov_b32 s1, 0
.LBB118_2097:
	s_delay_alu instid0(SALU_CYCLE_1)
	s_and_b32 vcc_lo, exec_lo, s1
	s_cbranch_vccz .LBB118_2117
; %bb.2098:
	v_cmp_gt_i16_e32 vcc_lo, 27, v12
	s_cbranch_vccnz .LBB118_2101
; %bb.2099:
	v_cmp_lt_i16_e32 vcc_lo, 27, v12
	s_cbranch_vccz .LBB118_2102
; %bb.2100:
	global_load_b32 v6, v[2:3], off
	s_mov_b32 s0, 0
	s_waitcnt vmcnt(0)
	v_cvt_f64_u32_e32 v[6:7], v6
	s_branch .LBB118_2103
.LBB118_2101:
	s_mov_b32 s0, -1
                                        ; implicit-def: $vgpr6_vgpr7
	s_branch .LBB118_2106
.LBB118_2102:
	s_mov_b32 s0, -1
                                        ; implicit-def: $vgpr6_vgpr7
.LBB118_2103:
	s_delay_alu instid0(SALU_CYCLE_1)
	s_and_not1_b32 vcc_lo, exec_lo, s0
	s_cbranch_vccnz .LBB118_2105
; %bb.2104:
	global_load_u16 v6, v[2:3], off
	s_waitcnt vmcnt(0)
	v_cvt_f64_u32_e32 v[6:7], v6
.LBB118_2105:
	s_mov_b32 s0, 0
.LBB118_2106:
	s_delay_alu instid0(SALU_CYCLE_1)
	s_and_not1_b32 vcc_lo, exec_lo, s0
	s_cbranch_vccnz .LBB118_2116
; %bb.2107:
	global_load_u8 v13, v[2:3], off
	s_mov_b32 s21, 0
	s_mov_b32 s22, exec_lo
                                        ; implicit-def: $sgpr0_sgpr1
	s_waitcnt vmcnt(0)
	v_cmpx_lt_i16_e32 0x7f, v13
	s_xor_b32 s22, exec_lo, s22
	s_cbranch_execz .LBB118_2111
; %bb.2108:
	s_mov_b32 s23, -1
	s_mov_b32 s21, exec_lo
                                        ; implicit-def: $sgpr0_sgpr1
	v_cmpx_eq_u16_e32 0x80, v13
; %bb.2109:
	s_mov_b32 s1, 0x7ff80000
	s_brev_b32 s0, 4
	s_xor_b32 s23, exec_lo, -1
; %bb.2110:
	s_or_b32 exec_lo, exec_lo, s21
	s_delay_alu instid0(SALU_CYCLE_1)
	s_and_b32 s21, s23, exec_lo
.LBB118_2111:
	s_or_saveexec_b32 s22, s22
	v_dual_mov_b32 v7, s1 :: v_dual_mov_b32 v6, s0
	s_xor_b32 exec_lo, exec_lo, s22
; %bb.2112:
	v_cmp_ne_u16_e32 vcc_lo, 0, v13
	v_mov_b32_e32 v6, 0
	v_mov_b32_e32 v7, 0
	s_and_not1_b32 s0, s21, exec_lo
	s_and_b32 s1, vcc_lo, exec_lo
	s_delay_alu instid0(SALU_CYCLE_1)
	s_or_b32 s21, s0, s1
; %bb.2113:
	s_or_b32 exec_lo, exec_lo, s22
	s_and_saveexec_b32 s0, s21
	s_cbranch_execz .LBB118_2115
; %bb.2114:
	v_and_b32_e32 v6, 0xffff, v13
	v_lshlrev_b32_e32 v13, 24, v13
	s_delay_alu instid0(VALU_DEP_2) | instskip(NEXT) | instid1(VALU_DEP_2)
	v_and_b32_e32 v7, 7, v6
	v_and_b32_e32 v13, 0x80000000, v13
	s_delay_alu instid0(VALU_DEP_2) | instskip(NEXT) | instid1(VALU_DEP_1)
	v_clz_i32_u32_e32 v14, v7
	v_min_u32_e32 v14, 32, v14
	s_delay_alu instid0(VALU_DEP_1) | instskip(SKIP_1) | instid1(VALU_DEP_2)
	v_subrev_nc_u32_e32 v15, 28, v14
	v_sub_nc_u32_e32 v14, 29, v14
	v_lshlrev_b32_e32 v15, v15, v6
	v_bfe_u32 v6, v6, 3, 4
	s_delay_alu instid0(VALU_DEP_1) | instskip(NEXT) | instid1(VALU_DEP_3)
	v_cmp_eq_u32_e32 vcc_lo, 0, v6
	v_dual_cndmask_b32 v6, v6, v14 :: v_dual_and_b32 v15, 7, v15
	s_delay_alu instid0(VALU_DEP_1) | instskip(NEXT) | instid1(VALU_DEP_2)
	v_cndmask_b32_e32 v7, v7, v15, vcc_lo
	v_lshl_add_u32 v6, v6, 23, 0x3b800000
	s_delay_alu instid0(VALU_DEP_2) | instskip(NEXT) | instid1(VALU_DEP_1)
	v_lshlrev_b32_e32 v7, 20, v7
	v_or3_b32 v6, v13, v6, v7
	s_delay_alu instid0(VALU_DEP_1)
	v_cvt_f64_f32_e32 v[6:7], v6
.LBB118_2115:
	s_or_b32 exec_lo, exec_lo, s0
.LBB118_2116:
	s_mov_b32 s0, -1
.LBB118_2117:
	s_mov_b32 s1, 0
.LBB118_2118:
	s_delay_alu instid0(SALU_CYCLE_1)
	s_and_b32 vcc_lo, exec_lo, s1
	s_cbranch_vccz .LBB118_2149
; %bb.2119:
	v_cmp_lt_i16_e32 vcc_lo, 22, v12
	s_cbranch_vccz .LBB118_2131
; %bb.2120:
	v_cmp_gt_i16_e32 vcc_lo, 24, v12
	s_cbranch_vccnz .LBB118_2132
; %bb.2121:
	v_cmp_lt_i16_e32 vcc_lo, 24, v12
	s_cbranch_vccz .LBB118_2133
; %bb.2122:
	global_load_u8 v13, v[2:3], off
	s_mov_b32 s21, exec_lo
                                        ; implicit-def: $sgpr0_sgpr1
	s_waitcnt vmcnt(0)
	v_cmpx_lt_i16_e32 0x7f, v13
	s_xor_b32 s21, exec_lo, s21
	s_cbranch_execz .LBB118_2126
; %bb.2123:
	s_mov_b32 s22, -1
	s_mov_b32 s20, exec_lo
                                        ; implicit-def: $sgpr0_sgpr1
	v_cmpx_eq_u16_e32 0x80, v13
; %bb.2124:
	s_mov_b32 s1, 0x7ff80000
	s_brev_b32 s0, 4
	s_xor_b32 s22, exec_lo, -1
; %bb.2125:
	s_or_b32 exec_lo, exec_lo, s20
	s_delay_alu instid0(SALU_CYCLE_1)
	s_and_b32 s20, s22, exec_lo
.LBB118_2126:
	s_or_saveexec_b32 s21, s21
	v_dual_mov_b32 v7, s1 :: v_dual_mov_b32 v6, s0
	s_xor_b32 exec_lo, exec_lo, s21
; %bb.2127:
	v_cmp_ne_u16_e32 vcc_lo, 0, v13
	v_mov_b32_e32 v6, 0
	v_mov_b32_e32 v7, 0
	s_and_not1_b32 s0, s20, exec_lo
	s_and_b32 s1, vcc_lo, exec_lo
	s_delay_alu instid0(SALU_CYCLE_1)
	s_or_b32 s20, s0, s1
; %bb.2128:
	s_or_b32 exec_lo, exec_lo, s21
	s_and_saveexec_b32 s0, s20
	s_cbranch_execz .LBB118_2130
; %bb.2129:
	v_and_b32_e32 v6, 0xffff, v13
	v_lshlrev_b32_e32 v13, 24, v13
	s_delay_alu instid0(VALU_DEP_2) | instskip(NEXT) | instid1(VALU_DEP_2)
	v_and_b32_e32 v7, 3, v6
	v_and_b32_e32 v13, 0x80000000, v13
	s_delay_alu instid0(VALU_DEP_2) | instskip(NEXT) | instid1(VALU_DEP_1)
	v_clz_i32_u32_e32 v14, v7
	v_min_u32_e32 v14, 32, v14
	s_delay_alu instid0(VALU_DEP_1) | instskip(SKIP_1) | instid1(VALU_DEP_2)
	v_subrev_nc_u32_e32 v15, 29, v14
	v_sub_nc_u32_e32 v14, 30, v14
	v_lshlrev_b32_e32 v15, v15, v6
	v_bfe_u32 v6, v6, 2, 5
	s_delay_alu instid0(VALU_DEP_1) | instskip(NEXT) | instid1(VALU_DEP_3)
	v_cmp_eq_u32_e32 vcc_lo, 0, v6
	v_dual_cndmask_b32 v6, v6, v14 :: v_dual_and_b32 v15, 3, v15
	s_delay_alu instid0(VALU_DEP_1) | instskip(NEXT) | instid1(VALU_DEP_2)
	v_cndmask_b32_e32 v7, v7, v15, vcc_lo
	v_lshl_add_u32 v6, v6, 23, 0x37800000
	s_delay_alu instid0(VALU_DEP_2) | instskip(NEXT) | instid1(VALU_DEP_1)
	v_lshlrev_b32_e32 v7, 21, v7
	v_or3_b32 v6, v13, v6, v7
	s_delay_alu instid0(VALU_DEP_1)
	v_cvt_f64_f32_e32 v[6:7], v6
.LBB118_2130:
	s_or_b32 exec_lo, exec_lo, s0
	s_mov_b32 s0, 0
	s_branch .LBB118_2134
.LBB118_2131:
	s_mov_b32 s1, -1
                                        ; implicit-def: $vgpr6_vgpr7
	s_branch .LBB118_2140
.LBB118_2132:
	s_mov_b32 s0, -1
                                        ; implicit-def: $vgpr6_vgpr7
	s_branch .LBB118_2137
.LBB118_2133:
	s_mov_b32 s0, -1
                                        ; implicit-def: $vgpr6_vgpr7
.LBB118_2134:
	s_delay_alu instid0(SALU_CYCLE_1)
	s_and_b32 vcc_lo, exec_lo, s0
	s_cbranch_vccz .LBB118_2136
; %bb.2135:
	global_load_u8 v6, v[2:3], off
	s_waitcnt vmcnt(0)
	v_lshlrev_b32_e32 v6, 24, v6
	s_delay_alu instid0(VALU_DEP_1) | instskip(NEXT) | instid1(VALU_DEP_1)
	v_and_b32_e32 v7, 0x7f000000, v6
	v_clz_i32_u32_e32 v13, v7
	v_add_nc_u32_e32 v15, 0x1000000, v7
	v_cmp_ne_u32_e32 vcc_lo, 0, v7
	s_delay_alu instid0(VALU_DEP_3) | instskip(NEXT) | instid1(VALU_DEP_1)
	v_min_u32_e32 v13, 32, v13
	v_sub_nc_u32_e64 v13, v13, 4 clamp
	s_delay_alu instid0(VALU_DEP_1) | instskip(SKIP_1) | instid1(VALU_DEP_2)
	v_lshlrev_b32_e32 v14, v13, v7
	v_lshlrev_b32_e32 v13, 23, v13
	v_lshrrev_b32_e32 v14, 4, v14
	s_delay_alu instid0(VALU_DEP_1) | instskip(SKIP_1) | instid1(VALU_DEP_2)
	v_sub_nc_u32_e32 v13, v14, v13
	v_ashrrev_i32_e32 v14, 8, v15
	v_add_nc_u32_e32 v13, 0x3c000000, v13
	s_delay_alu instid0(VALU_DEP_1) | instskip(NEXT) | instid1(VALU_DEP_1)
	v_and_or_b32 v13, 0x7f800000, v14, v13
	v_cndmask_b32_e32 v7, 0, v13, vcc_lo
	s_delay_alu instid0(VALU_DEP_1) | instskip(NEXT) | instid1(VALU_DEP_1)
	v_and_or_b32 v6, 0x80000000, v6, v7
	v_cvt_f64_f32_e32 v[6:7], v6
.LBB118_2136:
	s_mov_b32 s0, 0
.LBB118_2137:
	s_delay_alu instid0(SALU_CYCLE_1)
	s_and_not1_b32 vcc_lo, exec_lo, s0
	s_cbranch_vccnz .LBB118_2139
; %bb.2138:
	global_load_u8 v6, v[2:3], off
	s_waitcnt vmcnt(0)
	v_lshlrev_b32_e32 v7, 25, v6
	v_lshlrev_b16 v6, 8, v6
	s_delay_alu instid0(VALU_DEP_2) | instskip(NEXT) | instid1(VALU_DEP_2)
	v_lshrrev_b32_e32 v13, 4, v7
	v_and_or_b32 v14, 0x7f00, v6, 0.5
	v_cmp_gt_u32_e32 vcc_lo, 0x8000000, v7
	v_bfe_i32 v6, v6, 0, 16
	s_delay_alu instid0(VALU_DEP_4) | instskip(NEXT) | instid1(VALU_DEP_1)
	v_or_b32_e32 v13, 0x70000000, v13
	v_dual_add_f32 v14, -0.5, v14 :: v_dual_mul_f32 v13, 0x7800000, v13
	s_delay_alu instid0(VALU_DEP_1) | instskip(NEXT) | instid1(VALU_DEP_1)
	v_cndmask_b32_e32 v7, v13, v14, vcc_lo
	v_and_or_b32 v6, 0x80000000, v6, v7
	s_delay_alu instid0(VALU_DEP_1)
	v_cvt_f64_f32_e32 v[6:7], v6
.LBB118_2139:
	s_mov_b32 s1, 0
	s_mov_b32 s0, -1
.LBB118_2140:
	s_and_not1_b32 vcc_lo, exec_lo, s1
	s_mov_b32 s20, 0
	s_cbranch_vccnz .LBB118_2149
; %bb.2141:
	v_cmp_lt_i16_e32 vcc_lo, 14, v12
	s_cbranch_vccz .LBB118_2144
; %bb.2142:
	v_cmp_eq_u16_e32 vcc_lo, 15, v12
	s_cbranch_vccz .LBB118_2145
; %bb.2143:
	global_load_u16 v6, v[2:3], off
	s_mov_b32 s10, 0
	s_mov_b32 s0, -1
	s_waitcnt vmcnt(0)
	v_lshlrev_b32_e32 v6, 16, v6
	s_delay_alu instid0(VALU_DEP_1)
	v_cvt_f64_f32_e32 v[6:7], v6
	s_branch .LBB118_2146
.LBB118_2144:
	s_mov_b32 s1, -1
                                        ; implicit-def: $vgpr6_vgpr7
	s_branch .LBB118_2147
.LBB118_2145:
	s_mov_b32 s10, -1
                                        ; implicit-def: $vgpr6_vgpr7
.LBB118_2146:
	s_mov_b32 s1, 0
.LBB118_2147:
	s_delay_alu instid0(SALU_CYCLE_1)
	s_and_b32 vcc_lo, exec_lo, s1
	s_cbranch_vccz .LBB118_2149
; %bb.2148:
	v_cmp_ne_u16_e64 s10, 11, v12
	s_mov_b32 s20, -1
                                        ; implicit-def: $vgpr6_vgpr7
.LBB118_2149:
	s_delay_alu instid0(VALU_DEP_1)
	s_and_b32 vcc_lo, exec_lo, s10
	s_cbranch_vccnz .LBB118_2214
; %bb.2150:
	s_and_not1_b32 vcc_lo, exec_lo, s20
	s_cbranch_vccnz .LBB118_2152
.LBB118_2151:
	global_load_u8 v6, v[2:3], off
	s_mov_b32 s0, -1
	s_waitcnt vmcnt(0)
	v_cmp_ne_u16_e32 vcc_lo, 0, v6
	v_mov_b32_e32 v6, 0
	v_cndmask_b32_e64 v7, 0, 0x3ff00000, vcc_lo
.LBB118_2152:
	s_mov_b32 s1, 0
.LBB118_2153:
	s_delay_alu instid0(SALU_CYCLE_1)
	s_and_b32 vcc_lo, exec_lo, s1
	s_cbranch_vccz .LBB118_2202
; %bb.2154:
	v_cmp_gt_i16_e32 vcc_lo, 5, v12
	s_cbranch_vccnz .LBB118_2159
; %bb.2155:
	v_cmp_gt_i16_e32 vcc_lo, 8, v12
	s_cbranch_vccnz .LBB118_2160
	;; [unrolled: 3-line block ×3, first 2 shown]
; %bb.2157:
	v_cmp_lt_i16_e32 vcc_lo, 9, v12
	s_cbranch_vccz .LBB118_2162
; %bb.2158:
	global_load_b64 v[6:7], v[2:3], off
	s_mov_b32 s0, 0
	s_branch .LBB118_2163
.LBB118_2159:
	s_mov_b32 s0, -1
                                        ; implicit-def: $vgpr6_vgpr7
	s_branch .LBB118_2181
.LBB118_2160:
	s_mov_b32 s0, -1
                                        ; implicit-def: $vgpr6_vgpr7
	s_branch .LBB118_2169
.LBB118_2161:
	s_mov_b32 s0, -1
                                        ; implicit-def: $vgpr6_vgpr7
	s_branch .LBB118_2166
.LBB118_2162:
	s_mov_b32 s0, -1
                                        ; implicit-def: $vgpr6_vgpr7
.LBB118_2163:
	s_delay_alu instid0(SALU_CYCLE_1)
	s_and_not1_b32 vcc_lo, exec_lo, s0
	s_cbranch_vccnz .LBB118_2165
; %bb.2164:
	global_load_b32 v6, v[2:3], off
	s_waitcnt vmcnt(0)
	v_cvt_f64_f32_e32 v[6:7], v6
.LBB118_2165:
	s_mov_b32 s0, 0
.LBB118_2166:
	s_delay_alu instid0(SALU_CYCLE_1)
	s_and_not1_b32 vcc_lo, exec_lo, s0
	s_cbranch_vccnz .LBB118_2168
; %bb.2167:
	global_load_b32 v6, v[2:3], off
	s_waitcnt vmcnt(0)
	v_cvt_f32_f16_e32 v6, v6
	s_delay_alu instid0(VALU_DEP_1)
	v_cvt_f64_f32_e32 v[6:7], v6
.LBB118_2168:
	s_mov_b32 s0, 0
.LBB118_2169:
	s_delay_alu instid0(SALU_CYCLE_1)
	s_and_not1_b32 vcc_lo, exec_lo, s0
	s_cbranch_vccnz .LBB118_2180
; %bb.2170:
	v_cmp_gt_i16_e32 vcc_lo, 6, v12
	s_cbranch_vccnz .LBB118_2173
; %bb.2171:
	v_cmp_lt_i16_e32 vcc_lo, 6, v12
	s_cbranch_vccz .LBB118_2174
; %bb.2172:
	global_load_b64 v[6:7], v[2:3], off
	s_mov_b32 s0, 0
	s_branch .LBB118_2175
.LBB118_2173:
	s_mov_b32 s0, -1
                                        ; implicit-def: $vgpr6_vgpr7
	s_branch .LBB118_2178
.LBB118_2174:
	s_mov_b32 s0, -1
                                        ; implicit-def: $vgpr6_vgpr7
.LBB118_2175:
	s_delay_alu instid0(SALU_CYCLE_1)
	s_and_not1_b32 vcc_lo, exec_lo, s0
	s_cbranch_vccnz .LBB118_2177
; %bb.2176:
	global_load_b32 v6, v[2:3], off
	s_waitcnt vmcnt(0)
	v_cvt_f64_f32_e32 v[6:7], v6
.LBB118_2177:
	s_mov_b32 s0, 0
.LBB118_2178:
	s_delay_alu instid0(SALU_CYCLE_1)
	s_and_not1_b32 vcc_lo, exec_lo, s0
	s_cbranch_vccnz .LBB118_2180
; %bb.2179:
	global_load_u16 v6, v[2:3], off
	s_waitcnt vmcnt(0)
	v_cvt_f32_f16_e32 v6, v6
	s_delay_alu instid0(VALU_DEP_1)
	v_cvt_f64_f32_e32 v[6:7], v6
.LBB118_2180:
	s_mov_b32 s0, 0
.LBB118_2181:
	s_delay_alu instid0(SALU_CYCLE_1)
	s_and_not1_b32 vcc_lo, exec_lo, s0
	s_cbranch_vccnz .LBB118_2201
; %bb.2182:
	v_cmp_gt_i16_e32 vcc_lo, 2, v12
	s_cbranch_vccnz .LBB118_2186
; %bb.2183:
	v_cmp_gt_i16_e32 vcc_lo, 3, v12
	s_cbranch_vccnz .LBB118_2187
; %bb.2184:
	v_cmp_lt_i16_e32 vcc_lo, 3, v12
	s_cbranch_vccz .LBB118_2188
; %bb.2185:
	global_load_b64 v[6:7], v[2:3], off
	s_mov_b32 s0, 0
	s_waitcnt vmcnt(0)
	v_cvt_f64_i32_e32 v[13:14], v7
	v_cvt_f64_u32_e32 v[6:7], v6
	s_delay_alu instid0(VALU_DEP_2) | instskip(NEXT) | instid1(VALU_DEP_1)
	v_ldexp_f64 v[13:14], v[13:14], 32
	v_add_f64 v[6:7], v[13:14], v[6:7]
	s_branch .LBB118_2189
.LBB118_2186:
	s_mov_b32 s0, -1
                                        ; implicit-def: $vgpr6_vgpr7
	s_branch .LBB118_2195
.LBB118_2187:
	s_mov_b32 s0, -1
                                        ; implicit-def: $vgpr6_vgpr7
	s_branch .LBB118_2192
.LBB118_2188:
	s_mov_b32 s0, -1
                                        ; implicit-def: $vgpr6_vgpr7
.LBB118_2189:
	s_delay_alu instid0(SALU_CYCLE_1)
	s_and_not1_b32 vcc_lo, exec_lo, s0
	s_cbranch_vccnz .LBB118_2191
; %bb.2190:
	global_load_b32 v6, v[2:3], off
	s_waitcnt vmcnt(0)
	v_cvt_f64_i32_e32 v[6:7], v6
.LBB118_2191:
	s_mov_b32 s0, 0
.LBB118_2192:
	s_delay_alu instid0(SALU_CYCLE_1)
	s_and_not1_b32 vcc_lo, exec_lo, s0
	s_cbranch_vccnz .LBB118_2194
; %bb.2193:
	global_load_i16 v6, v[2:3], off
	s_waitcnt vmcnt(0)
	v_cvt_f64_i32_e32 v[6:7], v6
.LBB118_2194:
	s_mov_b32 s0, 0
.LBB118_2195:
	s_delay_alu instid0(SALU_CYCLE_1)
	s_and_not1_b32 vcc_lo, exec_lo, s0
	s_cbranch_vccnz .LBB118_2201
; %bb.2196:
	v_cmp_lt_i16_e32 vcc_lo, 0, v12
	s_mov_b32 s0, 0
	s_cbranch_vccz .LBB118_2198
; %bb.2197:
	global_load_i8 v6, v[2:3], off
	s_waitcnt vmcnt(0)
	v_cvt_f64_i32_e32 v[6:7], v6
	s_branch .LBB118_2199
.LBB118_2198:
	s_mov_b32 s0, -1
                                        ; implicit-def: $vgpr6_vgpr7
.LBB118_2199:
	s_delay_alu instid0(SALU_CYCLE_1)
	s_and_not1_b32 vcc_lo, exec_lo, s0
	s_cbranch_vccnz .LBB118_2201
; %bb.2200:
	global_load_u8 v2, v[2:3], off
	s_waitcnt vmcnt(0)
	v_cvt_f64_u32_e32 v[6:7], v2
.LBB118_2201:
	s_mov_b32 s0, -1
.LBB118_2202:
	s_delay_alu instid0(SALU_CYCLE_1)
	s_and_not1_b32 vcc_lo, exec_lo, s0
	s_cbranch_vccnz .LBB118_3036
; %bb.2203:
	v_add_nc_u32_e32 v13, s19, v8
	v_cmp_gt_i16_e32 vcc_lo, 11, v11
	s_delay_alu instid0(VALU_DEP_2) | instskip(SKIP_1) | instid1(VALU_DEP_1)
	v_ashrrev_i32_e32 v3, 31, v13
	v_add_co_u32 v2, s0, s12, v13
	v_add_co_ci_u32_e64 v3, s0, s13, v3, s0
	s_cbranch_vccnz .LBB118_2210
; %bb.2204:
	v_cmp_lt_i16_e32 vcc_lo, 25, v11
	s_mov_b32 s0, 0
	s_cbranch_vccz .LBB118_2211
; %bb.2205:
	v_cmp_lt_i16_e32 vcc_lo, 28, v11
	s_cbranch_vccz .LBB118_2212
; %bb.2206:
	v_cmp_lt_i16_e32 vcc_lo, 43, v11
	;; [unrolled: 3-line block ×3, first 2 shown]
	s_cbranch_vccz .LBB118_2216
; %bb.2208:
	v_cmp_eq_u16_e32 vcc_lo, 46, v11
	s_mov_b32 s21, 0
	s_cbranch_vccz .LBB118_2221
; %bb.2209:
	global_load_b32 v8, v[2:3], off
	s_mov_b32 s1, 0
	s_mov_b32 s20, -1
	s_waitcnt vmcnt(0)
	v_and_b32_e32 v8, 0x7fff7fff, v8
	s_delay_alu instid0(VALU_DEP_1)
	v_cmp_ne_u32_e32 vcc_lo, 0, v8
	s_and_b32 s10, vcc_lo, exec_lo
	s_branch .LBB118_2223
.LBB118_2210:
	s_mov_b32 s0, -1
	s_mov_b32 s20, 0
                                        ; implicit-def: $sgpr10
	s_branch .LBB118_2287
.LBB118_2211:
	s_mov_b32 s21, -1
	s_mov_b32 s20, 0
	s_mov_b32 s1, 0
                                        ; implicit-def: $sgpr10
	s_branch .LBB118_2250
.LBB118_2212:
	s_mov_b32 s21, -1
	s_mov_b32 s20, 0
	s_mov_b32 s1, 0
                                        ; implicit-def: $sgpr10
	s_branch .LBB118_2231
.LBB118_2213:
	s_mov_b32 s21, -1
	s_mov_b32 s20, 0
	s_mov_b32 s1, 0
                                        ; implicit-def: $sgpr10
	s_branch .LBB118_2226
.LBB118_2214:
	s_cbranch_execnz .LBB118_2217
; %bb.2215:
	s_or_b32 s15, s15, exec_lo
                                        ; implicit-def: $vgpr6_vgpr7
	s_cbranch_execz .LBB118_2151
	s_branch .LBB118_2152
.LBB118_2216:
	s_mov_b32 s21, -1
	s_mov_b32 s20, 0
	s_mov_b32 s1, 0
	s_branch .LBB118_2222
.LBB118_2217:
	s_trap 2
	s_sendmsg_rtn_b32 s0, sendmsg(MSG_RTN_GET_DOORBELL)
	s_mov_b32 ttmp2, m0
	s_waitcnt lgkmcnt(0)
	s_and_b32 s0, s0, 0x3ff
	s_delay_alu instid0(SALU_CYCLE_1) | instskip(NEXT) | instid1(SALU_CYCLE_1)
	s_bitset1_b32 s0, 10
	s_mov_b32 m0, s0
	s_sendmsg sendmsg(MSG_INTERRUPT)
	s_mov_b32 m0, ttmp2
.LBB118_2218:                           ; =>This Inner Loop Header: Depth=1
	s_sethalt 5
	s_branch .LBB118_2218
.LBB118_2219:
	s_or_saveexec_b32 s30, s30
                                        ; implicit-def: $sgpr31
	s_delay_alu instid0(SALU_CYCLE_1)
	s_xor_b32 exec_lo, exec_lo, s30
	s_cbranch_execz .LBB118_1077
.LBB118_2220:
	v_add_f32_e64 v3, 0x42800000, |v2|
	s_and_not1_b32 s29, s29, exec_lo
	s_mov_b32 s31, 0
	s_delay_alu instid0(VALU_DEP_1) | instskip(NEXT) | instid1(VALU_DEP_1)
	v_and_b32_e32 v3, 0xff, v3
	v_cmp_ne_u32_e32 vcc_lo, 0, v3
	s_and_b32 s33, vcc_lo, exec_lo
	s_delay_alu instid0(SALU_CYCLE_1)
	s_or_b32 s29, s29, s33
	s_or_b32 exec_lo, exec_lo, s30
	v_mov_b32_e32 v7, s31
	s_and_saveexec_b32 s30, s29
	s_cbranch_execnz .LBB118_1078
	s_branch .LBB118_1079
.LBB118_2221:
	s_mov_b32 s1, -1
	s_mov_b32 s20, 0
.LBB118_2222:
                                        ; implicit-def: $sgpr10
.LBB118_2223:
	s_and_b32 vcc_lo, exec_lo, s21
	s_cbranch_vccz .LBB118_2225
; %bb.2224:
	v_cmp_ne_u16_e64 s1, 44, v11
	s_mov_b32 s20, -1
	s_or_b32 s10, s10, exec_lo
.LBB118_2225:
	s_mov_b32 s21, 0
.LBB118_2226:
	s_delay_alu instid0(SALU_CYCLE_1)
	s_and_b32 vcc_lo, exec_lo, s21
	s_cbranch_vccz .LBB118_2230
; %bb.2227:
	v_cmp_eq_u16_e32 vcc_lo, 29, v11
	s_cbranch_vccz .LBB118_2229
; %bb.2228:
	global_load_b64 v[14:15], v[2:3], off
	s_mov_b32 s1, 0
	s_mov_b32 s20, -1
	s_mov_b32 s21, 0
	s_waitcnt vmcnt(0)
	v_cmp_ne_u64_e32 vcc_lo, 0, v[14:15]
	s_and_b32 s10, vcc_lo, exec_lo
	s_branch .LBB118_2231
.LBB118_2229:
	s_mov_b32 s1, -1
                                        ; implicit-def: $sgpr10
.LBB118_2230:
	s_mov_b32 s21, 0
.LBB118_2231:
	s_delay_alu instid0(SALU_CYCLE_1)
	s_and_b32 vcc_lo, exec_lo, s21
	s_cbranch_vccz .LBB118_2249
; %bb.2232:
	v_cmp_gt_i16_e32 vcc_lo, 27, v11
	s_cbranch_vccnz .LBB118_2235
; %bb.2233:
	v_cmp_lt_i16_e32 vcc_lo, 27, v11
	s_cbranch_vccz .LBB118_2236
; %bb.2234:
	global_load_b32 v8, v[2:3], off
	s_mov_b32 s20, 0
	s_waitcnt vmcnt(0)
	v_cmp_ne_u32_e32 vcc_lo, 0, v8
	s_and_b32 s10, vcc_lo, exec_lo
	s_branch .LBB118_2237
.LBB118_2235:
	s_mov_b32 s20, -1
                                        ; implicit-def: $sgpr10
	s_branch .LBB118_2240
.LBB118_2236:
	s_mov_b32 s20, -1
                                        ; implicit-def: $sgpr10
.LBB118_2237:
	s_delay_alu instid0(SALU_CYCLE_1)
	s_and_not1_b32 vcc_lo, exec_lo, s20
	s_cbranch_vccnz .LBB118_2239
; %bb.2238:
	global_load_u16 v8, v[2:3], off
	s_and_not1_b32 s10, s10, exec_lo
	s_waitcnt vmcnt(0)
	v_cmp_ne_u16_e32 vcc_lo, 0, v8
	s_and_b32 s20, vcc_lo, exec_lo
	s_delay_alu instid0(SALU_CYCLE_1)
	s_or_b32 s10, s10, s20
.LBB118_2239:
	s_mov_b32 s20, 0
.LBB118_2240:
	s_delay_alu instid0(SALU_CYCLE_1)
	s_and_not1_b32 vcc_lo, exec_lo, s20
	s_cbranch_vccnz .LBB118_2248
; %bb.2241:
	global_load_u8 v8, v[2:3], off
	s_mov_b32 s20, 0
	s_mov_b32 s21, exec_lo
                                        ; implicit-def: $sgpr10
	s_waitcnt vmcnt(0)
	v_cmpx_lt_i16_e32 0x7f, v8
	s_xor_b32 s21, exec_lo, s21
	s_cbranch_execz .LBB118_2262
; %bb.2242:
	s_mov_b32 s20, -1
	s_mov_b32 s22, exec_lo
                                        ; implicit-def: $sgpr10
	v_cmpx_eq_u16_e32 0x80, v8
; %bb.2243:
	s_mov_b32 s10, -1
	s_xor_b32 s20, exec_lo, -1
; %bb.2244:
	s_or_b32 exec_lo, exec_lo, s22
	s_delay_alu instid0(SALU_CYCLE_1)
	s_and_b32 s20, s20, exec_lo
	s_and_not1_saveexec_b32 s21, s21
	s_cbranch_execnz .LBB118_2263
.LBB118_2245:
	s_or_b32 exec_lo, exec_lo, s21
	s_and_saveexec_b32 s21, s20
	s_cbranch_execz .LBB118_2247
.LBB118_2246:
	v_and_b32_e32 v8, 0xffff, v8
	s_and_not1_b32 s10, s10, exec_lo
	s_delay_alu instid0(VALU_DEP_1) | instskip(NEXT) | instid1(VALU_DEP_1)
	v_and_b32_e32 v14, 7, v8
	v_clz_i32_u32_e32 v15, v14
	s_delay_alu instid0(VALU_DEP_1) | instskip(NEXT) | instid1(VALU_DEP_1)
	v_min_u32_e32 v15, 32, v15
	v_subrev_nc_u32_e32 v16, 28, v15
	v_sub_nc_u32_e32 v15, 29, v15
	s_delay_alu instid0(VALU_DEP_2) | instskip(SKIP_1) | instid1(VALU_DEP_2)
	v_lshlrev_b32_e32 v16, v16, v8
	v_bfe_u32 v8, v8, 3, 4
	v_and_b32_e32 v16, 7, v16
	s_delay_alu instid0(VALU_DEP_2) | instskip(SKIP_1) | instid1(VALU_DEP_3)
	v_cmp_eq_u32_e32 vcc_lo, 0, v8
	v_cndmask_b32_e32 v8, v8, v15, vcc_lo
	v_cndmask_b32_e32 v14, v14, v16, vcc_lo
	s_delay_alu instid0(VALU_DEP_2) | instskip(NEXT) | instid1(VALU_DEP_2)
	v_lshl_add_u32 v8, v8, 23, 0x3b800000
	v_lshlrev_b32_e32 v14, 20, v14
	s_delay_alu instid0(VALU_DEP_1) | instskip(NEXT) | instid1(VALU_DEP_1)
	v_and_or_b32 v8, 0x7f800000, v8, v14
	v_cmp_ne_u32_e32 vcc_lo, 0, v8
	s_and_b32 s20, vcc_lo, exec_lo
	s_delay_alu instid0(SALU_CYCLE_1)
	s_or_b32 s10, s10, s20
.LBB118_2247:
	s_or_b32 exec_lo, exec_lo, s21
.LBB118_2248:
	s_mov_b32 s20, -1
.LBB118_2249:
	s_mov_b32 s21, 0
.LBB118_2250:
	s_delay_alu instid0(SALU_CYCLE_1)
	s_and_b32 vcc_lo, exec_lo, s21
	s_cbranch_vccz .LBB118_2283
; %bb.2251:
	v_cmp_lt_i16_e32 vcc_lo, 22, v11
	s_cbranch_vccz .LBB118_2261
; %bb.2252:
	v_cmp_gt_i16_e32 vcc_lo, 24, v11
	s_cbranch_vccnz .LBB118_2264
; %bb.2253:
	v_cmp_lt_i16_e32 vcc_lo, 24, v11
	s_cbranch_vccz .LBB118_2265
; %bb.2254:
	global_load_u8 v8, v[2:3], off
	s_mov_b32 s20, exec_lo
                                        ; implicit-def: $sgpr10
	s_waitcnt vmcnt(0)
	v_cmpx_lt_i16_e32 0x7f, v8
	s_xor_b32 s20, exec_lo, s20
	s_cbranch_execz .LBB118_2277
; %bb.2255:
	s_mov_b32 s0, -1
	s_mov_b32 s21, exec_lo
                                        ; implicit-def: $sgpr10
	v_cmpx_eq_u16_e32 0x80, v8
; %bb.2256:
	s_mov_b32 s10, -1
	s_xor_b32 s0, exec_lo, -1
; %bb.2257:
	s_or_b32 exec_lo, exec_lo, s21
	s_delay_alu instid0(SALU_CYCLE_1)
	s_and_b32 s0, s0, exec_lo
	s_and_not1_saveexec_b32 s20, s20
	s_cbranch_execnz .LBB118_2278
.LBB118_2258:
	s_or_b32 exec_lo, exec_lo, s20
	s_and_saveexec_b32 s20, s0
	s_cbranch_execz .LBB118_2260
.LBB118_2259:
	v_and_b32_e32 v8, 0xffff, v8
	s_and_not1_b32 s0, s10, exec_lo
	s_delay_alu instid0(VALU_DEP_1) | instskip(NEXT) | instid1(VALU_DEP_1)
	v_and_b32_e32 v14, 3, v8
	v_clz_i32_u32_e32 v15, v14
	s_delay_alu instid0(VALU_DEP_1) | instskip(NEXT) | instid1(VALU_DEP_1)
	v_min_u32_e32 v15, 32, v15
	v_subrev_nc_u32_e32 v16, 29, v15
	v_sub_nc_u32_e32 v15, 30, v15
	s_delay_alu instid0(VALU_DEP_2) | instskip(SKIP_1) | instid1(VALU_DEP_2)
	v_lshlrev_b32_e32 v16, v16, v8
	v_bfe_u32 v8, v8, 2, 5
	v_and_b32_e32 v16, 3, v16
	s_delay_alu instid0(VALU_DEP_2) | instskip(SKIP_1) | instid1(VALU_DEP_3)
	v_cmp_eq_u32_e32 vcc_lo, 0, v8
	v_cndmask_b32_e32 v8, v8, v15, vcc_lo
	v_cndmask_b32_e32 v14, v14, v16, vcc_lo
	s_delay_alu instid0(VALU_DEP_2) | instskip(NEXT) | instid1(VALU_DEP_2)
	v_lshl_add_u32 v8, v8, 23, 0x37800000
	v_lshlrev_b32_e32 v14, 21, v14
	s_delay_alu instid0(VALU_DEP_1) | instskip(NEXT) | instid1(VALU_DEP_1)
	v_and_or_b32 v8, 0x7f800000, v8, v14
	v_cmp_ne_u32_e32 vcc_lo, 0, v8
	s_and_b32 s10, vcc_lo, exec_lo
	s_delay_alu instid0(SALU_CYCLE_1)
	s_or_b32 s10, s0, s10
.LBB118_2260:
	s_or_b32 exec_lo, exec_lo, s20
	s_mov_b32 s0, 0
	s_branch .LBB118_2266
.LBB118_2261:
	s_mov_b32 s0, -1
                                        ; implicit-def: $sgpr10
	s_branch .LBB118_2272
.LBB118_2262:
	s_and_not1_saveexec_b32 s21, s21
	s_cbranch_execz .LBB118_2245
.LBB118_2263:
	v_cmp_ne_u16_e32 vcc_lo, 0, v8
	s_and_not1_b32 s20, s20, exec_lo
	s_and_not1_b32 s10, s10, exec_lo
	s_and_b32 s22, vcc_lo, exec_lo
	s_delay_alu instid0(SALU_CYCLE_1)
	s_or_b32 s20, s20, s22
	s_or_b32 exec_lo, exec_lo, s21
	s_and_saveexec_b32 s21, s20
	s_cbranch_execnz .LBB118_2246
	s_branch .LBB118_2247
.LBB118_2264:
	s_mov_b32 s0, -1
                                        ; implicit-def: $sgpr10
	s_branch .LBB118_2269
.LBB118_2265:
	s_mov_b32 s0, -1
                                        ; implicit-def: $sgpr10
.LBB118_2266:
	s_delay_alu instid0(SALU_CYCLE_1)
	s_and_b32 vcc_lo, exec_lo, s0
	s_cbranch_vccz .LBB118_2268
; %bb.2267:
	global_load_u8 v8, v[2:3], off
	s_and_not1_b32 s10, s10, exec_lo
	s_waitcnt vmcnt(0)
	v_lshlrev_b32_e32 v8, 24, v8
	s_delay_alu instid0(VALU_DEP_1) | instskip(NEXT) | instid1(VALU_DEP_1)
	v_and_b32_e32 v8, 0x7f000000, v8
	v_clz_i32_u32_e32 v14, v8
	v_add_nc_u32_e32 v16, 0x1000000, v8
	v_cmp_ne_u32_e32 vcc_lo, 0, v8
	s_delay_alu instid0(VALU_DEP_3) | instskip(NEXT) | instid1(VALU_DEP_3)
	v_min_u32_e32 v14, 32, v14
	v_ashrrev_i32_e32 v16, 8, v16
	s_delay_alu instid0(VALU_DEP_2) | instskip(NEXT) | instid1(VALU_DEP_1)
	v_sub_nc_u32_e64 v14, v14, 4 clamp
	v_lshlrev_b32_e32 v15, v14, v8
	v_lshlrev_b32_e32 v14, 23, v14
	s_delay_alu instid0(VALU_DEP_2) | instskip(NEXT) | instid1(VALU_DEP_1)
	v_lshrrev_b32_e32 v15, 4, v15
	v_sub_nc_u32_e32 v14, v15, v14
	v_and_b32_e32 v15, 0x7f800000, v16
	s_delay_alu instid0(VALU_DEP_2) | instskip(NEXT) | instid1(VALU_DEP_1)
	v_add_nc_u32_e32 v14, 0x3c000000, v14
	v_and_or_b32 v14, 0x7ff00000, v14, v15
	s_delay_alu instid0(VALU_DEP_1) | instskip(NEXT) | instid1(VALU_DEP_1)
	v_cmp_ne_u32_e64 s0, 0, v14
	s_and_b32 s0, vcc_lo, s0
	s_delay_alu instid0(SALU_CYCLE_1) | instskip(NEXT) | instid1(SALU_CYCLE_1)
	s_and_b32 s0, s0, exec_lo
	s_or_b32 s10, s10, s0
.LBB118_2268:
	s_mov_b32 s0, 0
.LBB118_2269:
	s_delay_alu instid0(SALU_CYCLE_1)
	s_and_not1_b32 vcc_lo, exec_lo, s0
	s_cbranch_vccnz .LBB118_2271
; %bb.2270:
	global_load_u8 v8, v[2:3], off
	s_and_not1_b32 s0, s10, exec_lo
	s_waitcnt vmcnt(0)
	v_lshlrev_b32_e32 v14, 25, v8
	v_lshlrev_b32_e32 v8, 8, v8
	s_delay_alu instid0(VALU_DEP_2) | instskip(NEXT) | instid1(VALU_DEP_2)
	v_lshrrev_b32_e32 v15, 4, v14
	v_and_or_b32 v8, 0x7f00, v8, 0.5
	s_delay_alu instid0(VALU_DEP_2) | instskip(NEXT) | instid1(VALU_DEP_1)
	v_or_b32_e32 v15, 0x70000000, v15
	v_dual_add_f32 v8, -0.5, v8 :: v_dual_mul_f32 v15, 0x7800000, v15
	v_cmp_gt_u32_e32 vcc_lo, 0x8000000, v14
	s_delay_alu instid0(VALU_DEP_2) | instskip(NEXT) | instid1(VALU_DEP_1)
	v_cndmask_b32_e32 v8, v15, v8, vcc_lo
	v_cmp_neq_f32_e32 vcc_lo, 0, v8
	s_and_b32 s10, vcc_lo, exec_lo
	s_delay_alu instid0(SALU_CYCLE_1)
	s_or_b32 s10, s0, s10
.LBB118_2271:
	s_mov_b32 s0, 0
	s_mov_b32 s20, -1
.LBB118_2272:
	s_and_not1_b32 vcc_lo, exec_lo, s0
	s_mov_b32 s0, 0
	s_cbranch_vccnz .LBB118_2283
; %bb.2273:
	v_cmp_lt_i16_e32 vcc_lo, 14, v11
	s_cbranch_vccz .LBB118_2276
; %bb.2274:
	v_cmp_eq_u16_e32 vcc_lo, 15, v11
	s_cbranch_vccz .LBB118_2279
; %bb.2275:
	global_load_u16 v8, v[2:3], off
	s_mov_b32 s1, 0
	s_mov_b32 s20, -1
	s_waitcnt vmcnt(0)
	v_and_b32_e32 v8, 0x7fff, v8
	s_delay_alu instid0(VALU_DEP_1)
	v_cmp_ne_u16_e32 vcc_lo, 0, v8
	s_and_b32 s10, vcc_lo, exec_lo
	s_branch .LBB118_2281
.LBB118_2276:
	s_mov_b32 s0, -1
	s_branch .LBB118_2280
.LBB118_2277:
	s_and_not1_saveexec_b32 s20, s20
	s_cbranch_execz .LBB118_2258
.LBB118_2278:
	v_cmp_ne_u16_e32 vcc_lo, 0, v8
	s_and_not1_b32 s0, s0, exec_lo
	s_and_not1_b32 s10, s10, exec_lo
	s_and_b32 s21, vcc_lo, exec_lo
	s_delay_alu instid0(SALU_CYCLE_1)
	s_or_b32 s0, s0, s21
	s_or_b32 exec_lo, exec_lo, s20
	s_and_saveexec_b32 s20, s0
	s_cbranch_execnz .LBB118_2259
	s_branch .LBB118_2260
.LBB118_2279:
	s_mov_b32 s1, -1
.LBB118_2280:
                                        ; implicit-def: $sgpr10
.LBB118_2281:
	s_and_b32 vcc_lo, exec_lo, s0
	s_mov_b32 s0, 0
	s_cbranch_vccz .LBB118_2283
; %bb.2282:
	v_cmp_ne_u16_e64 s1, 11, v11
	s_mov_b32 s0, -1
	s_and_not1_b32 s10, s10, exec_lo
.LBB118_2283:
	s_delay_alu instid0(VALU_DEP_1)
	s_and_b32 vcc_lo, exec_lo, s1
	s_cbranch_vccnz .LBB118_2348
; %bb.2284:
	s_and_not1_b32 vcc_lo, exec_lo, s0
	s_cbranch_vccnz .LBB118_2286
.LBB118_2285:
	global_load_u8 v8, v[2:3], off
	s_and_not1_b32 s0, s10, exec_lo
	s_mov_b32 s20, -1
	s_waitcnt vmcnt(0)
	v_cmp_ne_u16_e32 vcc_lo, 0, v8
	s_and_b32 s1, vcc_lo, exec_lo
	s_delay_alu instid0(SALU_CYCLE_1)
	s_or_b32 s10, s0, s1
.LBB118_2286:
	s_mov_b32 s0, 0
.LBB118_2287:
	s_delay_alu instid0(SALU_CYCLE_1)
	s_and_b32 vcc_lo, exec_lo, s0
	s_cbranch_vccz .LBB118_2336
; %bb.2288:
	v_cmp_gt_i16_e32 vcc_lo, 5, v11
	s_cbranch_vccnz .LBB118_2293
; %bb.2289:
	v_cmp_gt_i16_e32 vcc_lo, 8, v11
	s_cbranch_vccnz .LBB118_2294
	;; [unrolled: 3-line block ×3, first 2 shown]
; %bb.2291:
	v_cmp_lt_i16_e32 vcc_lo, 9, v11
	s_cbranch_vccz .LBB118_2296
; %bb.2292:
	global_load_b128 v[14:17], v[2:3], off
	s_waitcnt vmcnt(0)
	v_cmp_neq_f64_e32 vcc_lo, 0, v[14:15]
	v_cmp_neq_f64_e64 s0, 0, v[16:17]
	s_delay_alu instid0(VALU_DEP_1)
	s_or_b32 s1, vcc_lo, s0
	s_mov_b32 s0, 0
	s_and_b32 s10, s1, exec_lo
	s_branch .LBB118_2297
.LBB118_2293:
	s_mov_b32 s0, -1
                                        ; implicit-def: $sgpr10
	s_branch .LBB118_2315
.LBB118_2294:
	s_mov_b32 s0, -1
                                        ; implicit-def: $sgpr10
	s_branch .LBB118_2303
.LBB118_2295:
	s_mov_b32 s0, -1
                                        ; implicit-def: $sgpr10
	s_branch .LBB118_2300
.LBB118_2296:
	s_mov_b32 s0, -1
                                        ; implicit-def: $sgpr10
.LBB118_2297:
	s_delay_alu instid0(SALU_CYCLE_1)
	s_and_not1_b32 vcc_lo, exec_lo, s0
	s_cbranch_vccnz .LBB118_2299
; %bb.2298:
	global_load_b64 v[14:15], v[2:3], off
	s_and_not1_b32 s0, s10, exec_lo
	s_waitcnt vmcnt(0)
	v_or_b32_e32 v8, v14, v15
	s_delay_alu instid0(VALU_DEP_1) | instskip(NEXT) | instid1(VALU_DEP_1)
	v_and_b32_e32 v8, 0x7fffffff, v8
	v_cmp_ne_u32_e32 vcc_lo, 0, v8
	s_and_b32 s1, vcc_lo, exec_lo
	s_delay_alu instid0(SALU_CYCLE_1)
	s_or_b32 s10, s0, s1
.LBB118_2299:
	s_mov_b32 s0, 0
.LBB118_2300:
	s_delay_alu instid0(SALU_CYCLE_1)
	s_and_not1_b32 vcc_lo, exec_lo, s0
	s_cbranch_vccnz .LBB118_2302
; %bb.2301:
	global_load_b32 v8, v[2:3], off
	s_and_not1_b32 s0, s10, exec_lo
	s_waitcnt vmcnt(0)
	v_and_b32_e32 v8, 0x7fff7fff, v8
	s_delay_alu instid0(VALU_DEP_1) | instskip(SKIP_1) | instid1(SALU_CYCLE_1)
	v_cmp_ne_u32_e32 vcc_lo, 0, v8
	s_and_b32 s1, vcc_lo, exec_lo
	s_or_b32 s10, s0, s1
.LBB118_2302:
	s_mov_b32 s0, 0
.LBB118_2303:
	s_delay_alu instid0(SALU_CYCLE_1)
	s_and_not1_b32 vcc_lo, exec_lo, s0
	s_cbranch_vccnz .LBB118_2314
; %bb.2304:
	v_cmp_gt_i16_e32 vcc_lo, 6, v11
	s_cbranch_vccnz .LBB118_2307
; %bb.2305:
	v_cmp_lt_i16_e32 vcc_lo, 6, v11
	s_cbranch_vccz .LBB118_2308
; %bb.2306:
	global_load_b64 v[14:15], v[2:3], off
	s_mov_b32 s0, 0
	s_waitcnt vmcnt(0)
	v_cmp_neq_f64_e32 vcc_lo, 0, v[14:15]
	s_and_b32 s10, vcc_lo, exec_lo
	s_branch .LBB118_2309
.LBB118_2307:
	s_mov_b32 s0, -1
                                        ; implicit-def: $sgpr10
	s_branch .LBB118_2312
.LBB118_2308:
	s_mov_b32 s0, -1
                                        ; implicit-def: $sgpr10
.LBB118_2309:
	s_delay_alu instid0(SALU_CYCLE_1)
	s_and_not1_b32 vcc_lo, exec_lo, s0
	s_cbranch_vccnz .LBB118_2311
; %bb.2310:
	global_load_b32 v8, v[2:3], off
	s_and_not1_b32 s0, s10, exec_lo
	s_waitcnt vmcnt(0)
	v_cmp_neq_f32_e32 vcc_lo, 0, v8
	s_and_b32 s1, vcc_lo, exec_lo
	s_delay_alu instid0(SALU_CYCLE_1)
	s_or_b32 s10, s0, s1
.LBB118_2311:
	s_mov_b32 s0, 0
.LBB118_2312:
	s_delay_alu instid0(SALU_CYCLE_1)
	s_and_not1_b32 vcc_lo, exec_lo, s0
	s_cbranch_vccnz .LBB118_2314
; %bb.2313:
	global_load_u16 v8, v[2:3], off
	s_and_not1_b32 s0, s10, exec_lo
	s_waitcnt vmcnt(0)
	v_and_b32_e32 v8, 0x7fff, v8
	s_delay_alu instid0(VALU_DEP_1) | instskip(SKIP_1) | instid1(SALU_CYCLE_1)
	v_cmp_ne_u16_e32 vcc_lo, 0, v8
	s_and_b32 s1, vcc_lo, exec_lo
	s_or_b32 s10, s0, s1
.LBB118_2314:
	s_mov_b32 s0, 0
.LBB118_2315:
	s_delay_alu instid0(SALU_CYCLE_1)
	s_and_not1_b32 vcc_lo, exec_lo, s0
	s_cbranch_vccnz .LBB118_2335
; %bb.2316:
	v_cmp_gt_i16_e32 vcc_lo, 2, v11
	s_cbranch_vccnz .LBB118_2320
; %bb.2317:
	v_cmp_gt_i16_e32 vcc_lo, 3, v11
	s_cbranch_vccnz .LBB118_2321
; %bb.2318:
	v_cmp_lt_i16_e32 vcc_lo, 3, v11
	s_cbranch_vccz .LBB118_2322
; %bb.2319:
	global_load_b64 v[14:15], v[2:3], off
	s_mov_b32 s0, 0
	s_waitcnt vmcnt(0)
	v_cmp_ne_u64_e32 vcc_lo, 0, v[14:15]
	s_and_b32 s10, vcc_lo, exec_lo
	s_branch .LBB118_2323
.LBB118_2320:
	s_mov_b32 s0, -1
                                        ; implicit-def: $sgpr10
	s_branch .LBB118_2329
.LBB118_2321:
	s_mov_b32 s0, -1
                                        ; implicit-def: $sgpr10
	s_branch .LBB118_2326
.LBB118_2322:
	s_mov_b32 s0, -1
                                        ; implicit-def: $sgpr10
.LBB118_2323:
	s_delay_alu instid0(SALU_CYCLE_1)
	s_and_not1_b32 vcc_lo, exec_lo, s0
	s_cbranch_vccnz .LBB118_2325
; %bb.2324:
	global_load_b32 v8, v[2:3], off
	s_and_not1_b32 s0, s10, exec_lo
	s_waitcnt vmcnt(0)
	v_cmp_ne_u32_e32 vcc_lo, 0, v8
	s_and_b32 s1, vcc_lo, exec_lo
	s_delay_alu instid0(SALU_CYCLE_1)
	s_or_b32 s10, s0, s1
.LBB118_2325:
	s_mov_b32 s0, 0
.LBB118_2326:
	s_delay_alu instid0(SALU_CYCLE_1)
	s_and_not1_b32 vcc_lo, exec_lo, s0
	s_cbranch_vccnz .LBB118_2328
; %bb.2327:
	global_load_u16 v8, v[2:3], off
	s_and_not1_b32 s0, s10, exec_lo
	s_waitcnt vmcnt(0)
	v_cmp_ne_u16_e32 vcc_lo, 0, v8
	s_and_b32 s1, vcc_lo, exec_lo
	s_delay_alu instid0(SALU_CYCLE_1)
	s_or_b32 s10, s0, s1
.LBB118_2328:
	s_mov_b32 s0, 0
.LBB118_2329:
	s_delay_alu instid0(SALU_CYCLE_1)
	s_and_not1_b32 vcc_lo, exec_lo, s0
	s_cbranch_vccnz .LBB118_2335
; %bb.2330:
	v_cmp_lt_i16_e32 vcc_lo, 0, v11
	s_mov_b32 s0, 0
	s_cbranch_vccz .LBB118_2332
; %bb.2331:
	global_load_u8 v8, v[2:3], off
	s_waitcnt vmcnt(0)
	v_cmp_ne_u16_e32 vcc_lo, 0, v8
	s_and_b32 s10, vcc_lo, exec_lo
	s_branch .LBB118_2333
.LBB118_2332:
	s_mov_b32 s0, -1
                                        ; implicit-def: $sgpr10
.LBB118_2333:
	s_delay_alu instid0(SALU_CYCLE_1)
	s_and_not1_b32 vcc_lo, exec_lo, s0
	s_cbranch_vccnz .LBB118_2335
; %bb.2334:
	global_load_u8 v2, v[2:3], off
	s_and_not1_b32 s0, s10, exec_lo
	s_waitcnt vmcnt(0)
	v_cmp_ne_u16_e32 vcc_lo, 0, v2
	s_and_b32 s1, vcc_lo, exec_lo
	s_delay_alu instid0(SALU_CYCLE_1)
	s_or_b32 s10, s0, s1
.LBB118_2335:
	s_mov_b32 s20, -1
.LBB118_2336:
	s_delay_alu instid0(SALU_CYCLE_1)
	s_and_not1_b32 vcc_lo, exec_lo, s20
	s_cbranch_vccnz .LBB118_3036
; %bb.2337:
	v_add_nc_u32_e32 v2, s16, v9
	v_cmp_gt_i16_e32 vcc_lo, 11, v12
	s_delay_alu instid0(VALU_DEP_2) | instskip(SKIP_1) | instid1(VALU_DEP_1)
	v_ashrrev_i32_e32 v3, 31, v2
	v_add_co_u32 v2, s0, s6, v2
	v_add_co_ci_u32_e64 v3, s0, s7, v3, s0
	s_cbranch_vccnz .LBB118_2344
; %bb.2338:
	v_cmp_lt_i16_e32 vcc_lo, 25, v12
	s_mov_b32 s7, 0
	s_cbranch_vccz .LBB118_2345
; %bb.2339:
	v_cmp_lt_i16_e32 vcc_lo, 28, v12
	s_cbranch_vccz .LBB118_2346
; %bb.2340:
	v_cmp_lt_i16_e32 vcc_lo, 43, v12
	;; [unrolled: 3-line block ×3, first 2 shown]
	s_cbranch_vccz .LBB118_2350
; %bb.2342:
	v_cmp_eq_u16_e32 vcc_lo, 46, v12
	s_mov_b32 s1, 0
	s_cbranch_vccz .LBB118_2353
; %bb.2343:
	global_load_b32 v8, v[2:3], off
	s_mov_b32 s6, 0
	s_mov_b32 s0, -1
	s_waitcnt vmcnt(0)
	v_lshlrev_b32_e32 v8, 16, v8
	s_delay_alu instid0(VALU_DEP_1)
	v_cvt_f64_f32_e32 v[8:9], v8
	s_branch .LBB118_2355
.LBB118_2344:
	s_mov_b32 s1, -1
	s_mov_b32 s0, 0
                                        ; implicit-def: $vgpr8_vgpr9
	s_branch .LBB118_2421
.LBB118_2345:
	s_mov_b32 s1, -1
	s_mov_b32 s0, 0
	s_mov_b32 s6, 0
                                        ; implicit-def: $vgpr8_vgpr9
	s_branch .LBB118_2386
.LBB118_2346:
	s_mov_b32 s1, -1
	s_mov_b32 s0, 0
	s_mov_b32 s6, 0
                                        ; implicit-def: $vgpr8_vgpr9
	s_branch .LBB118_2365
.LBB118_2347:
	s_mov_b32 s1, -1
	s_mov_b32 s0, 0
	s_mov_b32 s6, 0
                                        ; implicit-def: $vgpr8_vgpr9
	s_branch .LBB118_2360
.LBB118_2348:
	s_cbranch_execnz .LBB118_2351
; %bb.2349:
	s_mov_b32 s20, 0
	s_and_not1_b32 s10, s10, exec_lo
	s_or_b32 s15, s15, exec_lo
	s_cbranch_execz .LBB118_2285
	s_branch .LBB118_2286
.LBB118_2350:
	s_mov_b32 s1, -1
	s_mov_b32 s0, 0
	s_mov_b32 s6, 0
	s_branch .LBB118_2354
.LBB118_2351:
	s_trap 2
	s_sendmsg_rtn_b32 s0, sendmsg(MSG_RTN_GET_DOORBELL)
	s_mov_b32 ttmp2, m0
	s_waitcnt lgkmcnt(0)
	s_and_b32 s0, s0, 0x3ff
	s_delay_alu instid0(SALU_CYCLE_1) | instskip(NEXT) | instid1(SALU_CYCLE_1)
	s_bitset1_b32 s0, 10
	s_mov_b32 m0, s0
	s_sendmsg sendmsg(MSG_INTERRUPT)
	s_mov_b32 m0, ttmp2
.LBB118_2352:                           ; =>This Inner Loop Header: Depth=1
	s_sethalt 5
	s_branch .LBB118_2352
.LBB118_2353:
	s_mov_b32 s6, -1
	s_mov_b32 s0, 0
.LBB118_2354:
                                        ; implicit-def: $vgpr8_vgpr9
.LBB118_2355:
	s_and_b32 vcc_lo, exec_lo, s1
	s_cbranch_vccz .LBB118_2359
; %bb.2356:
	v_cmp_eq_u16_e32 vcc_lo, 44, v12
	s_cbranch_vccz .LBB118_2358
; %bb.2357:
	global_load_u8 v14, v[2:3], off
	s_mov_b32 s6, 0
	s_mov_b32 s0, -1
	s_waitcnt vmcnt(0)
	v_cmp_ne_u32_e32 vcc_lo, 0xff, v14
	v_lshlrev_b32_e32 v8, 23, v14
	s_delay_alu instid0(VALU_DEP_1) | instskip(NEXT) | instid1(VALU_DEP_1)
	v_cvt_f64_f32_e32 v[8:9], v8
	v_cndmask_b32_e32 v9, 0x7ff80000, v9, vcc_lo
	s_delay_alu instid0(VALU_DEP_2) | instskip(SKIP_1) | instid1(VALU_DEP_3)
	v_cndmask_b32_e32 v8, 0x20000000, v8, vcc_lo
	v_cmp_ne_u32_e32 vcc_lo, 0, v14
	v_cndmask_b32_e32 v9, 0x38000000, v9, vcc_lo
	s_delay_alu instid0(VALU_DEP_3)
	v_cndmask_b32_e32 v8, 0, v8, vcc_lo
	s_branch .LBB118_2359
.LBB118_2358:
	s_mov_b32 s6, -1
                                        ; implicit-def: $vgpr8_vgpr9
.LBB118_2359:
	s_mov_b32 s1, 0
.LBB118_2360:
	s_delay_alu instid0(SALU_CYCLE_1)
	s_and_b32 vcc_lo, exec_lo, s1
	s_cbranch_vccz .LBB118_2364
; %bb.2361:
	v_cmp_eq_u16_e32 vcc_lo, 29, v12
	s_cbranch_vccz .LBB118_2363
; %bb.2362:
	global_load_b64 v[8:9], v[2:3], off
	s_mov_b32 s6, 0
	s_mov_b32 s0, -1
	s_mov_b32 s1, 0
	s_waitcnt vmcnt(0)
	v_cvt_f64_u32_e32 v[14:15], v9
	v_cvt_f64_u32_e32 v[8:9], v8
	s_delay_alu instid0(VALU_DEP_2) | instskip(NEXT) | instid1(VALU_DEP_1)
	v_ldexp_f64 v[14:15], v[14:15], 32
	v_add_f64 v[8:9], v[14:15], v[8:9]
	s_branch .LBB118_2365
.LBB118_2363:
	s_mov_b32 s6, -1
                                        ; implicit-def: $vgpr8_vgpr9
.LBB118_2364:
	s_mov_b32 s1, 0
.LBB118_2365:
	s_delay_alu instid0(SALU_CYCLE_1)
	s_and_b32 vcc_lo, exec_lo, s1
	s_cbranch_vccz .LBB118_2385
; %bb.2366:
	v_cmp_gt_i16_e32 vcc_lo, 27, v12
	s_cbranch_vccnz .LBB118_2369
; %bb.2367:
	v_cmp_lt_i16_e32 vcc_lo, 27, v12
	s_cbranch_vccz .LBB118_2370
; %bb.2368:
	global_load_b32 v8, v[2:3], off
	s_mov_b32 s0, 0
	s_waitcnt vmcnt(0)
	v_cvt_f64_u32_e32 v[8:9], v8
	s_branch .LBB118_2371
.LBB118_2369:
	s_mov_b32 s0, -1
                                        ; implicit-def: $vgpr8_vgpr9
	s_branch .LBB118_2374
.LBB118_2370:
	s_mov_b32 s0, -1
                                        ; implicit-def: $vgpr8_vgpr9
.LBB118_2371:
	s_delay_alu instid0(SALU_CYCLE_1)
	s_and_not1_b32 vcc_lo, exec_lo, s0
	s_cbranch_vccnz .LBB118_2373
; %bb.2372:
	global_load_u16 v8, v[2:3], off
	s_waitcnt vmcnt(0)
	v_cvt_f64_u32_e32 v[8:9], v8
.LBB118_2373:
	s_mov_b32 s0, 0
.LBB118_2374:
	s_delay_alu instid0(SALU_CYCLE_1)
	s_and_not1_b32 vcc_lo, exec_lo, s0
	s_cbranch_vccnz .LBB118_2384
; %bb.2375:
	global_load_u8 v14, v[2:3], off
	s_mov_b32 s16, 0
	s_mov_b32 s20, exec_lo
                                        ; implicit-def: $sgpr0_sgpr1
	s_waitcnt vmcnt(0)
	v_cmpx_lt_i16_e32 0x7f, v14
	s_xor_b32 s20, exec_lo, s20
	s_cbranch_execz .LBB118_2379
; %bb.2376:
	s_mov_b32 s21, -1
	s_mov_b32 s16, exec_lo
                                        ; implicit-def: $sgpr0_sgpr1
	v_cmpx_eq_u16_e32 0x80, v14
; %bb.2377:
	s_mov_b32 s1, 0x7ff80000
	s_brev_b32 s0, 4
	s_xor_b32 s21, exec_lo, -1
; %bb.2378:
	s_or_b32 exec_lo, exec_lo, s16
	s_delay_alu instid0(SALU_CYCLE_1)
	s_and_b32 s16, s21, exec_lo
.LBB118_2379:
	s_or_saveexec_b32 s20, s20
	v_dual_mov_b32 v9, s1 :: v_dual_mov_b32 v8, s0
	s_xor_b32 exec_lo, exec_lo, s20
; %bb.2380:
	v_cmp_ne_u16_e32 vcc_lo, 0, v14
	v_mov_b32_e32 v8, 0
	v_mov_b32_e32 v9, 0
	s_and_not1_b32 s0, s16, exec_lo
	s_and_b32 s1, vcc_lo, exec_lo
	s_delay_alu instid0(SALU_CYCLE_1)
	s_or_b32 s16, s0, s1
; %bb.2381:
	s_or_b32 exec_lo, exec_lo, s20
	s_and_saveexec_b32 s0, s16
	s_cbranch_execz .LBB118_2383
; %bb.2382:
	v_and_b32_e32 v8, 0xffff, v14
	v_lshlrev_b32_e32 v14, 24, v14
	s_delay_alu instid0(VALU_DEP_2) | instskip(NEXT) | instid1(VALU_DEP_2)
	v_and_b32_e32 v9, 7, v8
	v_and_b32_e32 v14, 0x80000000, v14
	s_delay_alu instid0(VALU_DEP_2) | instskip(NEXT) | instid1(VALU_DEP_1)
	v_clz_i32_u32_e32 v15, v9
	v_min_u32_e32 v15, 32, v15
	s_delay_alu instid0(VALU_DEP_1) | instskip(SKIP_1) | instid1(VALU_DEP_2)
	v_subrev_nc_u32_e32 v16, 28, v15
	v_sub_nc_u32_e32 v15, 29, v15
	v_lshlrev_b32_e32 v16, v16, v8
	v_bfe_u32 v8, v8, 3, 4
	s_delay_alu instid0(VALU_DEP_2) | instskip(NEXT) | instid1(VALU_DEP_2)
	v_and_b32_e32 v16, 7, v16
	v_cmp_eq_u32_e32 vcc_lo, 0, v8
	s_delay_alu instid0(VALU_DEP_2) | instskip(NEXT) | instid1(VALU_DEP_1)
	v_dual_cndmask_b32 v8, v8, v15 :: v_dual_cndmask_b32 v9, v9, v16
	v_lshl_add_u32 v8, v8, 23, 0x3b800000
	s_delay_alu instid0(VALU_DEP_2) | instskip(NEXT) | instid1(VALU_DEP_1)
	v_lshlrev_b32_e32 v9, 20, v9
	v_or3_b32 v8, v14, v8, v9
	s_delay_alu instid0(VALU_DEP_1)
	v_cvt_f64_f32_e32 v[8:9], v8
.LBB118_2383:
	s_or_b32 exec_lo, exec_lo, s0
.LBB118_2384:
	s_mov_b32 s0, -1
.LBB118_2385:
	s_mov_b32 s1, 0
.LBB118_2386:
	s_delay_alu instid0(SALU_CYCLE_1)
	s_and_b32 vcc_lo, exec_lo, s1
	s_cbranch_vccz .LBB118_2417
; %bb.2387:
	v_cmp_lt_i16_e32 vcc_lo, 22, v12
	s_cbranch_vccz .LBB118_2399
; %bb.2388:
	v_cmp_gt_i16_e32 vcc_lo, 24, v12
	s_cbranch_vccnz .LBB118_2400
; %bb.2389:
	v_cmp_lt_i16_e32 vcc_lo, 24, v12
	s_cbranch_vccz .LBB118_2401
; %bb.2390:
	global_load_u8 v14, v[2:3], off
	s_mov_b32 s16, exec_lo
                                        ; implicit-def: $sgpr0_sgpr1
	s_waitcnt vmcnt(0)
	v_cmpx_lt_i16_e32 0x7f, v14
	s_xor_b32 s16, exec_lo, s16
	s_cbranch_execz .LBB118_2394
; %bb.2391:
	s_mov_b32 s20, -1
	s_mov_b32 s7, exec_lo
                                        ; implicit-def: $sgpr0_sgpr1
	v_cmpx_eq_u16_e32 0x80, v14
; %bb.2392:
	s_mov_b32 s1, 0x7ff80000
	s_brev_b32 s0, 4
	s_xor_b32 s20, exec_lo, -1
; %bb.2393:
	s_or_b32 exec_lo, exec_lo, s7
	s_delay_alu instid0(SALU_CYCLE_1)
	s_and_b32 s7, s20, exec_lo
.LBB118_2394:
	s_or_saveexec_b32 s16, s16
	v_dual_mov_b32 v9, s1 :: v_dual_mov_b32 v8, s0
	s_xor_b32 exec_lo, exec_lo, s16
; %bb.2395:
	v_cmp_ne_u16_e32 vcc_lo, 0, v14
	v_mov_b32_e32 v8, 0
	v_mov_b32_e32 v9, 0
	s_and_not1_b32 s0, s7, exec_lo
	s_and_b32 s1, vcc_lo, exec_lo
	s_delay_alu instid0(SALU_CYCLE_1)
	s_or_b32 s7, s0, s1
; %bb.2396:
	s_or_b32 exec_lo, exec_lo, s16
	s_and_saveexec_b32 s0, s7
	s_cbranch_execz .LBB118_2398
; %bb.2397:
	v_and_b32_e32 v8, 0xffff, v14
	v_lshlrev_b32_e32 v14, 24, v14
	s_delay_alu instid0(VALU_DEP_2) | instskip(NEXT) | instid1(VALU_DEP_2)
	v_and_b32_e32 v9, 3, v8
	v_and_b32_e32 v14, 0x80000000, v14
	s_delay_alu instid0(VALU_DEP_2) | instskip(NEXT) | instid1(VALU_DEP_1)
	v_clz_i32_u32_e32 v15, v9
	v_min_u32_e32 v15, 32, v15
	s_delay_alu instid0(VALU_DEP_1) | instskip(SKIP_1) | instid1(VALU_DEP_2)
	v_subrev_nc_u32_e32 v16, 29, v15
	v_sub_nc_u32_e32 v15, 30, v15
	v_lshlrev_b32_e32 v16, v16, v8
	v_bfe_u32 v8, v8, 2, 5
	s_delay_alu instid0(VALU_DEP_2) | instskip(NEXT) | instid1(VALU_DEP_2)
	v_and_b32_e32 v16, 3, v16
	v_cmp_eq_u32_e32 vcc_lo, 0, v8
	s_delay_alu instid0(VALU_DEP_2) | instskip(NEXT) | instid1(VALU_DEP_1)
	v_dual_cndmask_b32 v8, v8, v15 :: v_dual_cndmask_b32 v9, v9, v16
	v_lshl_add_u32 v8, v8, 23, 0x37800000
	s_delay_alu instid0(VALU_DEP_2) | instskip(NEXT) | instid1(VALU_DEP_1)
	v_lshlrev_b32_e32 v9, 21, v9
	v_or3_b32 v8, v14, v8, v9
	s_delay_alu instid0(VALU_DEP_1)
	v_cvt_f64_f32_e32 v[8:9], v8
.LBB118_2398:
	s_or_b32 exec_lo, exec_lo, s0
	s_mov_b32 s0, 0
	s_branch .LBB118_2402
.LBB118_2399:
	s_mov_b32 s1, -1
                                        ; implicit-def: $vgpr8_vgpr9
	s_branch .LBB118_2408
.LBB118_2400:
	s_mov_b32 s0, -1
                                        ; implicit-def: $vgpr8_vgpr9
	s_branch .LBB118_2405
.LBB118_2401:
	s_mov_b32 s0, -1
                                        ; implicit-def: $vgpr8_vgpr9
.LBB118_2402:
	s_delay_alu instid0(SALU_CYCLE_1)
	s_and_b32 vcc_lo, exec_lo, s0
	s_cbranch_vccz .LBB118_2404
; %bb.2403:
	global_load_u8 v8, v[2:3], off
	s_waitcnt vmcnt(0)
	v_lshlrev_b32_e32 v8, 24, v8
	s_delay_alu instid0(VALU_DEP_1) | instskip(NEXT) | instid1(VALU_DEP_1)
	v_and_b32_e32 v9, 0x7f000000, v8
	v_clz_i32_u32_e32 v14, v9
	v_add_nc_u32_e32 v16, 0x1000000, v9
	v_cmp_ne_u32_e32 vcc_lo, 0, v9
	s_delay_alu instid0(VALU_DEP_3) | instskip(NEXT) | instid1(VALU_DEP_1)
	v_min_u32_e32 v14, 32, v14
	v_sub_nc_u32_e64 v14, v14, 4 clamp
	s_delay_alu instid0(VALU_DEP_1) | instskip(SKIP_1) | instid1(VALU_DEP_2)
	v_lshlrev_b32_e32 v15, v14, v9
	v_lshlrev_b32_e32 v14, 23, v14
	v_lshrrev_b32_e32 v15, 4, v15
	s_delay_alu instid0(VALU_DEP_1) | instskip(SKIP_1) | instid1(VALU_DEP_2)
	v_sub_nc_u32_e32 v14, v15, v14
	v_ashrrev_i32_e32 v15, 8, v16
	v_add_nc_u32_e32 v14, 0x3c000000, v14
	s_delay_alu instid0(VALU_DEP_1) | instskip(NEXT) | instid1(VALU_DEP_1)
	v_and_or_b32 v14, 0x7f800000, v15, v14
	v_cndmask_b32_e32 v9, 0, v14, vcc_lo
	s_delay_alu instid0(VALU_DEP_1) | instskip(NEXT) | instid1(VALU_DEP_1)
	v_and_or_b32 v8, 0x80000000, v8, v9
	v_cvt_f64_f32_e32 v[8:9], v8
.LBB118_2404:
	s_mov_b32 s0, 0
.LBB118_2405:
	s_delay_alu instid0(SALU_CYCLE_1)
	s_and_not1_b32 vcc_lo, exec_lo, s0
	s_cbranch_vccnz .LBB118_2407
; %bb.2406:
	global_load_u8 v8, v[2:3], off
	s_waitcnt vmcnt(0)
	v_lshlrev_b32_e32 v9, 25, v8
	v_lshlrev_b16 v8, 8, v8
	s_delay_alu instid0(VALU_DEP_2) | instskip(NEXT) | instid1(VALU_DEP_2)
	v_lshrrev_b32_e32 v14, 4, v9
	v_and_or_b32 v15, 0x7f00, v8, 0.5
	v_bfe_i32 v8, v8, 0, 16
	s_delay_alu instid0(VALU_DEP_3) | instskip(NEXT) | instid1(VALU_DEP_1)
	v_or_b32_e32 v14, 0x70000000, v14
	v_dual_add_f32 v15, -0.5, v15 :: v_dual_mul_f32 v14, 0x7800000, v14
	v_cmp_gt_u32_e32 vcc_lo, 0x8000000, v9
	s_delay_alu instid0(VALU_DEP_2) | instskip(NEXT) | instid1(VALU_DEP_1)
	v_cndmask_b32_e32 v9, v14, v15, vcc_lo
	v_and_or_b32 v8, 0x80000000, v8, v9
	s_delay_alu instid0(VALU_DEP_1)
	v_cvt_f64_f32_e32 v[8:9], v8
.LBB118_2407:
	s_mov_b32 s1, 0
	s_mov_b32 s0, -1
.LBB118_2408:
	s_and_not1_b32 vcc_lo, exec_lo, s1
	s_mov_b32 s7, 0
	s_cbranch_vccnz .LBB118_2417
; %bb.2409:
	v_cmp_lt_i16_e32 vcc_lo, 14, v12
	s_cbranch_vccz .LBB118_2412
; %bb.2410:
	v_cmp_eq_u16_e32 vcc_lo, 15, v12
	s_cbranch_vccz .LBB118_2413
; %bb.2411:
	global_load_u16 v8, v[2:3], off
	s_mov_b32 s6, 0
	s_mov_b32 s0, -1
	s_waitcnt vmcnt(0)
	v_lshlrev_b32_e32 v8, 16, v8
	s_delay_alu instid0(VALU_DEP_1)
	v_cvt_f64_f32_e32 v[8:9], v8
	s_branch .LBB118_2414
.LBB118_2412:
	s_mov_b32 s1, -1
                                        ; implicit-def: $vgpr8_vgpr9
	s_branch .LBB118_2415
.LBB118_2413:
	s_mov_b32 s6, -1
                                        ; implicit-def: $vgpr8_vgpr9
.LBB118_2414:
	s_mov_b32 s1, 0
.LBB118_2415:
	s_delay_alu instid0(SALU_CYCLE_1)
	s_and_b32 vcc_lo, exec_lo, s1
	s_cbranch_vccz .LBB118_2417
; %bb.2416:
	v_cmp_ne_u16_e64 s6, 11, v12
	s_mov_b32 s7, -1
                                        ; implicit-def: $vgpr8_vgpr9
.LBB118_2417:
	s_delay_alu instid0(VALU_DEP_1)
	s_and_b32 vcc_lo, exec_lo, s6
	s_cbranch_vccnz .LBB118_2482
; %bb.2418:
	s_and_not1_b32 vcc_lo, exec_lo, s7
	s_cbranch_vccnz .LBB118_2420
.LBB118_2419:
	global_load_u8 v8, v[2:3], off
	s_mov_b32 s0, -1
	s_waitcnt vmcnt(0)
	v_cmp_ne_u16_e32 vcc_lo, 0, v8
	v_mov_b32_e32 v8, 0
	v_cndmask_b32_e64 v9, 0, 0x3ff00000, vcc_lo
.LBB118_2420:
	s_mov_b32 s1, 0
.LBB118_2421:
	s_delay_alu instid0(SALU_CYCLE_1)
	s_and_b32 vcc_lo, exec_lo, s1
	s_cbranch_vccz .LBB118_2470
; %bb.2422:
	v_cmp_gt_i16_e32 vcc_lo, 5, v12
	s_cbranch_vccnz .LBB118_2427
; %bb.2423:
	v_cmp_gt_i16_e32 vcc_lo, 8, v12
	s_cbranch_vccnz .LBB118_2428
	;; [unrolled: 3-line block ×3, first 2 shown]
; %bb.2425:
	v_cmp_lt_i16_e32 vcc_lo, 9, v12
	s_cbranch_vccz .LBB118_2430
; %bb.2426:
	global_load_b64 v[8:9], v[2:3], off
	s_mov_b32 s0, 0
	s_branch .LBB118_2431
.LBB118_2427:
	s_mov_b32 s0, -1
                                        ; implicit-def: $vgpr8_vgpr9
	s_branch .LBB118_2449
.LBB118_2428:
	s_mov_b32 s0, -1
                                        ; implicit-def: $vgpr8_vgpr9
	s_branch .LBB118_2437
.LBB118_2429:
	s_mov_b32 s0, -1
                                        ; implicit-def: $vgpr8_vgpr9
	s_branch .LBB118_2434
.LBB118_2430:
	s_mov_b32 s0, -1
                                        ; implicit-def: $vgpr8_vgpr9
.LBB118_2431:
	s_delay_alu instid0(SALU_CYCLE_1)
	s_and_not1_b32 vcc_lo, exec_lo, s0
	s_cbranch_vccnz .LBB118_2433
; %bb.2432:
	global_load_b32 v8, v[2:3], off
	s_waitcnt vmcnt(0)
	v_cvt_f64_f32_e32 v[8:9], v8
.LBB118_2433:
	s_mov_b32 s0, 0
.LBB118_2434:
	s_delay_alu instid0(SALU_CYCLE_1)
	s_and_not1_b32 vcc_lo, exec_lo, s0
	s_cbranch_vccnz .LBB118_2436
; %bb.2435:
	global_load_b32 v8, v[2:3], off
	s_waitcnt vmcnt(0)
	v_cvt_f32_f16_e32 v8, v8
	s_delay_alu instid0(VALU_DEP_1)
	v_cvt_f64_f32_e32 v[8:9], v8
.LBB118_2436:
	s_mov_b32 s0, 0
.LBB118_2437:
	s_delay_alu instid0(SALU_CYCLE_1)
	s_and_not1_b32 vcc_lo, exec_lo, s0
	s_cbranch_vccnz .LBB118_2448
; %bb.2438:
	v_cmp_gt_i16_e32 vcc_lo, 6, v12
	s_cbranch_vccnz .LBB118_2441
; %bb.2439:
	v_cmp_lt_i16_e32 vcc_lo, 6, v12
	s_cbranch_vccz .LBB118_2442
; %bb.2440:
	global_load_b64 v[8:9], v[2:3], off
	s_mov_b32 s0, 0
	s_branch .LBB118_2443
.LBB118_2441:
	s_mov_b32 s0, -1
                                        ; implicit-def: $vgpr8_vgpr9
	s_branch .LBB118_2446
.LBB118_2442:
	s_mov_b32 s0, -1
                                        ; implicit-def: $vgpr8_vgpr9
.LBB118_2443:
	s_delay_alu instid0(SALU_CYCLE_1)
	s_and_not1_b32 vcc_lo, exec_lo, s0
	s_cbranch_vccnz .LBB118_2445
; %bb.2444:
	global_load_b32 v8, v[2:3], off
	s_waitcnt vmcnt(0)
	v_cvt_f64_f32_e32 v[8:9], v8
.LBB118_2445:
	s_mov_b32 s0, 0
.LBB118_2446:
	s_delay_alu instid0(SALU_CYCLE_1)
	s_and_not1_b32 vcc_lo, exec_lo, s0
	s_cbranch_vccnz .LBB118_2448
; %bb.2447:
	global_load_u16 v8, v[2:3], off
	s_waitcnt vmcnt(0)
	v_cvt_f32_f16_e32 v8, v8
	s_delay_alu instid0(VALU_DEP_1)
	v_cvt_f64_f32_e32 v[8:9], v8
.LBB118_2448:
	s_mov_b32 s0, 0
.LBB118_2449:
	s_delay_alu instid0(SALU_CYCLE_1)
	s_and_not1_b32 vcc_lo, exec_lo, s0
	s_cbranch_vccnz .LBB118_2469
; %bb.2450:
	v_cmp_gt_i16_e32 vcc_lo, 2, v12
	s_cbranch_vccnz .LBB118_2454
; %bb.2451:
	v_cmp_gt_i16_e32 vcc_lo, 3, v12
	s_cbranch_vccnz .LBB118_2455
; %bb.2452:
	v_cmp_lt_i16_e32 vcc_lo, 3, v12
	s_cbranch_vccz .LBB118_2456
; %bb.2453:
	global_load_b64 v[8:9], v[2:3], off
	s_mov_b32 s0, 0
	s_waitcnt vmcnt(0)
	v_cvt_f64_i32_e32 v[14:15], v9
	v_cvt_f64_u32_e32 v[8:9], v8
	s_delay_alu instid0(VALU_DEP_2) | instskip(NEXT) | instid1(VALU_DEP_1)
	v_ldexp_f64 v[14:15], v[14:15], 32
	v_add_f64 v[8:9], v[14:15], v[8:9]
	s_branch .LBB118_2457
.LBB118_2454:
	s_mov_b32 s0, -1
                                        ; implicit-def: $vgpr8_vgpr9
	s_branch .LBB118_2463
.LBB118_2455:
	s_mov_b32 s0, -1
                                        ; implicit-def: $vgpr8_vgpr9
	s_branch .LBB118_2460
.LBB118_2456:
	s_mov_b32 s0, -1
                                        ; implicit-def: $vgpr8_vgpr9
.LBB118_2457:
	s_delay_alu instid0(SALU_CYCLE_1)
	s_and_not1_b32 vcc_lo, exec_lo, s0
	s_cbranch_vccnz .LBB118_2459
; %bb.2458:
	global_load_b32 v8, v[2:3], off
	s_waitcnt vmcnt(0)
	v_cvt_f64_i32_e32 v[8:9], v8
.LBB118_2459:
	s_mov_b32 s0, 0
.LBB118_2460:
	s_delay_alu instid0(SALU_CYCLE_1)
	s_and_not1_b32 vcc_lo, exec_lo, s0
	s_cbranch_vccnz .LBB118_2462
; %bb.2461:
	global_load_i16 v8, v[2:3], off
	s_waitcnt vmcnt(0)
	v_cvt_f64_i32_e32 v[8:9], v8
.LBB118_2462:
	s_mov_b32 s0, 0
.LBB118_2463:
	s_delay_alu instid0(SALU_CYCLE_1)
	s_and_not1_b32 vcc_lo, exec_lo, s0
	s_cbranch_vccnz .LBB118_2469
; %bb.2464:
	v_cmp_lt_i16_e32 vcc_lo, 0, v12
	s_mov_b32 s0, 0
	s_cbranch_vccz .LBB118_2466
; %bb.2465:
	global_load_i8 v8, v[2:3], off
	s_waitcnt vmcnt(0)
	v_cvt_f64_i32_e32 v[8:9], v8
	s_branch .LBB118_2467
.LBB118_2466:
	s_mov_b32 s0, -1
                                        ; implicit-def: $vgpr8_vgpr9
.LBB118_2467:
	s_delay_alu instid0(SALU_CYCLE_1)
	s_and_not1_b32 vcc_lo, exec_lo, s0
	s_cbranch_vccnz .LBB118_2469
; %bb.2468:
	global_load_u8 v2, v[2:3], off
	s_waitcnt vmcnt(0)
	v_cvt_f64_u32_e32 v[8:9], v2
.LBB118_2469:
	s_mov_b32 s0, -1
.LBB118_2470:
	s_delay_alu instid0(SALU_CYCLE_1)
	s_and_not1_b32 vcc_lo, exec_lo, s0
	s_cbranch_vccnz .LBB118_3036
; %bb.2471:
	v_add_nc_u32_e32 v2, s19, v13
	v_cmp_gt_i16_e32 vcc_lo, 11, v11
	s_delay_alu instid0(VALU_DEP_2) | instskip(SKIP_1) | instid1(VALU_DEP_1)
	v_ashrrev_i32_e32 v3, 31, v2
	v_add_co_u32 v2, s0, s12, v2
	v_add_co_ci_u32_e64 v3, s0, s13, v3, s0
	s_cbranch_vccnz .LBB118_2478
; %bb.2472:
	v_cmp_lt_i16_e32 vcc_lo, 25, v11
	s_mov_b32 s0, 0
	s_cbranch_vccz .LBB118_2479
; %bb.2473:
	v_cmp_lt_i16_e32 vcc_lo, 28, v11
	s_cbranch_vccz .LBB118_2480
; %bb.2474:
	v_cmp_lt_i16_e32 vcc_lo, 43, v11
	;; [unrolled: 3-line block ×3, first 2 shown]
	s_cbranch_vccz .LBB118_2484
; %bb.2476:
	v_cmp_eq_u16_e32 vcc_lo, 46, v11
	s_mov_b32 s12, 0
	s_cbranch_vccz .LBB118_2487
; %bb.2477:
	global_load_b32 v12, v[2:3], off
	s_mov_b32 s6, 0
	s_mov_b32 s7, -1
	s_waitcnt vmcnt(0)
	v_and_b32_e32 v12, 0x7fff7fff, v12
	s_delay_alu instid0(VALU_DEP_1)
	v_cmp_ne_u32_e32 vcc_lo, 0, v12
	s_and_b32 s1, vcc_lo, exec_lo
	s_branch .LBB118_2489
.LBB118_2478:
	s_mov_b32 s0, -1
	s_mov_b32 s7, 0
                                        ; implicit-def: $sgpr1
	s_branch .LBB118_2553
.LBB118_2479:
	s_mov_b32 s12, -1
	s_mov_b32 s7, 0
	s_mov_b32 s6, 0
                                        ; implicit-def: $sgpr1
	s_branch .LBB118_2516
.LBB118_2480:
	s_mov_b32 s12, -1
	s_mov_b32 s7, 0
	s_mov_b32 s6, 0
                                        ; implicit-def: $sgpr1
	s_branch .LBB118_2497
.LBB118_2481:
	s_mov_b32 s12, -1
	s_mov_b32 s7, 0
	s_mov_b32 s6, 0
                                        ; implicit-def: $sgpr1
	s_branch .LBB118_2492
.LBB118_2482:
	s_cbranch_execnz .LBB118_2485
; %bb.2483:
	s_or_b32 s15, s15, exec_lo
                                        ; implicit-def: $vgpr8_vgpr9
	s_cbranch_execz .LBB118_2419
	s_branch .LBB118_2420
.LBB118_2484:
	s_mov_b32 s12, -1
	s_mov_b32 s7, 0
	s_mov_b32 s6, 0
	s_branch .LBB118_2488
.LBB118_2485:
	s_trap 2
	s_sendmsg_rtn_b32 s0, sendmsg(MSG_RTN_GET_DOORBELL)
	s_mov_b32 ttmp2, m0
	s_waitcnt lgkmcnt(0)
	s_and_b32 s0, s0, 0x3ff
	s_delay_alu instid0(SALU_CYCLE_1) | instskip(NEXT) | instid1(SALU_CYCLE_1)
	s_bitset1_b32 s0, 10
	s_mov_b32 m0, s0
	s_sendmsg sendmsg(MSG_INTERRUPT)
	s_mov_b32 m0, ttmp2
.LBB118_2486:                           ; =>This Inner Loop Header: Depth=1
	s_sethalt 5
	s_branch .LBB118_2486
.LBB118_2487:
	s_mov_b32 s6, -1
	s_mov_b32 s7, 0
.LBB118_2488:
                                        ; implicit-def: $sgpr1
.LBB118_2489:
	s_and_b32 vcc_lo, exec_lo, s12
	s_cbranch_vccz .LBB118_2491
; %bb.2490:
	v_cmp_ne_u16_e64 s6, 44, v11
	s_mov_b32 s7, -1
	s_or_b32 s1, s1, exec_lo
.LBB118_2491:
	s_mov_b32 s12, 0
.LBB118_2492:
	s_delay_alu instid0(SALU_CYCLE_1)
	s_and_b32 vcc_lo, exec_lo, s12
	s_cbranch_vccz .LBB118_2496
; %bb.2493:
	v_cmp_eq_u16_e32 vcc_lo, 29, v11
	s_cbranch_vccz .LBB118_2495
; %bb.2494:
	global_load_b64 v[12:13], v[2:3], off
	s_mov_b32 s6, 0
	s_mov_b32 s7, -1
	s_mov_b32 s12, 0
	s_waitcnt vmcnt(0)
	v_cmp_ne_u64_e32 vcc_lo, 0, v[12:13]
	s_and_b32 s1, vcc_lo, exec_lo
	s_branch .LBB118_2497
.LBB118_2495:
	s_mov_b32 s6, -1
                                        ; implicit-def: $sgpr1
.LBB118_2496:
	s_mov_b32 s12, 0
.LBB118_2497:
	s_delay_alu instid0(SALU_CYCLE_1)
	s_and_b32 vcc_lo, exec_lo, s12
	s_cbranch_vccz .LBB118_2515
; %bb.2498:
	v_cmp_gt_i16_e32 vcc_lo, 27, v11
	s_cbranch_vccnz .LBB118_2501
; %bb.2499:
	v_cmp_lt_i16_e32 vcc_lo, 27, v11
	s_cbranch_vccz .LBB118_2502
; %bb.2500:
	global_load_b32 v12, v[2:3], off
	s_mov_b32 s7, 0
	s_waitcnt vmcnt(0)
	v_cmp_ne_u32_e32 vcc_lo, 0, v12
	s_and_b32 s1, vcc_lo, exec_lo
	s_branch .LBB118_2503
.LBB118_2501:
	s_mov_b32 s7, -1
                                        ; implicit-def: $sgpr1
	s_branch .LBB118_2506
.LBB118_2502:
	s_mov_b32 s7, -1
                                        ; implicit-def: $sgpr1
.LBB118_2503:
	s_delay_alu instid0(SALU_CYCLE_1)
	s_and_not1_b32 vcc_lo, exec_lo, s7
	s_cbranch_vccnz .LBB118_2505
; %bb.2504:
	global_load_u16 v12, v[2:3], off
	s_and_not1_b32 s1, s1, exec_lo
	s_waitcnt vmcnt(0)
	v_cmp_ne_u16_e32 vcc_lo, 0, v12
	s_and_b32 s7, vcc_lo, exec_lo
	s_delay_alu instid0(SALU_CYCLE_1)
	s_or_b32 s1, s1, s7
.LBB118_2505:
	s_mov_b32 s7, 0
.LBB118_2506:
	s_delay_alu instid0(SALU_CYCLE_1)
	s_and_not1_b32 vcc_lo, exec_lo, s7
	s_cbranch_vccnz .LBB118_2514
; %bb.2507:
	global_load_u8 v12, v[2:3], off
	s_mov_b32 s7, 0
	s_mov_b32 s12, exec_lo
                                        ; implicit-def: $sgpr1
	s_waitcnt vmcnt(0)
	v_cmpx_lt_i16_e32 0x7f, v12
	s_xor_b32 s12, exec_lo, s12
	s_cbranch_execz .LBB118_2528
; %bb.2508:
	s_mov_b32 s7, -1
	s_mov_b32 s13, exec_lo
                                        ; implicit-def: $sgpr1
	v_cmpx_eq_u16_e32 0x80, v12
; %bb.2509:
	s_mov_b32 s1, -1
	s_xor_b32 s7, exec_lo, -1
; %bb.2510:
	s_or_b32 exec_lo, exec_lo, s13
	s_delay_alu instid0(SALU_CYCLE_1)
	s_and_b32 s7, s7, exec_lo
	s_and_not1_saveexec_b32 s12, s12
	s_cbranch_execnz .LBB118_2529
.LBB118_2511:
	s_or_b32 exec_lo, exec_lo, s12
	s_and_saveexec_b32 s12, s7
	s_cbranch_execz .LBB118_2513
.LBB118_2512:
	v_and_b32_e32 v12, 0xffff, v12
	s_and_not1_b32 s1, s1, exec_lo
	s_delay_alu instid0(VALU_DEP_1) | instskip(NEXT) | instid1(VALU_DEP_1)
	v_and_b32_e32 v13, 7, v12
	v_clz_i32_u32_e32 v14, v13
	s_delay_alu instid0(VALU_DEP_1) | instskip(NEXT) | instid1(VALU_DEP_1)
	v_min_u32_e32 v14, 32, v14
	v_subrev_nc_u32_e32 v15, 28, v14
	v_sub_nc_u32_e32 v14, 29, v14
	s_delay_alu instid0(VALU_DEP_2) | instskip(SKIP_1) | instid1(VALU_DEP_2)
	v_lshlrev_b32_e32 v15, v15, v12
	v_bfe_u32 v12, v12, 3, 4
	v_and_b32_e32 v15, 7, v15
	s_delay_alu instid0(VALU_DEP_2) | instskip(NEXT) | instid1(VALU_DEP_2)
	v_cmp_eq_u32_e32 vcc_lo, 0, v12
	v_dual_cndmask_b32 v12, v12, v14 :: v_dual_cndmask_b32 v13, v13, v15
	s_delay_alu instid0(VALU_DEP_1) | instskip(NEXT) | instid1(VALU_DEP_2)
	v_lshl_add_u32 v12, v12, 23, 0x3b800000
	v_lshlrev_b32_e32 v13, 20, v13
	s_delay_alu instid0(VALU_DEP_1) | instskip(NEXT) | instid1(VALU_DEP_1)
	v_and_or_b32 v12, 0x7f800000, v12, v13
	v_cmp_ne_u32_e32 vcc_lo, 0, v12
	s_and_b32 s7, vcc_lo, exec_lo
	s_delay_alu instid0(SALU_CYCLE_1)
	s_or_b32 s1, s1, s7
.LBB118_2513:
	s_or_b32 exec_lo, exec_lo, s12
.LBB118_2514:
	s_mov_b32 s7, -1
.LBB118_2515:
	s_mov_b32 s12, 0
.LBB118_2516:
	s_delay_alu instid0(SALU_CYCLE_1)
	s_and_b32 vcc_lo, exec_lo, s12
	s_cbranch_vccz .LBB118_2549
; %bb.2517:
	v_cmp_lt_i16_e32 vcc_lo, 22, v11
	s_cbranch_vccz .LBB118_2527
; %bb.2518:
	v_cmp_gt_i16_e32 vcc_lo, 24, v11
	s_cbranch_vccnz .LBB118_2530
; %bb.2519:
	v_cmp_lt_i16_e32 vcc_lo, 24, v11
	s_cbranch_vccz .LBB118_2531
; %bb.2520:
	global_load_u8 v12, v[2:3], off
	s_mov_b32 s7, exec_lo
                                        ; implicit-def: $sgpr1
	s_waitcnt vmcnt(0)
	v_cmpx_lt_i16_e32 0x7f, v12
	s_xor_b32 s7, exec_lo, s7
	s_cbranch_execz .LBB118_2543
; %bb.2521:
	s_mov_b32 s0, -1
	s_mov_b32 s12, exec_lo
                                        ; implicit-def: $sgpr1
	v_cmpx_eq_u16_e32 0x80, v12
; %bb.2522:
	s_mov_b32 s1, -1
	s_xor_b32 s0, exec_lo, -1
; %bb.2523:
	s_or_b32 exec_lo, exec_lo, s12
	s_delay_alu instid0(SALU_CYCLE_1)
	s_and_b32 s0, s0, exec_lo
	s_and_not1_saveexec_b32 s7, s7
	s_cbranch_execnz .LBB118_2544
.LBB118_2524:
	s_or_b32 exec_lo, exec_lo, s7
	s_and_saveexec_b32 s7, s0
	s_cbranch_execz .LBB118_2526
.LBB118_2525:
	v_and_b32_e32 v12, 0xffff, v12
	s_and_not1_b32 s0, s1, exec_lo
	s_delay_alu instid0(VALU_DEP_1) | instskip(NEXT) | instid1(VALU_DEP_1)
	v_and_b32_e32 v13, 3, v12
	v_clz_i32_u32_e32 v14, v13
	s_delay_alu instid0(VALU_DEP_1) | instskip(NEXT) | instid1(VALU_DEP_1)
	v_min_u32_e32 v14, 32, v14
	v_subrev_nc_u32_e32 v15, 29, v14
	v_sub_nc_u32_e32 v14, 30, v14
	s_delay_alu instid0(VALU_DEP_2) | instskip(SKIP_1) | instid1(VALU_DEP_2)
	v_lshlrev_b32_e32 v15, v15, v12
	v_bfe_u32 v12, v12, 2, 5
	v_and_b32_e32 v15, 3, v15
	s_delay_alu instid0(VALU_DEP_2) | instskip(NEXT) | instid1(VALU_DEP_2)
	v_cmp_eq_u32_e32 vcc_lo, 0, v12
	v_dual_cndmask_b32 v12, v12, v14 :: v_dual_cndmask_b32 v13, v13, v15
	s_delay_alu instid0(VALU_DEP_1) | instskip(NEXT) | instid1(VALU_DEP_2)
	v_lshl_add_u32 v12, v12, 23, 0x37800000
	v_lshlrev_b32_e32 v13, 21, v13
	s_delay_alu instid0(VALU_DEP_1) | instskip(NEXT) | instid1(VALU_DEP_1)
	v_and_or_b32 v12, 0x7f800000, v12, v13
	v_cmp_ne_u32_e32 vcc_lo, 0, v12
	s_and_b32 s1, vcc_lo, exec_lo
	s_delay_alu instid0(SALU_CYCLE_1)
	s_or_b32 s1, s0, s1
.LBB118_2526:
	s_or_b32 exec_lo, exec_lo, s7
	s_mov_b32 s0, 0
	s_branch .LBB118_2532
.LBB118_2527:
	s_mov_b32 s0, -1
                                        ; implicit-def: $sgpr1
	s_branch .LBB118_2538
.LBB118_2528:
	s_and_not1_saveexec_b32 s12, s12
	s_cbranch_execz .LBB118_2511
.LBB118_2529:
	v_cmp_ne_u16_e32 vcc_lo, 0, v12
	s_and_not1_b32 s7, s7, exec_lo
	s_and_not1_b32 s1, s1, exec_lo
	s_and_b32 s13, vcc_lo, exec_lo
	s_delay_alu instid0(SALU_CYCLE_1)
	s_or_b32 s7, s7, s13
	s_or_b32 exec_lo, exec_lo, s12
	s_and_saveexec_b32 s12, s7
	s_cbranch_execnz .LBB118_2512
	s_branch .LBB118_2513
.LBB118_2530:
	s_mov_b32 s0, -1
                                        ; implicit-def: $sgpr1
	s_branch .LBB118_2535
.LBB118_2531:
	s_mov_b32 s0, -1
                                        ; implicit-def: $sgpr1
.LBB118_2532:
	s_delay_alu instid0(SALU_CYCLE_1)
	s_and_b32 vcc_lo, exec_lo, s0
	s_cbranch_vccz .LBB118_2534
; %bb.2533:
	global_load_u8 v12, v[2:3], off
	s_and_not1_b32 s1, s1, exec_lo
	s_waitcnt vmcnt(0)
	v_lshlrev_b32_e32 v12, 24, v12
	s_delay_alu instid0(VALU_DEP_1) | instskip(NEXT) | instid1(VALU_DEP_1)
	v_and_b32_e32 v12, 0x7f000000, v12
	v_clz_i32_u32_e32 v13, v12
	v_add_nc_u32_e32 v15, 0x1000000, v12
	v_cmp_ne_u32_e32 vcc_lo, 0, v12
	s_delay_alu instid0(VALU_DEP_3) | instskip(NEXT) | instid1(VALU_DEP_3)
	v_min_u32_e32 v13, 32, v13
	v_ashrrev_i32_e32 v15, 8, v15
	s_delay_alu instid0(VALU_DEP_2) | instskip(NEXT) | instid1(VALU_DEP_1)
	v_sub_nc_u32_e64 v13, v13, 4 clamp
	v_lshlrev_b32_e32 v14, v13, v12
	v_lshlrev_b32_e32 v13, 23, v13
	s_delay_alu instid0(VALU_DEP_2) | instskip(NEXT) | instid1(VALU_DEP_1)
	v_lshrrev_b32_e32 v14, 4, v14
	v_sub_nc_u32_e32 v13, v14, v13
	v_and_b32_e32 v14, 0x7f800000, v15
	s_delay_alu instid0(VALU_DEP_2) | instskip(NEXT) | instid1(VALU_DEP_1)
	v_add_nc_u32_e32 v13, 0x3c000000, v13
	v_and_or_b32 v13, 0x7ff00000, v13, v14
	s_delay_alu instid0(VALU_DEP_1) | instskip(NEXT) | instid1(VALU_DEP_1)
	v_cmp_ne_u32_e64 s0, 0, v13
	s_and_b32 s0, vcc_lo, s0
	s_delay_alu instid0(SALU_CYCLE_1) | instskip(NEXT) | instid1(SALU_CYCLE_1)
	s_and_b32 s0, s0, exec_lo
	s_or_b32 s1, s1, s0
.LBB118_2534:
	s_mov_b32 s0, 0
.LBB118_2535:
	s_delay_alu instid0(SALU_CYCLE_1)
	s_and_not1_b32 vcc_lo, exec_lo, s0
	s_cbranch_vccnz .LBB118_2537
; %bb.2536:
	global_load_u8 v12, v[2:3], off
	s_and_not1_b32 s0, s1, exec_lo
	s_waitcnt vmcnt(0)
	v_lshlrev_b32_e32 v13, 25, v12
	v_lshlrev_b32_e32 v12, 8, v12
	s_delay_alu instid0(VALU_DEP_2) | instskip(NEXT) | instid1(VALU_DEP_2)
	v_lshrrev_b32_e32 v14, 4, v13
	v_and_or_b32 v12, 0x7f00, v12, 0.5
	s_delay_alu instid0(VALU_DEP_2) | instskip(NEXT) | instid1(VALU_DEP_2)
	v_or_b32_e32 v14, 0x70000000, v14
	v_add_f32_e32 v12, -0.5, v12
	s_delay_alu instid0(VALU_DEP_2) | instskip(SKIP_1) | instid1(VALU_DEP_2)
	v_mul_f32_e32 v14, 0x7800000, v14
	v_cmp_gt_u32_e32 vcc_lo, 0x8000000, v13
	v_cndmask_b32_e32 v12, v14, v12, vcc_lo
	s_delay_alu instid0(VALU_DEP_1) | instskip(SKIP_1) | instid1(SALU_CYCLE_1)
	v_cmp_neq_f32_e32 vcc_lo, 0, v12
	s_and_b32 s1, vcc_lo, exec_lo
	s_or_b32 s1, s0, s1
.LBB118_2537:
	s_mov_b32 s0, 0
	s_mov_b32 s7, -1
.LBB118_2538:
	s_and_not1_b32 vcc_lo, exec_lo, s0
	s_mov_b32 s0, 0
	s_cbranch_vccnz .LBB118_2549
; %bb.2539:
	v_cmp_lt_i16_e32 vcc_lo, 14, v11
	s_cbranch_vccz .LBB118_2542
; %bb.2540:
	v_cmp_eq_u16_e32 vcc_lo, 15, v11
	s_cbranch_vccz .LBB118_2545
; %bb.2541:
	global_load_u16 v12, v[2:3], off
	s_mov_b32 s6, 0
	s_mov_b32 s7, -1
	s_waitcnt vmcnt(0)
	v_and_b32_e32 v12, 0x7fff, v12
	s_delay_alu instid0(VALU_DEP_1)
	v_cmp_ne_u16_e32 vcc_lo, 0, v12
	s_and_b32 s1, vcc_lo, exec_lo
	s_branch .LBB118_2547
.LBB118_2542:
	s_mov_b32 s0, -1
	s_branch .LBB118_2546
.LBB118_2543:
	s_and_not1_saveexec_b32 s7, s7
	s_cbranch_execz .LBB118_2524
.LBB118_2544:
	v_cmp_ne_u16_e32 vcc_lo, 0, v12
	s_and_not1_b32 s0, s0, exec_lo
	s_and_not1_b32 s1, s1, exec_lo
	s_and_b32 s12, vcc_lo, exec_lo
	s_delay_alu instid0(SALU_CYCLE_1)
	s_or_b32 s0, s0, s12
	s_or_b32 exec_lo, exec_lo, s7
	s_and_saveexec_b32 s7, s0
	s_cbranch_execnz .LBB118_2525
	s_branch .LBB118_2526
.LBB118_2545:
	s_mov_b32 s6, -1
.LBB118_2546:
                                        ; implicit-def: $sgpr1
.LBB118_2547:
	s_and_b32 vcc_lo, exec_lo, s0
	s_mov_b32 s0, 0
	s_cbranch_vccz .LBB118_2549
; %bb.2548:
	v_cmp_ne_u16_e64 s6, 11, v11
	s_mov_b32 s0, -1
	s_and_not1_b32 s1, s1, exec_lo
.LBB118_2549:
	s_delay_alu instid0(VALU_DEP_1)
	s_and_b32 vcc_lo, exec_lo, s6
	s_cbranch_vccnz .LBB118_3082
; %bb.2550:
	s_and_not1_b32 vcc_lo, exec_lo, s0
	s_cbranch_vccnz .LBB118_2552
.LBB118_2551:
	global_load_u8 v12, v[2:3], off
	s_and_not1_b32 s0, s1, exec_lo
	s_mov_b32 s7, -1
	s_waitcnt vmcnt(0)
	v_cmp_ne_u16_e32 vcc_lo, 0, v12
	s_and_b32 s1, vcc_lo, exec_lo
	s_delay_alu instid0(SALU_CYCLE_1)
	s_or_b32 s1, s0, s1
.LBB118_2552:
	s_mov_b32 s0, 0
.LBB118_2553:
	s_delay_alu instid0(SALU_CYCLE_1)
	s_and_b32 vcc_lo, exec_lo, s0
	s_cbranch_vccz .LBB118_2602
; %bb.2554:
	v_cmp_gt_i16_e32 vcc_lo, 5, v11
	s_cbranch_vccnz .LBB118_2559
; %bb.2555:
	v_cmp_gt_i16_e32 vcc_lo, 8, v11
	s_cbranch_vccnz .LBB118_2560
	;; [unrolled: 3-line block ×3, first 2 shown]
; %bb.2557:
	v_cmp_lt_i16_e32 vcc_lo, 9, v11
	s_cbranch_vccz .LBB118_2562
; %bb.2558:
	global_load_b128 v[12:15], v[2:3], off
	s_waitcnt vmcnt(0)
	v_cmp_neq_f64_e32 vcc_lo, 0, v[12:13]
	v_cmp_neq_f64_e64 s0, 0, v[14:15]
	s_delay_alu instid0(VALU_DEP_1)
	s_or_b32 s1, vcc_lo, s0
	s_mov_b32 s0, 0
	s_and_b32 s1, s1, exec_lo
	s_branch .LBB118_2563
.LBB118_2559:
	s_mov_b32 s0, -1
                                        ; implicit-def: $sgpr1
	s_branch .LBB118_2581
.LBB118_2560:
	s_mov_b32 s0, -1
                                        ; implicit-def: $sgpr1
	s_branch .LBB118_2569
.LBB118_2561:
	s_mov_b32 s0, -1
                                        ; implicit-def: $sgpr1
	s_branch .LBB118_2566
.LBB118_2562:
	s_mov_b32 s0, -1
                                        ; implicit-def: $sgpr1
.LBB118_2563:
	s_delay_alu instid0(SALU_CYCLE_1)
	s_and_not1_b32 vcc_lo, exec_lo, s0
	s_cbranch_vccnz .LBB118_2565
; %bb.2564:
	global_load_b64 v[12:13], v[2:3], off
	s_and_not1_b32 s0, s1, exec_lo
	s_waitcnt vmcnt(0)
	v_or_b32_e32 v12, v12, v13
	s_delay_alu instid0(VALU_DEP_1) | instskip(NEXT) | instid1(VALU_DEP_1)
	v_and_b32_e32 v12, 0x7fffffff, v12
	v_cmp_ne_u32_e32 vcc_lo, 0, v12
	s_and_b32 s1, vcc_lo, exec_lo
	s_delay_alu instid0(SALU_CYCLE_1)
	s_or_b32 s1, s0, s1
.LBB118_2565:
	s_mov_b32 s0, 0
.LBB118_2566:
	s_delay_alu instid0(SALU_CYCLE_1)
	s_and_not1_b32 vcc_lo, exec_lo, s0
	s_cbranch_vccnz .LBB118_2568
; %bb.2567:
	global_load_b32 v12, v[2:3], off
	s_and_not1_b32 s0, s1, exec_lo
	s_waitcnt vmcnt(0)
	v_and_b32_e32 v12, 0x7fff7fff, v12
	s_delay_alu instid0(VALU_DEP_1) | instskip(SKIP_1) | instid1(SALU_CYCLE_1)
	v_cmp_ne_u32_e32 vcc_lo, 0, v12
	s_and_b32 s1, vcc_lo, exec_lo
	s_or_b32 s1, s0, s1
.LBB118_2568:
	s_mov_b32 s0, 0
.LBB118_2569:
	s_delay_alu instid0(SALU_CYCLE_1)
	s_and_not1_b32 vcc_lo, exec_lo, s0
	s_cbranch_vccnz .LBB118_2580
; %bb.2570:
	v_cmp_gt_i16_e32 vcc_lo, 6, v11
	s_cbranch_vccnz .LBB118_2573
; %bb.2571:
	v_cmp_lt_i16_e32 vcc_lo, 6, v11
	s_cbranch_vccz .LBB118_2574
; %bb.2572:
	global_load_b64 v[12:13], v[2:3], off
	s_mov_b32 s0, 0
	s_waitcnt vmcnt(0)
	v_cmp_neq_f64_e32 vcc_lo, 0, v[12:13]
	s_and_b32 s1, vcc_lo, exec_lo
	s_branch .LBB118_2575
.LBB118_2573:
	s_mov_b32 s0, -1
                                        ; implicit-def: $sgpr1
	s_branch .LBB118_2578
.LBB118_2574:
	s_mov_b32 s0, -1
                                        ; implicit-def: $sgpr1
.LBB118_2575:
	s_delay_alu instid0(SALU_CYCLE_1)
	s_and_not1_b32 vcc_lo, exec_lo, s0
	s_cbranch_vccnz .LBB118_2577
; %bb.2576:
	global_load_b32 v12, v[2:3], off
	s_and_not1_b32 s0, s1, exec_lo
	s_waitcnt vmcnt(0)
	v_cmp_neq_f32_e32 vcc_lo, 0, v12
	s_and_b32 s1, vcc_lo, exec_lo
	s_delay_alu instid0(SALU_CYCLE_1)
	s_or_b32 s1, s0, s1
.LBB118_2577:
	s_mov_b32 s0, 0
.LBB118_2578:
	s_delay_alu instid0(SALU_CYCLE_1)
	s_and_not1_b32 vcc_lo, exec_lo, s0
	s_cbranch_vccnz .LBB118_2580
; %bb.2579:
	global_load_u16 v12, v[2:3], off
	s_and_not1_b32 s0, s1, exec_lo
	s_waitcnt vmcnt(0)
	v_and_b32_e32 v12, 0x7fff, v12
	s_delay_alu instid0(VALU_DEP_1) | instskip(SKIP_1) | instid1(SALU_CYCLE_1)
	v_cmp_ne_u16_e32 vcc_lo, 0, v12
	s_and_b32 s1, vcc_lo, exec_lo
	s_or_b32 s1, s0, s1
.LBB118_2580:
	s_mov_b32 s0, 0
.LBB118_2581:
	s_delay_alu instid0(SALU_CYCLE_1)
	s_and_not1_b32 vcc_lo, exec_lo, s0
	s_cbranch_vccnz .LBB118_2601
; %bb.2582:
	v_cmp_gt_i16_e32 vcc_lo, 2, v11
	s_cbranch_vccnz .LBB118_2586
; %bb.2583:
	v_cmp_gt_i16_e32 vcc_lo, 3, v11
	s_cbranch_vccnz .LBB118_2587
; %bb.2584:
	v_cmp_lt_i16_e32 vcc_lo, 3, v11
	s_cbranch_vccz .LBB118_2588
; %bb.2585:
	global_load_b64 v[12:13], v[2:3], off
	s_mov_b32 s0, 0
	s_waitcnt vmcnt(0)
	v_cmp_ne_u64_e32 vcc_lo, 0, v[12:13]
	s_and_b32 s1, vcc_lo, exec_lo
	s_branch .LBB118_2589
.LBB118_2586:
	s_mov_b32 s0, -1
                                        ; implicit-def: $sgpr1
	s_branch .LBB118_2595
.LBB118_2587:
	s_mov_b32 s0, -1
                                        ; implicit-def: $sgpr1
	s_branch .LBB118_2592
.LBB118_2588:
	s_mov_b32 s0, -1
                                        ; implicit-def: $sgpr1
.LBB118_2589:
	s_delay_alu instid0(SALU_CYCLE_1)
	s_and_not1_b32 vcc_lo, exec_lo, s0
	s_cbranch_vccnz .LBB118_2591
; %bb.2590:
	global_load_b32 v12, v[2:3], off
	s_and_not1_b32 s0, s1, exec_lo
	s_waitcnt vmcnt(0)
	v_cmp_ne_u32_e32 vcc_lo, 0, v12
	s_and_b32 s1, vcc_lo, exec_lo
	s_delay_alu instid0(SALU_CYCLE_1)
	s_or_b32 s1, s0, s1
.LBB118_2591:
	s_mov_b32 s0, 0
.LBB118_2592:
	s_delay_alu instid0(SALU_CYCLE_1)
	s_and_not1_b32 vcc_lo, exec_lo, s0
	s_cbranch_vccnz .LBB118_2594
; %bb.2593:
	global_load_u16 v12, v[2:3], off
	s_and_not1_b32 s0, s1, exec_lo
	s_waitcnt vmcnt(0)
	v_cmp_ne_u16_e32 vcc_lo, 0, v12
	s_and_b32 s1, vcc_lo, exec_lo
	s_delay_alu instid0(SALU_CYCLE_1)
	s_or_b32 s1, s0, s1
.LBB118_2594:
	s_mov_b32 s0, 0
.LBB118_2595:
	s_delay_alu instid0(SALU_CYCLE_1)
	s_and_not1_b32 vcc_lo, exec_lo, s0
	s_cbranch_vccnz .LBB118_2601
; %bb.2596:
	v_cmp_lt_i16_e32 vcc_lo, 0, v11
	s_mov_b32 s0, 0
	s_cbranch_vccz .LBB118_2598
; %bb.2597:
	global_load_u8 v11, v[2:3], off
	s_waitcnt vmcnt(0)
	v_cmp_ne_u16_e32 vcc_lo, 0, v11
	s_and_b32 s1, vcc_lo, exec_lo
	s_branch .LBB118_2599
.LBB118_2598:
	s_mov_b32 s0, -1
                                        ; implicit-def: $sgpr1
.LBB118_2599:
	s_delay_alu instid0(SALU_CYCLE_1)
	s_and_not1_b32 vcc_lo, exec_lo, s0
	s_cbranch_vccnz .LBB118_2601
; %bb.2600:
	global_load_u8 v2, v[2:3], off
	s_and_not1_b32 s0, s1, exec_lo
	s_waitcnt vmcnt(0)
	v_cmp_ne_u16_e32 vcc_lo, 0, v2
	s_and_b32 s1, vcc_lo, exec_lo
	s_delay_alu instid0(SALU_CYCLE_1)
	s_or_b32 s1, s0, s1
.LBB118_2601:
	s_mov_b32 s7, -1
.LBB118_2602:
	s_delay_alu instid0(SALU_CYCLE_1)
	s_and_not1_b32 vcc_lo, exec_lo, s7
	s_cbranch_vccnz .LBB118_3036
; %bb.2603:
	v_cndmask_b32_e64 v2, 0, 1, s11
	v_mul_lo_u32 v13, s8, v10
	v_and_b32_e64 v12, 0xff, s14
	s_delay_alu instid0(VALU_DEP_3) | instskip(NEXT) | instid1(VALU_DEP_2)
	v_cvt_f64_u32_e32 v[2:3], v2
	v_cmp_gt_i16_e32 vcc_lo, 11, v12
	s_delay_alu instid0(VALU_DEP_4) | instskip(SKIP_2) | instid1(VALU_DEP_3)
	v_add_co_u32 v10, s0, s4, v13
	s_and_b32 vcc_lo, exec_lo, vcc_lo
	s_waitcnt vmcnt(0)
	v_mul_f64 v[0:1], v[0:1], v[2:3]
	v_ashrrev_i32_e32 v2, 31, v13
	s_delay_alu instid0(VALU_DEP_1) | instskip(NEXT) | instid1(VALU_DEP_3)
	v_add_co_ci_u32_e64 v11, s0, s5, v2, s0
	v_mul_f64 v[0:1], s[2:3], v[0:1]
	s_cbranch_vccnz .LBB118_2681
; %bb.2604:
	v_cmp_lt_i16_e32 vcc_lo, 25, v12
	s_mov_b32 s11, -1
	s_mov_b32 s6, 0
	s_mov_b32 s7, 0
	;; [unrolled: 1-line block ×3, first 2 shown]
	s_cbranch_vccz .LBB118_2637
; %bb.2605:
	v_cmp_lt_i16_e32 vcc_lo, 28, v12
	s_cbranch_vccz .LBB118_2620
; %bb.2606:
	v_cmp_lt_i16_e32 vcc_lo, 43, v12
	;; [unrolled: 3-line block ×3, first 2 shown]
	s_cbranch_vccz .LBB118_2610
; %bb.2608:
	v_cmp_eq_u16_e32 vcc_lo, 46, v12
	s_mov_b32 s0, -1
	s_mov_b32 s11, 0
	s_cbranch_vccz .LBB118_2610
; %bb.2609:
	v_cvt_f32_f64_e32 v2, v[0:1]
	s_mov_b32 s0, 0
	s_mov_b32 s7, -1
	s_delay_alu instid0(VALU_DEP_1) | instskip(SKIP_1) | instid1(VALU_DEP_2)
	v_bfe_u32 v3, v2, 16, 1
	v_cmp_o_f32_e32 vcc_lo, v2, v2
	v_add3_u32 v3, v2, v3, 0x7fff
	s_delay_alu instid0(VALU_DEP_1) | instskip(NEXT) | instid1(VALU_DEP_1)
	v_lshrrev_b32_e32 v3, 16, v3
	v_cndmask_b32_e32 v2, 0x7fc0, v3, vcc_lo
	global_store_b32 v[10:11], v2, off
.LBB118_2610:
	s_and_b32 vcc_lo, exec_lo, s11
	s_cbranch_vccz .LBB118_2615
; %bb.2611:
	v_cmp_eq_u16_e32 vcc_lo, 44, v12
	s_mov_b32 s0, -1
	s_cbranch_vccz .LBB118_2615
; %bb.2612:
	v_cvt_f32_f64_e32 v2, v[0:1]
	v_mov_b32_e32 v3, 0xff
	s_mov_b32 s7, exec_lo
	s_delay_alu instid0(VALU_DEP_2) | instskip(NEXT) | instid1(VALU_DEP_1)
	v_bfe_u32 v14, v2, 23, 8
	v_cmpx_ne_u32_e32 0xff, v14
; %bb.2613:
	v_and_b32_e32 v3, 0x400000, v2
	v_and_or_b32 v14, 0x3fffff, v2, v14
	v_lshrrev_b32_e32 v2, 23, v2
	s_delay_alu instid0(VALU_DEP_3) | instskip(NEXT) | instid1(VALU_DEP_3)
	v_cmp_ne_u32_e32 vcc_lo, 0, v3
	v_cmp_ne_u32_e64 s0, 0, v14
	s_delay_alu instid0(VALU_DEP_1) | instskip(NEXT) | instid1(SALU_CYCLE_1)
	s_and_b32 s0, vcc_lo, s0
	v_cndmask_b32_e64 v3, 0, 1, s0
	s_delay_alu instid0(VALU_DEP_1)
	v_add_nc_u32_e32 v3, v2, v3
; %bb.2614:
	s_or_b32 exec_lo, exec_lo, s7
	s_mov_b32 s0, 0
	s_mov_b32 s7, -1
	global_store_b8 v[10:11], v3, off
.LBB118_2615:
	s_mov_b32 s11, 0
.LBB118_2616:
	s_delay_alu instid0(SALU_CYCLE_1)
	s_and_b32 vcc_lo, exec_lo, s11
	s_cbranch_vccz .LBB118_2619
; %bb.2617:
	v_cmp_eq_u16_e32 vcc_lo, 29, v12
	s_mov_b32 s0, -1
	s_cbranch_vccz .LBB118_2619
; %bb.2618:
	v_trunc_f64_e32 v[2:3], v[0:1]
	s_mov_b32 s0, 0
	s_mov_b32 s7, -1
	s_delay_alu instid0(VALU_DEP_1) | instskip(NEXT) | instid1(VALU_DEP_1)
	v_ldexp_f64 v[14:15], v[2:3], 0xffffffe0
	v_floor_f64_e32 v[14:15], v[14:15]
	s_delay_alu instid0(VALU_DEP_1) | instskip(SKIP_1) | instid1(VALU_DEP_2)
	v_fma_f64 v[2:3], 0xc1f00000, v[14:15], v[2:3]
	v_cvt_u32_f64_e32 v15, v[14:15]
	v_cvt_u32_f64_e32 v14, v[2:3]
	global_store_b64 v[10:11], v[14:15], off
.LBB118_2619:
	s_mov_b32 s11, 0
.LBB118_2620:
	s_delay_alu instid0(SALU_CYCLE_1)
	s_and_b32 vcc_lo, exec_lo, s11
	s_cbranch_vccz .LBB118_2636
; %bb.2621:
	v_cmp_gt_i16_e32 vcc_lo, 27, v12
	s_mov_b32 s7, -1
	s_cbranch_vccnz .LBB118_2627
; %bb.2622:
	s_delay_alu instid0(VALU_DEP_4)
	v_cvt_u32_f64_e32 v2, v[0:1]
	v_cmp_lt_i16_e32 vcc_lo, 27, v12
	s_cbranch_vccz .LBB118_2624
; %bb.2623:
	s_mov_b32 s7, 0
	global_store_b32 v[10:11], v2, off
.LBB118_2624:
	s_and_not1_b32 vcc_lo, exec_lo, s7
	s_cbranch_vccnz .LBB118_2626
; %bb.2625:
	global_store_b16 v[10:11], v2, off
.LBB118_2626:
	s_mov_b32 s7, 0
.LBB118_2627:
	s_delay_alu instid0(SALU_CYCLE_1)
	s_and_not1_b32 vcc_lo, exec_lo, s7
	s_cbranch_vccnz .LBB118_2635
; %bb.2628:
	s_delay_alu instid0(VALU_DEP_4) | instskip(SKIP_2) | instid1(VALU_DEP_2)
	v_cvt_f32_f64_e32 v2, v[0:1]
	v_mov_b32_e32 v14, 0x80
	s_mov_b32 s7, exec_lo
	v_and_b32_e32 v3, 0x7fffffff, v2
	s_delay_alu instid0(VALU_DEP_1)
	v_cmpx_gt_u32_e32 0x43800000, v3
	s_cbranch_execz .LBB118_2634
; %bb.2629:
	v_cmp_lt_u32_e32 vcc_lo, 0x3bffffff, v3
	s_mov_b32 s11, 0
                                        ; implicit-def: $vgpr3
	s_and_saveexec_b32 s12, vcc_lo
	s_delay_alu instid0(SALU_CYCLE_1)
	s_xor_b32 s12, exec_lo, s12
	s_cbranch_execz .LBB118_3084
; %bb.2630:
	v_bfe_u32 v3, v2, 20, 1
	s_mov_b32 s11, exec_lo
	s_delay_alu instid0(VALU_DEP_1) | instskip(NEXT) | instid1(VALU_DEP_1)
	v_add3_u32 v3, v2, v3, 0x487ffff
	v_lshrrev_b32_e32 v3, 20, v3
	s_or_saveexec_b32 s12, s12
                                        ; implicit-def: $sgpr13
	s_delay_alu instid0(SALU_CYCLE_1)
	s_xor_b32 exec_lo, exec_lo, s12
	s_cbranch_execnz .LBB118_3085
.LBB118_2631:
	s_or_b32 exec_lo, exec_lo, s12
	v_mov_b32_e32 v14, s13
	s_and_saveexec_b32 s12, s11
.LBB118_2632:
	v_lshrrev_b32_e32 v2, 24, v2
	s_delay_alu instid0(VALU_DEP_1)
	v_and_or_b32 v14, 0x80, v2, v3
.LBB118_2633:
	s_or_b32 exec_lo, exec_lo, s12
.LBB118_2634:
	s_delay_alu instid0(SALU_CYCLE_1)
	s_or_b32 exec_lo, exec_lo, s7
	global_store_b8 v[10:11], v14, off
.LBB118_2635:
	s_mov_b32 s7, -1
.LBB118_2636:
	s_mov_b32 s11, 0
.LBB118_2637:
	s_delay_alu instid0(SALU_CYCLE_1)
	s_and_b32 vcc_lo, exec_lo, s11
	s_cbranch_vccz .LBB118_2677
; %bb.2638:
	v_cmp_lt_i16_e32 vcc_lo, 22, v12
	s_mov_b32 s6, -1
	s_cbranch_vccz .LBB118_2670
; %bb.2639:
	v_cmp_gt_i16_e32 vcc_lo, 24, v12
	s_cbranch_vccnz .LBB118_2659
; %bb.2640:
	v_cmp_lt_i16_e32 vcc_lo, 24, v12
	s_cbranch_vccz .LBB118_2648
; %bb.2641:
	v_cvt_f32_f64_e32 v2, v[0:1]
	v_mov_b32_e32 v14, 0x80
	s_mov_b32 s6, exec_lo
	s_delay_alu instid0(VALU_DEP_2) | instskip(NEXT) | instid1(VALU_DEP_1)
	v_and_b32_e32 v3, 0x7fffffff, v2
	v_cmpx_gt_u32_e32 0x47800000, v3
	s_cbranch_execz .LBB118_2647
; %bb.2642:
	v_cmp_lt_u32_e32 vcc_lo, 0x37ffffff, v3
	s_mov_b32 s7, 0
                                        ; implicit-def: $vgpr3
	s_and_saveexec_b32 s11, vcc_lo
	s_delay_alu instid0(SALU_CYCLE_1)
	s_xor_b32 s11, exec_lo, s11
	s_cbranch_execz .LBB118_3090
; %bb.2643:
	v_bfe_u32 v3, v2, 21, 1
	s_mov_b32 s7, exec_lo
	s_delay_alu instid0(VALU_DEP_1) | instskip(NEXT) | instid1(VALU_DEP_1)
	v_add3_u32 v3, v2, v3, 0x88fffff
	v_lshrrev_b32_e32 v3, 21, v3
	s_or_saveexec_b32 s11, s11
                                        ; implicit-def: $sgpr12
	s_delay_alu instid0(SALU_CYCLE_1)
	s_xor_b32 exec_lo, exec_lo, s11
	s_cbranch_execnz .LBB118_3091
.LBB118_2644:
	s_or_b32 exec_lo, exec_lo, s11
	v_mov_b32_e32 v14, s12
	s_and_saveexec_b32 s11, s7
.LBB118_2645:
	v_lshrrev_b32_e32 v2, 24, v2
	s_delay_alu instid0(VALU_DEP_1)
	v_and_or_b32 v14, 0x80, v2, v3
.LBB118_2646:
	s_or_b32 exec_lo, exec_lo, s11
.LBB118_2647:
	s_delay_alu instid0(SALU_CYCLE_1)
	s_or_b32 exec_lo, exec_lo, s6
	s_mov_b32 s6, 0
	global_store_b8 v[10:11], v14, off
.LBB118_2648:
	s_and_b32 vcc_lo, exec_lo, s6
	s_cbranch_vccz .LBB118_2658
; %bb.2649:
	v_cvt_f32_f64_e32 v2, v[0:1]
	s_mov_b32 s6, exec_lo
                                        ; implicit-def: $vgpr3
	s_delay_alu instid0(VALU_DEP_1) | instskip(NEXT) | instid1(VALU_DEP_1)
	v_and_b32_e32 v14, 0x7fffffff, v2
	v_cmpx_gt_u32_e32 0x43f00000, v14
	s_xor_b32 s6, exec_lo, s6
	s_cbranch_execz .LBB118_2655
; %bb.2650:
	s_mov_b32 s7, exec_lo
                                        ; implicit-def: $vgpr3
	v_cmpx_lt_u32_e32 0x3c7fffff, v14
	s_xor_b32 s7, exec_lo, s7
; %bb.2651:
	v_bfe_u32 v3, v2, 20, 1
	s_delay_alu instid0(VALU_DEP_1) | instskip(NEXT) | instid1(VALU_DEP_1)
	v_add3_u32 v3, v2, v3, 0x407ffff
	v_and_b32_e32 v14, 0xff00000, v3
	v_lshrrev_b32_e32 v3, 20, v3
	s_delay_alu instid0(VALU_DEP_2) | instskip(NEXT) | instid1(VALU_DEP_2)
	v_cmp_ne_u32_e32 vcc_lo, 0x7f00000, v14
	v_cndmask_b32_e32 v3, 0x7e, v3, vcc_lo
; %bb.2652:
	s_and_not1_saveexec_b32 s7, s7
; %bb.2653:
	v_add_f32_e64 v3, 0x46800000, |v2|
; %bb.2654:
	s_or_b32 exec_lo, exec_lo, s7
                                        ; implicit-def: $vgpr14
.LBB118_2655:
	s_and_not1_saveexec_b32 s6, s6
; %bb.2656:
	v_mov_b32_e32 v3, 0x7f
	v_cmp_lt_u32_e32 vcc_lo, 0x7f800000, v14
	s_delay_alu instid0(VALU_DEP_2)
	v_cndmask_b32_e32 v3, 0x7e, v3, vcc_lo
; %bb.2657:
	s_or_b32 exec_lo, exec_lo, s6
	v_lshrrev_b32_e32 v2, 24, v2
	s_delay_alu instid0(VALU_DEP_1)
	v_and_or_b32 v2, 0x80, v2, v3
	global_store_b8 v[10:11], v2, off
.LBB118_2658:
	s_mov_b32 s6, 0
.LBB118_2659:
	s_delay_alu instid0(SALU_CYCLE_1)
	s_and_not1_b32 vcc_lo, exec_lo, s6
	s_cbranch_vccnz .LBB118_2669
; %bb.2660:
	s_delay_alu instid0(VALU_DEP_4) | instskip(SKIP_1) | instid1(VALU_DEP_1)
	v_cvt_f32_f64_e32 v2, v[0:1]
	s_mov_b32 s6, exec_lo
                                        ; implicit-def: $vgpr3
	v_and_b32_e32 v14, 0x7fffffff, v2
	s_delay_alu instid0(VALU_DEP_1)
	v_cmpx_gt_u32_e32 0x47800000, v14
	s_xor_b32 s6, exec_lo, s6
	s_cbranch_execz .LBB118_2666
; %bb.2661:
	s_mov_b32 s7, exec_lo
                                        ; implicit-def: $vgpr3
	v_cmpx_lt_u32_e32 0x387fffff, v14
	s_xor_b32 s7, exec_lo, s7
; %bb.2662:
	v_bfe_u32 v3, v2, 21, 1
	s_delay_alu instid0(VALU_DEP_1) | instskip(NEXT) | instid1(VALU_DEP_1)
	v_add3_u32 v3, v2, v3, 0x80fffff
	v_lshrrev_b32_e32 v3, 21, v3
; %bb.2663:
	s_and_not1_saveexec_b32 s7, s7
; %bb.2664:
	v_add_f32_e64 v3, 0x43000000, |v2|
; %bb.2665:
	s_or_b32 exec_lo, exec_lo, s7
                                        ; implicit-def: $vgpr14
.LBB118_2666:
	s_and_not1_saveexec_b32 s6, s6
; %bb.2667:
	v_mov_b32_e32 v3, 0x7f
	v_cmp_lt_u32_e32 vcc_lo, 0x7f800000, v14
	s_delay_alu instid0(VALU_DEP_2)
	v_cndmask_b32_e32 v3, 0x7c, v3, vcc_lo
; %bb.2668:
	s_or_b32 exec_lo, exec_lo, s6
	v_lshrrev_b32_e32 v2, 24, v2
	s_delay_alu instid0(VALU_DEP_1)
	v_and_or_b32 v2, 0x80, v2, v3
	global_store_b8 v[10:11], v2, off
.LBB118_2669:
	s_mov_b32 s6, 0
	s_mov_b32 s7, -1
.LBB118_2670:
	s_and_not1_b32 vcc_lo, exec_lo, s6
	s_mov_b32 s6, 0
	s_cbranch_vccnz .LBB118_2677
; %bb.2671:
	v_cmp_lt_i16_e32 vcc_lo, 14, v12
	s_mov_b32 s6, -1
	s_cbranch_vccz .LBB118_2675
; %bb.2672:
	v_cmp_eq_u16_e32 vcc_lo, 15, v12
	s_mov_b32 s0, -1
	s_cbranch_vccz .LBB118_2674
; %bb.2673:
	v_cvt_f32_f64_e32 v2, v[0:1]
	s_mov_b32 s0, 0
	s_mov_b32 s7, -1
	s_delay_alu instid0(VALU_DEP_1) | instskip(SKIP_1) | instid1(VALU_DEP_2)
	v_bfe_u32 v3, v2, 16, 1
	v_cmp_o_f32_e32 vcc_lo, v2, v2
	v_add3_u32 v3, v2, v3, 0x7fff
	s_delay_alu instid0(VALU_DEP_1) | instskip(NEXT) | instid1(VALU_DEP_1)
	v_lshrrev_b32_e32 v3, 16, v3
	v_cndmask_b32_e32 v2, 0x7fc0, v3, vcc_lo
	global_store_b16 v[10:11], v2, off
.LBB118_2674:
	s_mov_b32 s6, 0
.LBB118_2675:
	s_delay_alu instid0(SALU_CYCLE_1)
	s_and_b32 vcc_lo, exec_lo, s6
	s_mov_b32 s6, 0
	s_cbranch_vccz .LBB118_2677
; %bb.2676:
	v_cmp_ne_u16_e64 s0, 11, v12
	s_mov_b32 s6, -1
.LBB118_2677:
	s_delay_alu instid0(VALU_DEP_1)
	s_and_b32 vcc_lo, exec_lo, s0
	s_cbranch_vccnz .LBB118_3088
; %bb.2678:
	s_and_not1_b32 vcc_lo, exec_lo, s6
	s_cbranch_vccnz .LBB118_2680
.LBB118_2679:
	s_delay_alu instid0(VALU_DEP_2)
	v_cmp_neq_f64_e32 vcc_lo, 0, v[0:1]
	s_mov_b32 s7, -1
	v_cndmask_b32_e64 v2, 0, 1, vcc_lo
	global_store_b8 v[10:11], v2, off
.LBB118_2680:
	s_mov_b32 s0, 0
	s_branch .LBB118_2682
.LBB118_2681:
	s_mov_b32 s0, -1
	s_mov_b32 s7, 0
.LBB118_2682:
	s_and_b32 vcc_lo, exec_lo, s0
	s_cbranch_vccz .LBB118_2721
; %bb.2683:
	v_cmp_gt_i16_e32 vcc_lo, 5, v12
	s_mov_b32 s0, -1
	s_cbranch_vccnz .LBB118_2704
; %bb.2684:
	v_cmp_gt_i16_e32 vcc_lo, 8, v12
	s_cbranch_vccnz .LBB118_2694
; %bb.2685:
	v_cmp_gt_i16_e32 vcc_lo, 9, v12
	s_cbranch_vccnz .LBB118_2691
; %bb.2686:
	v_cmp_lt_i16_e32 vcc_lo, 9, v12
	s_cbranch_vccz .LBB118_2688
; %bb.2687:
	v_mov_b32_e32 v2, 0
	s_mov_b32 s0, 0
	s_delay_alu instid0(VALU_DEP_1)
	v_mov_b32_e32 v3, v2
	global_store_b128 v[10:11], v[0:3], off
.LBB118_2688:
	s_and_not1_b32 vcc_lo, exec_lo, s0
	s_cbranch_vccnz .LBB118_2690
; %bb.2689:
	v_cvt_f32_f64_e32 v2, v[0:1]
	v_mov_b32_e32 v3, 0
	global_store_b64 v[10:11], v[2:3], off
.LBB118_2690:
	s_mov_b32 s0, 0
.LBB118_2691:
	s_delay_alu instid0(SALU_CYCLE_1)
	s_and_not1_b32 vcc_lo, exec_lo, s0
	s_cbranch_vccnz .LBB118_2693
; %bb.2692:
	s_delay_alu instid0(VALU_DEP_4) | instskip(NEXT) | instid1(VALU_DEP_1)
	v_cvt_f32_f64_e32 v2, v[0:1]
	v_cvt_f16_f32_e32 v2, v2
	s_delay_alu instid0(VALU_DEP_1)
	v_and_b32_e32 v2, 0xffff, v2
	global_store_b32 v[10:11], v2, off
.LBB118_2693:
	s_mov_b32 s0, 0
.LBB118_2694:
	s_delay_alu instid0(SALU_CYCLE_1)
	s_and_not1_b32 vcc_lo, exec_lo, s0
	s_cbranch_vccnz .LBB118_2703
; %bb.2695:
	v_cmp_gt_i16_e32 vcc_lo, 6, v12
	s_mov_b32 s0, -1
	s_cbranch_vccnz .LBB118_2701
; %bb.2696:
	v_cmp_lt_i16_e32 vcc_lo, 6, v12
	s_cbranch_vccz .LBB118_2698
; %bb.2697:
	s_mov_b32 s0, 0
	global_store_b64 v[10:11], v[0:1], off
.LBB118_2698:
	s_and_not1_b32 vcc_lo, exec_lo, s0
	s_cbranch_vccnz .LBB118_2700
; %bb.2699:
	v_cvt_f32_f64_e32 v2, v[0:1]
	global_store_b32 v[10:11], v2, off
.LBB118_2700:
	s_mov_b32 s0, 0
.LBB118_2701:
	s_delay_alu instid0(SALU_CYCLE_1)
	s_and_not1_b32 vcc_lo, exec_lo, s0
	s_cbranch_vccnz .LBB118_2703
; %bb.2702:
	s_delay_alu instid0(VALU_DEP_4) | instskip(NEXT) | instid1(VALU_DEP_1)
	v_cvt_f32_f64_e32 v2, v[0:1]
	v_cvt_f16_f32_e32 v2, v2
	global_store_b16 v[10:11], v2, off
.LBB118_2703:
	s_mov_b32 s0, 0
.LBB118_2704:
	s_delay_alu instid0(SALU_CYCLE_1)
	s_and_not1_b32 vcc_lo, exec_lo, s0
	s_cbranch_vccnz .LBB118_2720
; %bb.2705:
	v_cmp_gt_i16_e32 vcc_lo, 2, v12
	s_mov_b32 s0, -1
	s_cbranch_vccnz .LBB118_2715
; %bb.2706:
	v_cmp_gt_i16_e32 vcc_lo, 3, v12
	s_cbranch_vccnz .LBB118_2712
; %bb.2707:
	v_cmp_lt_i16_e32 vcc_lo, 3, v12
	s_cbranch_vccz .LBB118_2709
; %bb.2708:
	v_trunc_f64_e32 v[2:3], v[0:1]
	s_mov_b32 s0, 0
	s_delay_alu instid0(VALU_DEP_1) | instskip(NEXT) | instid1(VALU_DEP_1)
	v_ldexp_f64 v[14:15], v[2:3], 0xffffffe0
	v_floor_f64_e32 v[14:15], v[14:15]
	s_delay_alu instid0(VALU_DEP_1) | instskip(SKIP_1) | instid1(VALU_DEP_2)
	v_fma_f64 v[2:3], 0xc1f00000, v[14:15], v[2:3]
	v_cvt_i32_f64_e32 v15, v[14:15]
	v_cvt_u32_f64_e32 v14, v[2:3]
	global_store_b64 v[10:11], v[14:15], off
.LBB118_2709:
	s_and_not1_b32 vcc_lo, exec_lo, s0
	s_cbranch_vccnz .LBB118_2711
; %bb.2710:
	v_cvt_i32_f64_e32 v2, v[0:1]
	global_store_b32 v[10:11], v2, off
.LBB118_2711:
	s_mov_b32 s0, 0
.LBB118_2712:
	s_delay_alu instid0(SALU_CYCLE_1)
	s_and_not1_b32 vcc_lo, exec_lo, s0
	s_cbranch_vccnz .LBB118_2714
; %bb.2713:
	s_delay_alu instid0(VALU_DEP_4)
	v_cvt_i32_f64_e32 v2, v[0:1]
	global_store_b16 v[10:11], v2, off
.LBB118_2714:
	s_mov_b32 s0, 0
.LBB118_2715:
	s_delay_alu instid0(SALU_CYCLE_1)
	s_and_not1_b32 vcc_lo, exec_lo, s0
	s_cbranch_vccnz .LBB118_2720
; %bb.2716:
	v_cmp_lt_i16_e32 vcc_lo, 0, v12
	s_mov_b32 s0, -1
	s_cbranch_vccz .LBB118_2718
; %bb.2717:
	s_delay_alu instid0(VALU_DEP_4)
	v_cvt_i32_f64_e32 v2, v[0:1]
	s_mov_b32 s0, 0
	global_store_b8 v[10:11], v2, off
.LBB118_2718:
	s_and_not1_b32 vcc_lo, exec_lo, s0
	s_cbranch_vccnz .LBB118_2720
; %bb.2719:
	s_delay_alu instid0(VALU_DEP_4) | instskip(NEXT) | instid1(VALU_DEP_1)
	v_trunc_f64_e32 v[0:1], v[0:1]
	v_ldexp_f64 v[2:3], v[0:1], 0xffffffe0
	s_delay_alu instid0(VALU_DEP_1) | instskip(NEXT) | instid1(VALU_DEP_1)
	v_floor_f64_e32 v[2:3], v[2:3]
	v_fma_f64 v[0:1], 0xc1f00000, v[2:3], v[0:1]
	s_delay_alu instid0(VALU_DEP_1)
	v_cvt_u32_f64_e32 v0, v[0:1]
	global_store_b8 v[10:11], v0, off
.LBB118_2720:
	s_mov_b32 s7, -1
.LBB118_2721:
	s_delay_alu instid0(SALU_CYCLE_1)
	s_and_not1_b32 vcc_lo, exec_lo, s7
	s_cbranch_vccnz .LBB118_3036
; %bb.2722:
	v_cndmask_b32_e64 v0, 0, 1, s9
	s_lshl_b32 s6, s8, 7
	v_cmp_gt_i16_e32 vcc_lo, 11, v12
	v_add_nc_u32_e32 v10, s6, v13
	s_delay_alu instid0(VALU_DEP_3) | instskip(SKIP_1) | instid1(VALU_DEP_2)
	v_cvt_f64_u32_e32 v[0:1], v0
	s_and_b32 vcc_lo, exec_lo, vcc_lo
	v_ashrrev_i32_e32 v2, 31, v10
	s_delay_alu instid0(VALU_DEP_2) | instskip(SKIP_1) | instid1(VALU_DEP_1)
	v_mul_f64 v[0:1], v[4:5], v[0:1]
	v_add_co_u32 v4, s0, s4, v10
	v_add_co_ci_u32_e64 v5, s0, s5, v2, s0
	s_delay_alu instid0(VALU_DEP_3)
	v_mul_f64 v[0:1], s[2:3], v[0:1]
	s_cbranch_vccnz .LBB118_2800
; %bb.2723:
	v_cmp_lt_i16_e32 vcc_lo, 25, v12
	s_mov_b32 s9, -1
	s_mov_b32 s7, 0
	s_mov_b32 s8, 0
	;; [unrolled: 1-line block ×3, first 2 shown]
	s_cbranch_vccz .LBB118_2756
; %bb.2724:
	v_cmp_lt_i16_e32 vcc_lo, 28, v12
	s_cbranch_vccz .LBB118_2739
; %bb.2725:
	v_cmp_lt_i16_e32 vcc_lo, 43, v12
	;; [unrolled: 3-line block ×3, first 2 shown]
	s_cbranch_vccz .LBB118_2729
; %bb.2727:
	v_cmp_eq_u16_e32 vcc_lo, 46, v12
	s_mov_b32 s0, -1
	s_mov_b32 s9, 0
	s_cbranch_vccz .LBB118_2729
; %bb.2728:
	v_cvt_f32_f64_e32 v2, v[0:1]
	s_mov_b32 s0, 0
	s_mov_b32 s8, -1
	s_delay_alu instid0(VALU_DEP_1) | instskip(SKIP_1) | instid1(VALU_DEP_2)
	v_bfe_u32 v3, v2, 16, 1
	v_cmp_o_f32_e32 vcc_lo, v2, v2
	v_add3_u32 v3, v2, v3, 0x7fff
	s_delay_alu instid0(VALU_DEP_1) | instskip(NEXT) | instid1(VALU_DEP_1)
	v_lshrrev_b32_e32 v3, 16, v3
	v_cndmask_b32_e32 v2, 0x7fc0, v3, vcc_lo
	global_store_b32 v[4:5], v2, off
.LBB118_2729:
	s_and_b32 vcc_lo, exec_lo, s9
	s_cbranch_vccz .LBB118_2734
; %bb.2730:
	v_cmp_eq_u16_e32 vcc_lo, 44, v12
	s_mov_b32 s0, -1
	s_cbranch_vccz .LBB118_2734
; %bb.2731:
	v_cvt_f32_f64_e32 v2, v[0:1]
	v_mov_b32_e32 v3, 0xff
	s_mov_b32 s8, exec_lo
	s_delay_alu instid0(VALU_DEP_2) | instskip(NEXT) | instid1(VALU_DEP_1)
	v_bfe_u32 v11, v2, 23, 8
	v_cmpx_ne_u32_e32 0xff, v11
; %bb.2732:
	v_and_b32_e32 v3, 0x400000, v2
	v_and_or_b32 v11, 0x3fffff, v2, v11
	v_lshrrev_b32_e32 v2, 23, v2
	s_delay_alu instid0(VALU_DEP_3) | instskip(NEXT) | instid1(VALU_DEP_3)
	v_cmp_ne_u32_e32 vcc_lo, 0, v3
	v_cmp_ne_u32_e64 s0, 0, v11
	s_delay_alu instid0(VALU_DEP_1) | instskip(NEXT) | instid1(SALU_CYCLE_1)
	s_and_b32 s0, vcc_lo, s0
	v_cndmask_b32_e64 v3, 0, 1, s0
	s_delay_alu instid0(VALU_DEP_1)
	v_add_nc_u32_e32 v3, v2, v3
; %bb.2733:
	s_or_b32 exec_lo, exec_lo, s8
	s_mov_b32 s0, 0
	s_mov_b32 s8, -1
	global_store_b8 v[4:5], v3, off
.LBB118_2734:
	s_mov_b32 s9, 0
.LBB118_2735:
	s_delay_alu instid0(SALU_CYCLE_1)
	s_and_b32 vcc_lo, exec_lo, s9
	s_cbranch_vccz .LBB118_2738
; %bb.2736:
	v_cmp_eq_u16_e32 vcc_lo, 29, v12
	s_mov_b32 s0, -1
	s_cbranch_vccz .LBB118_2738
; %bb.2737:
	v_trunc_f64_e32 v[2:3], v[0:1]
	s_mov_b32 s0, 0
	s_mov_b32 s8, -1
	s_delay_alu instid0(VALU_DEP_1) | instskip(NEXT) | instid1(VALU_DEP_1)
	v_ldexp_f64 v[13:14], v[2:3], 0xffffffe0
	v_floor_f64_e32 v[13:14], v[13:14]
	s_delay_alu instid0(VALU_DEP_1) | instskip(SKIP_1) | instid1(VALU_DEP_2)
	v_fma_f64 v[2:3], 0xc1f00000, v[13:14], v[2:3]
	v_cvt_u32_f64_e32 v14, v[13:14]
	v_cvt_u32_f64_e32 v13, v[2:3]
	global_store_b64 v[4:5], v[13:14], off
.LBB118_2738:
	s_mov_b32 s9, 0
.LBB118_2739:
	s_delay_alu instid0(SALU_CYCLE_1)
	s_and_b32 vcc_lo, exec_lo, s9
	s_cbranch_vccz .LBB118_2755
; %bb.2740:
	v_cmp_gt_i16_e32 vcc_lo, 27, v12
	s_mov_b32 s8, -1
	s_cbranch_vccnz .LBB118_2746
; %bb.2741:
	s_delay_alu instid0(VALU_DEP_4)
	v_cvt_u32_f64_e32 v2, v[0:1]
	v_cmp_lt_i16_e32 vcc_lo, 27, v12
	s_cbranch_vccz .LBB118_2743
; %bb.2742:
	s_mov_b32 s8, 0
	global_store_b32 v[4:5], v2, off
.LBB118_2743:
	s_and_not1_b32 vcc_lo, exec_lo, s8
	s_cbranch_vccnz .LBB118_2745
; %bb.2744:
	global_store_b16 v[4:5], v2, off
.LBB118_2745:
	s_mov_b32 s8, 0
.LBB118_2746:
	s_delay_alu instid0(SALU_CYCLE_1)
	s_and_not1_b32 vcc_lo, exec_lo, s8
	s_cbranch_vccnz .LBB118_2754
; %bb.2747:
	s_delay_alu instid0(VALU_DEP_4) | instskip(SKIP_2) | instid1(VALU_DEP_2)
	v_cvt_f32_f64_e32 v2, v[0:1]
	v_mov_b32_e32 v11, 0x80
	s_mov_b32 s8, exec_lo
	v_and_b32_e32 v3, 0x7fffffff, v2
	s_delay_alu instid0(VALU_DEP_1)
	v_cmpx_gt_u32_e32 0x43800000, v3
	s_cbranch_execz .LBB118_2753
; %bb.2748:
	v_cmp_lt_u32_e32 vcc_lo, 0x3bffffff, v3
	s_mov_b32 s9, 0
                                        ; implicit-def: $vgpr3
	s_and_saveexec_b32 s11, vcc_lo
	s_delay_alu instid0(SALU_CYCLE_1)
	s_xor_b32 s11, exec_lo, s11
	s_cbranch_execz .LBB118_3092
; %bb.2749:
	v_bfe_u32 v3, v2, 20, 1
	s_mov_b32 s9, exec_lo
	s_delay_alu instid0(VALU_DEP_1) | instskip(NEXT) | instid1(VALU_DEP_1)
	v_add3_u32 v3, v2, v3, 0x487ffff
	v_lshrrev_b32_e32 v3, 20, v3
	s_or_saveexec_b32 s11, s11
                                        ; implicit-def: $sgpr12
	s_delay_alu instid0(SALU_CYCLE_1)
	s_xor_b32 exec_lo, exec_lo, s11
	s_cbranch_execnz .LBB118_3093
.LBB118_2750:
	s_or_b32 exec_lo, exec_lo, s11
	v_mov_b32_e32 v11, s12
	s_and_saveexec_b32 s11, s9
.LBB118_2751:
	v_lshrrev_b32_e32 v2, 24, v2
	s_delay_alu instid0(VALU_DEP_1)
	v_and_or_b32 v11, 0x80, v2, v3
.LBB118_2752:
	s_or_b32 exec_lo, exec_lo, s11
.LBB118_2753:
	s_delay_alu instid0(SALU_CYCLE_1)
	s_or_b32 exec_lo, exec_lo, s8
	global_store_b8 v[4:5], v11, off
.LBB118_2754:
	s_mov_b32 s8, -1
.LBB118_2755:
	s_mov_b32 s9, 0
.LBB118_2756:
	s_delay_alu instid0(SALU_CYCLE_1)
	s_and_b32 vcc_lo, exec_lo, s9
	s_cbranch_vccz .LBB118_2796
; %bb.2757:
	v_cmp_lt_i16_e32 vcc_lo, 22, v12
	s_mov_b32 s7, -1
	s_cbranch_vccz .LBB118_2789
; %bb.2758:
	v_cmp_gt_i16_e32 vcc_lo, 24, v12
	s_cbranch_vccnz .LBB118_2778
; %bb.2759:
	v_cmp_lt_i16_e32 vcc_lo, 24, v12
	s_cbranch_vccz .LBB118_2767
; %bb.2760:
	v_cvt_f32_f64_e32 v2, v[0:1]
	v_mov_b32_e32 v11, 0x80
	s_mov_b32 s7, exec_lo
	s_delay_alu instid0(VALU_DEP_2) | instskip(NEXT) | instid1(VALU_DEP_1)
	v_and_b32_e32 v3, 0x7fffffff, v2
	v_cmpx_gt_u32_e32 0x47800000, v3
	s_cbranch_execz .LBB118_2766
; %bb.2761:
	v_cmp_lt_u32_e32 vcc_lo, 0x37ffffff, v3
	s_mov_b32 s8, 0
                                        ; implicit-def: $vgpr3
	s_and_saveexec_b32 s9, vcc_lo
	s_delay_alu instid0(SALU_CYCLE_1)
	s_xor_b32 s9, exec_lo, s9
	s_cbranch_execz .LBB118_3098
; %bb.2762:
	v_bfe_u32 v3, v2, 21, 1
	s_mov_b32 s8, exec_lo
	s_delay_alu instid0(VALU_DEP_1) | instskip(NEXT) | instid1(VALU_DEP_1)
	v_add3_u32 v3, v2, v3, 0x88fffff
	v_lshrrev_b32_e32 v3, 21, v3
	s_or_saveexec_b32 s9, s9
                                        ; implicit-def: $sgpr11
	s_delay_alu instid0(SALU_CYCLE_1)
	s_xor_b32 exec_lo, exec_lo, s9
	s_cbranch_execnz .LBB118_3099
.LBB118_2763:
	s_or_b32 exec_lo, exec_lo, s9
	v_mov_b32_e32 v11, s11
	s_and_saveexec_b32 s9, s8
.LBB118_2764:
	v_lshrrev_b32_e32 v2, 24, v2
	s_delay_alu instid0(VALU_DEP_1)
	v_and_or_b32 v11, 0x80, v2, v3
.LBB118_2765:
	s_or_b32 exec_lo, exec_lo, s9
.LBB118_2766:
	s_delay_alu instid0(SALU_CYCLE_1)
	s_or_b32 exec_lo, exec_lo, s7
	s_mov_b32 s7, 0
	global_store_b8 v[4:5], v11, off
.LBB118_2767:
	s_and_b32 vcc_lo, exec_lo, s7
	s_cbranch_vccz .LBB118_2777
; %bb.2768:
	v_cvt_f32_f64_e32 v2, v[0:1]
	s_mov_b32 s7, exec_lo
                                        ; implicit-def: $vgpr3
	s_delay_alu instid0(VALU_DEP_1) | instskip(NEXT) | instid1(VALU_DEP_1)
	v_and_b32_e32 v11, 0x7fffffff, v2
	v_cmpx_gt_u32_e32 0x43f00000, v11
	s_xor_b32 s7, exec_lo, s7
	s_cbranch_execz .LBB118_2774
; %bb.2769:
	s_mov_b32 s8, exec_lo
                                        ; implicit-def: $vgpr3
	v_cmpx_lt_u32_e32 0x3c7fffff, v11
	s_xor_b32 s8, exec_lo, s8
; %bb.2770:
	v_bfe_u32 v3, v2, 20, 1
	s_delay_alu instid0(VALU_DEP_1) | instskip(NEXT) | instid1(VALU_DEP_1)
	v_add3_u32 v3, v2, v3, 0x407ffff
	v_and_b32_e32 v11, 0xff00000, v3
	v_lshrrev_b32_e32 v3, 20, v3
	s_delay_alu instid0(VALU_DEP_2) | instskip(NEXT) | instid1(VALU_DEP_2)
	v_cmp_ne_u32_e32 vcc_lo, 0x7f00000, v11
	v_cndmask_b32_e32 v3, 0x7e, v3, vcc_lo
; %bb.2771:
	s_and_not1_saveexec_b32 s8, s8
; %bb.2772:
	v_add_f32_e64 v3, 0x46800000, |v2|
; %bb.2773:
	s_or_b32 exec_lo, exec_lo, s8
                                        ; implicit-def: $vgpr11
.LBB118_2774:
	s_and_not1_saveexec_b32 s7, s7
; %bb.2775:
	v_mov_b32_e32 v3, 0x7f
	v_cmp_lt_u32_e32 vcc_lo, 0x7f800000, v11
	s_delay_alu instid0(VALU_DEP_2)
	v_cndmask_b32_e32 v3, 0x7e, v3, vcc_lo
; %bb.2776:
	s_or_b32 exec_lo, exec_lo, s7
	v_lshrrev_b32_e32 v2, 24, v2
	s_delay_alu instid0(VALU_DEP_1)
	v_and_or_b32 v2, 0x80, v2, v3
	global_store_b8 v[4:5], v2, off
.LBB118_2777:
	s_mov_b32 s7, 0
.LBB118_2778:
	s_delay_alu instid0(SALU_CYCLE_1)
	s_and_not1_b32 vcc_lo, exec_lo, s7
	s_cbranch_vccnz .LBB118_2788
; %bb.2779:
	s_delay_alu instid0(VALU_DEP_4) | instskip(SKIP_1) | instid1(VALU_DEP_1)
	v_cvt_f32_f64_e32 v2, v[0:1]
	s_mov_b32 s7, exec_lo
                                        ; implicit-def: $vgpr3
	v_and_b32_e32 v11, 0x7fffffff, v2
	s_delay_alu instid0(VALU_DEP_1)
	v_cmpx_gt_u32_e32 0x47800000, v11
	s_xor_b32 s7, exec_lo, s7
	s_cbranch_execz .LBB118_2785
; %bb.2780:
	s_mov_b32 s8, exec_lo
                                        ; implicit-def: $vgpr3
	v_cmpx_lt_u32_e32 0x387fffff, v11
	s_xor_b32 s8, exec_lo, s8
; %bb.2781:
	v_bfe_u32 v3, v2, 21, 1
	s_delay_alu instid0(VALU_DEP_1) | instskip(NEXT) | instid1(VALU_DEP_1)
	v_add3_u32 v3, v2, v3, 0x80fffff
	v_lshrrev_b32_e32 v3, 21, v3
; %bb.2782:
	s_and_not1_saveexec_b32 s8, s8
; %bb.2783:
	v_add_f32_e64 v3, 0x43000000, |v2|
; %bb.2784:
	s_or_b32 exec_lo, exec_lo, s8
                                        ; implicit-def: $vgpr11
.LBB118_2785:
	s_and_not1_saveexec_b32 s7, s7
; %bb.2786:
	v_mov_b32_e32 v3, 0x7f
	v_cmp_lt_u32_e32 vcc_lo, 0x7f800000, v11
	s_delay_alu instid0(VALU_DEP_2)
	v_cndmask_b32_e32 v3, 0x7c, v3, vcc_lo
; %bb.2787:
	s_or_b32 exec_lo, exec_lo, s7
	v_lshrrev_b32_e32 v2, 24, v2
	s_delay_alu instid0(VALU_DEP_1)
	v_and_or_b32 v2, 0x80, v2, v3
	global_store_b8 v[4:5], v2, off
.LBB118_2788:
	s_mov_b32 s7, 0
	s_mov_b32 s8, -1
.LBB118_2789:
	s_and_not1_b32 vcc_lo, exec_lo, s7
	s_mov_b32 s7, 0
	s_cbranch_vccnz .LBB118_2796
; %bb.2790:
	v_cmp_lt_i16_e32 vcc_lo, 14, v12
	s_mov_b32 s7, -1
	s_cbranch_vccz .LBB118_2794
; %bb.2791:
	v_cmp_eq_u16_e32 vcc_lo, 15, v12
	s_mov_b32 s0, -1
	s_cbranch_vccz .LBB118_2793
; %bb.2792:
	v_cvt_f32_f64_e32 v2, v[0:1]
	s_mov_b32 s0, 0
	s_mov_b32 s8, -1
	s_delay_alu instid0(VALU_DEP_1) | instskip(SKIP_1) | instid1(VALU_DEP_2)
	v_bfe_u32 v3, v2, 16, 1
	v_cmp_o_f32_e32 vcc_lo, v2, v2
	v_add3_u32 v3, v2, v3, 0x7fff
	s_delay_alu instid0(VALU_DEP_1) | instskip(NEXT) | instid1(VALU_DEP_1)
	v_lshrrev_b32_e32 v3, 16, v3
	v_cndmask_b32_e32 v2, 0x7fc0, v3, vcc_lo
	global_store_b16 v[4:5], v2, off
.LBB118_2793:
	s_mov_b32 s7, 0
.LBB118_2794:
	s_delay_alu instid0(SALU_CYCLE_1)
	s_and_b32 vcc_lo, exec_lo, s7
	s_mov_b32 s7, 0
	s_cbranch_vccz .LBB118_2796
; %bb.2795:
	v_cmp_ne_u16_e64 s0, 11, v12
	s_mov_b32 s7, -1
.LBB118_2796:
	s_delay_alu instid0(VALU_DEP_1)
	s_and_b32 vcc_lo, exec_lo, s0
	s_cbranch_vccnz .LBB118_3096
; %bb.2797:
	s_and_not1_b32 vcc_lo, exec_lo, s7
	s_cbranch_vccnz .LBB118_2799
.LBB118_2798:
	s_delay_alu instid0(VALU_DEP_2)
	v_cmp_neq_f64_e32 vcc_lo, 0, v[0:1]
	s_mov_b32 s8, -1
	v_cndmask_b32_e64 v2, 0, 1, vcc_lo
	global_store_b8 v[4:5], v2, off
.LBB118_2799:
	s_mov_b32 s0, 0
	s_branch .LBB118_2801
.LBB118_2800:
	s_mov_b32 s0, -1
	s_mov_b32 s8, 0
.LBB118_2801:
	s_and_b32 vcc_lo, exec_lo, s0
	s_cbranch_vccz .LBB118_2840
; %bb.2802:
	v_cmp_gt_i16_e32 vcc_lo, 5, v12
	s_mov_b32 s0, -1
	s_cbranch_vccnz .LBB118_2823
; %bb.2803:
	v_cmp_gt_i16_e32 vcc_lo, 8, v12
	s_cbranch_vccnz .LBB118_2813
; %bb.2804:
	v_cmp_gt_i16_e32 vcc_lo, 9, v12
	s_cbranch_vccnz .LBB118_2810
; %bb.2805:
	v_cmp_lt_i16_e32 vcc_lo, 9, v12
	s_cbranch_vccz .LBB118_2807
; %bb.2806:
	v_mov_b32_e32 v2, 0
	s_mov_b32 s0, 0
	s_delay_alu instid0(VALU_DEP_1)
	v_mov_b32_e32 v3, v2
	global_store_b128 v[4:5], v[0:3], off
.LBB118_2807:
	s_and_not1_b32 vcc_lo, exec_lo, s0
	s_cbranch_vccnz .LBB118_2809
; %bb.2808:
	v_cvt_f32_f64_e32 v2, v[0:1]
	v_mov_b32_e32 v3, 0
	global_store_b64 v[4:5], v[2:3], off
.LBB118_2809:
	s_mov_b32 s0, 0
.LBB118_2810:
	s_delay_alu instid0(SALU_CYCLE_1)
	s_and_not1_b32 vcc_lo, exec_lo, s0
	s_cbranch_vccnz .LBB118_2812
; %bb.2811:
	s_delay_alu instid0(VALU_DEP_4) | instskip(NEXT) | instid1(VALU_DEP_1)
	v_cvt_f32_f64_e32 v2, v[0:1]
	v_cvt_f16_f32_e32 v2, v2
	s_delay_alu instid0(VALU_DEP_1)
	v_and_b32_e32 v2, 0xffff, v2
	global_store_b32 v[4:5], v2, off
.LBB118_2812:
	s_mov_b32 s0, 0
.LBB118_2813:
	s_delay_alu instid0(SALU_CYCLE_1)
	s_and_not1_b32 vcc_lo, exec_lo, s0
	s_cbranch_vccnz .LBB118_2822
; %bb.2814:
	v_cmp_gt_i16_e32 vcc_lo, 6, v12
	s_mov_b32 s0, -1
	s_cbranch_vccnz .LBB118_2820
; %bb.2815:
	v_cmp_lt_i16_e32 vcc_lo, 6, v12
	s_cbranch_vccz .LBB118_2817
; %bb.2816:
	s_mov_b32 s0, 0
	global_store_b64 v[4:5], v[0:1], off
.LBB118_2817:
	s_and_not1_b32 vcc_lo, exec_lo, s0
	s_cbranch_vccnz .LBB118_2819
; %bb.2818:
	v_cvt_f32_f64_e32 v2, v[0:1]
	global_store_b32 v[4:5], v2, off
.LBB118_2819:
	s_mov_b32 s0, 0
.LBB118_2820:
	s_delay_alu instid0(SALU_CYCLE_1)
	s_and_not1_b32 vcc_lo, exec_lo, s0
	s_cbranch_vccnz .LBB118_2822
; %bb.2821:
	s_delay_alu instid0(VALU_DEP_4) | instskip(NEXT) | instid1(VALU_DEP_1)
	v_cvt_f32_f64_e32 v2, v[0:1]
	v_cvt_f16_f32_e32 v2, v2
	global_store_b16 v[4:5], v2, off
.LBB118_2822:
	s_mov_b32 s0, 0
.LBB118_2823:
	s_delay_alu instid0(SALU_CYCLE_1)
	s_and_not1_b32 vcc_lo, exec_lo, s0
	s_cbranch_vccnz .LBB118_2839
; %bb.2824:
	v_cmp_gt_i16_e32 vcc_lo, 2, v12
	s_mov_b32 s0, -1
	s_cbranch_vccnz .LBB118_2834
; %bb.2825:
	v_cmp_gt_i16_e32 vcc_lo, 3, v12
	s_cbranch_vccnz .LBB118_2831
; %bb.2826:
	v_cmp_lt_i16_e32 vcc_lo, 3, v12
	s_cbranch_vccz .LBB118_2828
; %bb.2827:
	v_trunc_f64_e32 v[2:3], v[0:1]
	s_mov_b32 s0, 0
	s_delay_alu instid0(VALU_DEP_1) | instskip(NEXT) | instid1(VALU_DEP_1)
	v_ldexp_f64 v[13:14], v[2:3], 0xffffffe0
	v_floor_f64_e32 v[13:14], v[13:14]
	s_delay_alu instid0(VALU_DEP_1) | instskip(SKIP_1) | instid1(VALU_DEP_2)
	v_fma_f64 v[2:3], 0xc1f00000, v[13:14], v[2:3]
	v_cvt_i32_f64_e32 v14, v[13:14]
	v_cvt_u32_f64_e32 v13, v[2:3]
	global_store_b64 v[4:5], v[13:14], off
.LBB118_2828:
	s_and_not1_b32 vcc_lo, exec_lo, s0
	s_cbranch_vccnz .LBB118_2830
; %bb.2829:
	v_cvt_i32_f64_e32 v2, v[0:1]
	global_store_b32 v[4:5], v2, off
.LBB118_2830:
	s_mov_b32 s0, 0
.LBB118_2831:
	s_delay_alu instid0(SALU_CYCLE_1)
	s_and_not1_b32 vcc_lo, exec_lo, s0
	s_cbranch_vccnz .LBB118_2833
; %bb.2832:
	s_delay_alu instid0(VALU_DEP_4)
	v_cvt_i32_f64_e32 v2, v[0:1]
	global_store_b16 v[4:5], v2, off
.LBB118_2833:
	s_mov_b32 s0, 0
.LBB118_2834:
	s_delay_alu instid0(SALU_CYCLE_1)
	s_and_not1_b32 vcc_lo, exec_lo, s0
	s_cbranch_vccnz .LBB118_2839
; %bb.2835:
	v_cmp_lt_i16_e32 vcc_lo, 0, v12
	s_mov_b32 s0, -1
	s_cbranch_vccz .LBB118_2837
; %bb.2836:
	s_delay_alu instid0(VALU_DEP_4)
	v_cvt_i32_f64_e32 v2, v[0:1]
	s_mov_b32 s0, 0
	global_store_b8 v[4:5], v2, off
.LBB118_2837:
	s_and_not1_b32 vcc_lo, exec_lo, s0
	s_cbranch_vccnz .LBB118_2839
; %bb.2838:
	s_delay_alu instid0(VALU_DEP_4) | instskip(NEXT) | instid1(VALU_DEP_1)
	v_trunc_f64_e32 v[0:1], v[0:1]
	v_ldexp_f64 v[2:3], v[0:1], 0xffffffe0
	s_delay_alu instid0(VALU_DEP_1) | instskip(NEXT) | instid1(VALU_DEP_1)
	v_floor_f64_e32 v[2:3], v[2:3]
	v_fma_f64 v[0:1], 0xc1f00000, v[2:3], v[0:1]
	s_delay_alu instid0(VALU_DEP_1)
	v_cvt_u32_f64_e32 v0, v[0:1]
	global_store_b8 v[4:5], v0, off
.LBB118_2839:
	s_mov_b32 s8, -1
.LBB118_2840:
	s_delay_alu instid0(SALU_CYCLE_1)
	s_and_not1_b32 vcc_lo, exec_lo, s8
	s_cbranch_vccnz .LBB118_3036
; %bb.2841:
	v_cndmask_b32_e64 v0, 0, 1, s10
	v_cmp_gt_i16_e32 vcc_lo, 11, v12
	s_delay_alu instid0(VALU_DEP_2) | instskip(SKIP_1) | instid1(VALU_DEP_1)
	v_cvt_f64_u32_e32 v[0:1], v0
	s_and_b32 vcc_lo, exec_lo, vcc_lo
	v_mul_f64 v[0:1], v[6:7], v[0:1]
	v_add_nc_u32_e32 v6, s6, v10
	s_delay_alu instid0(VALU_DEP_1) | instskip(SKIP_1) | instid1(VALU_DEP_1)
	v_ashrrev_i32_e32 v2, 31, v6
	v_add_co_u32 v4, s0, s4, v6
	v_add_co_ci_u32_e64 v5, s0, s5, v2, s0
	v_mul_f64 v[0:1], s[2:3], v[0:1]
	s_cbranch_vccnz .LBB118_2919
; %bb.2842:
	v_cmp_lt_i16_e32 vcc_lo, 25, v12
	s_mov_b32 s9, -1
	s_mov_b32 s7, 0
	s_mov_b32 s8, 0
	;; [unrolled: 1-line block ×3, first 2 shown]
	s_cbranch_vccz .LBB118_2875
; %bb.2843:
	v_cmp_lt_i16_e32 vcc_lo, 28, v12
	s_cbranch_vccz .LBB118_2858
; %bb.2844:
	v_cmp_lt_i16_e32 vcc_lo, 43, v12
	;; [unrolled: 3-line block ×3, first 2 shown]
	s_cbranch_vccz .LBB118_2848
; %bb.2846:
	v_cmp_eq_u16_e32 vcc_lo, 46, v12
	s_mov_b32 s0, -1
	s_mov_b32 s9, 0
	s_cbranch_vccz .LBB118_2848
; %bb.2847:
	v_cvt_f32_f64_e32 v2, v[0:1]
	s_mov_b32 s0, 0
	s_mov_b32 s8, -1
	s_delay_alu instid0(VALU_DEP_1) | instskip(SKIP_1) | instid1(VALU_DEP_2)
	v_bfe_u32 v3, v2, 16, 1
	v_cmp_o_f32_e32 vcc_lo, v2, v2
	v_add3_u32 v3, v2, v3, 0x7fff
	s_delay_alu instid0(VALU_DEP_1) | instskip(NEXT) | instid1(VALU_DEP_1)
	v_lshrrev_b32_e32 v3, 16, v3
	v_cndmask_b32_e32 v2, 0x7fc0, v3, vcc_lo
	global_store_b32 v[4:5], v2, off
.LBB118_2848:
	s_and_b32 vcc_lo, exec_lo, s9
	s_cbranch_vccz .LBB118_2853
; %bb.2849:
	v_cmp_eq_u16_e32 vcc_lo, 44, v12
	s_mov_b32 s0, -1
	s_cbranch_vccz .LBB118_2853
; %bb.2850:
	v_cvt_f32_f64_e32 v2, v[0:1]
	v_mov_b32_e32 v3, 0xff
	s_mov_b32 s8, exec_lo
	s_delay_alu instid0(VALU_DEP_2) | instskip(NEXT) | instid1(VALU_DEP_1)
	v_bfe_u32 v7, v2, 23, 8
	v_cmpx_ne_u32_e32 0xff, v7
; %bb.2851:
	v_and_b32_e32 v3, 0x400000, v2
	v_and_or_b32 v7, 0x3fffff, v2, v7
	v_lshrrev_b32_e32 v2, 23, v2
	s_delay_alu instid0(VALU_DEP_3) | instskip(NEXT) | instid1(VALU_DEP_3)
	v_cmp_ne_u32_e32 vcc_lo, 0, v3
	v_cmp_ne_u32_e64 s0, 0, v7
	s_delay_alu instid0(VALU_DEP_1) | instskip(NEXT) | instid1(SALU_CYCLE_1)
	s_and_b32 s0, vcc_lo, s0
	v_cndmask_b32_e64 v3, 0, 1, s0
	s_delay_alu instid0(VALU_DEP_1)
	v_add_nc_u32_e32 v3, v2, v3
; %bb.2852:
	s_or_b32 exec_lo, exec_lo, s8
	s_mov_b32 s0, 0
	s_mov_b32 s8, -1
	global_store_b8 v[4:5], v3, off
.LBB118_2853:
	s_mov_b32 s9, 0
.LBB118_2854:
	s_delay_alu instid0(SALU_CYCLE_1)
	s_and_b32 vcc_lo, exec_lo, s9
	s_cbranch_vccz .LBB118_2857
; %bb.2855:
	v_cmp_eq_u16_e32 vcc_lo, 29, v12
	s_mov_b32 s0, -1
	s_cbranch_vccz .LBB118_2857
; %bb.2856:
	v_trunc_f64_e32 v[2:3], v[0:1]
	s_mov_b32 s0, 0
	s_mov_b32 s8, -1
	s_delay_alu instid0(VALU_DEP_1) | instskip(NEXT) | instid1(VALU_DEP_1)
	v_ldexp_f64 v[10:11], v[2:3], 0xffffffe0
	v_floor_f64_e32 v[10:11], v[10:11]
	s_delay_alu instid0(VALU_DEP_1) | instskip(SKIP_1) | instid1(VALU_DEP_2)
	v_fma_f64 v[2:3], 0xc1f00000, v[10:11], v[2:3]
	v_cvt_u32_f64_e32 v11, v[10:11]
	v_cvt_u32_f64_e32 v10, v[2:3]
	global_store_b64 v[4:5], v[10:11], off
.LBB118_2857:
	s_mov_b32 s9, 0
.LBB118_2858:
	s_delay_alu instid0(SALU_CYCLE_1)
	s_and_b32 vcc_lo, exec_lo, s9
	s_cbranch_vccz .LBB118_2874
; %bb.2859:
	v_cmp_gt_i16_e32 vcc_lo, 27, v12
	s_mov_b32 s8, -1
	s_cbranch_vccnz .LBB118_2865
; %bb.2860:
	v_cmp_lt_i16_e32 vcc_lo, 27, v12
	s_cbranch_vccz .LBB118_2862
; %bb.2861:
	v_cvt_u32_f64_e32 v2, v[0:1]
	s_mov_b32 s8, 0
	global_store_b32 v[4:5], v2, off
.LBB118_2862:
	s_and_not1_b32 vcc_lo, exec_lo, s8
	s_cbranch_vccnz .LBB118_2864
; %bb.2863:
	v_cvt_u32_f64_e32 v2, v[0:1]
	global_store_b16 v[4:5], v2, off
.LBB118_2864:
	s_mov_b32 s8, 0
.LBB118_2865:
	s_delay_alu instid0(SALU_CYCLE_1)
	s_and_not1_b32 vcc_lo, exec_lo, s8
	s_cbranch_vccnz .LBB118_2873
; %bb.2866:
	s_delay_alu instid0(VALU_DEP_4) | instskip(SKIP_2) | instid1(VALU_DEP_2)
	v_cvt_f32_f64_e32 v2, v[0:1]
	v_mov_b32_e32 v7, 0x80
	s_mov_b32 s8, exec_lo
	v_and_b32_e32 v3, 0x7fffffff, v2
	s_delay_alu instid0(VALU_DEP_1)
	v_cmpx_gt_u32_e32 0x43800000, v3
	s_cbranch_execz .LBB118_2872
; %bb.2867:
	v_cmp_lt_u32_e32 vcc_lo, 0x3bffffff, v3
	s_mov_b32 s9, 0
                                        ; implicit-def: $vgpr3
	s_and_saveexec_b32 s10, vcc_lo
	s_delay_alu instid0(SALU_CYCLE_1)
	s_xor_b32 s10, exec_lo, s10
	s_cbranch_execz .LBB118_3100
; %bb.2868:
	v_bfe_u32 v3, v2, 20, 1
	s_mov_b32 s9, exec_lo
	s_delay_alu instid0(VALU_DEP_1) | instskip(NEXT) | instid1(VALU_DEP_1)
	v_add3_u32 v3, v2, v3, 0x487ffff
	v_lshrrev_b32_e32 v3, 20, v3
	s_or_saveexec_b32 s10, s10
                                        ; implicit-def: $sgpr11
	s_delay_alu instid0(SALU_CYCLE_1)
	s_xor_b32 exec_lo, exec_lo, s10
	s_cbranch_execnz .LBB118_3101
.LBB118_2869:
	s_or_b32 exec_lo, exec_lo, s10
	v_mov_b32_e32 v7, s11
	s_and_saveexec_b32 s10, s9
.LBB118_2870:
	v_lshrrev_b32_e32 v2, 24, v2
	s_delay_alu instid0(VALU_DEP_1)
	v_and_or_b32 v7, 0x80, v2, v3
.LBB118_2871:
	s_or_b32 exec_lo, exec_lo, s10
.LBB118_2872:
	s_delay_alu instid0(SALU_CYCLE_1)
	s_or_b32 exec_lo, exec_lo, s8
	global_store_b8 v[4:5], v7, off
.LBB118_2873:
	s_mov_b32 s8, -1
.LBB118_2874:
	s_mov_b32 s9, 0
.LBB118_2875:
	s_delay_alu instid0(SALU_CYCLE_1)
	s_and_b32 vcc_lo, exec_lo, s9
	s_cbranch_vccz .LBB118_2915
; %bb.2876:
	v_cmp_lt_i16_e32 vcc_lo, 22, v12
	s_mov_b32 s7, -1
	s_cbranch_vccz .LBB118_2908
; %bb.2877:
	v_cmp_gt_i16_e32 vcc_lo, 24, v12
	s_cbranch_vccnz .LBB118_2897
; %bb.2878:
	v_cmp_lt_i16_e32 vcc_lo, 24, v12
	s_cbranch_vccz .LBB118_2886
; %bb.2879:
	v_cvt_f32_f64_e32 v2, v[0:1]
	v_mov_b32_e32 v7, 0x80
	s_mov_b32 s7, exec_lo
	s_delay_alu instid0(VALU_DEP_2) | instskip(NEXT) | instid1(VALU_DEP_1)
	v_and_b32_e32 v3, 0x7fffffff, v2
	v_cmpx_gt_u32_e32 0x47800000, v3
	s_cbranch_execz .LBB118_2885
; %bb.2880:
	v_cmp_lt_u32_e32 vcc_lo, 0x37ffffff, v3
	s_mov_b32 s8, 0
                                        ; implicit-def: $vgpr3
	s_and_saveexec_b32 s9, vcc_lo
	s_delay_alu instid0(SALU_CYCLE_1)
	s_xor_b32 s9, exec_lo, s9
	s_cbranch_execz .LBB118_3106
; %bb.2881:
	v_bfe_u32 v3, v2, 21, 1
	s_mov_b32 s8, exec_lo
	s_delay_alu instid0(VALU_DEP_1) | instskip(NEXT) | instid1(VALU_DEP_1)
	v_add3_u32 v3, v2, v3, 0x88fffff
	v_lshrrev_b32_e32 v3, 21, v3
	s_or_saveexec_b32 s9, s9
                                        ; implicit-def: $sgpr10
	s_delay_alu instid0(SALU_CYCLE_1)
	s_xor_b32 exec_lo, exec_lo, s9
	s_cbranch_execnz .LBB118_3107
.LBB118_2882:
	s_or_b32 exec_lo, exec_lo, s9
	v_mov_b32_e32 v7, s10
	s_and_saveexec_b32 s9, s8
.LBB118_2883:
	v_lshrrev_b32_e32 v2, 24, v2
	s_delay_alu instid0(VALU_DEP_1)
	v_and_or_b32 v7, 0x80, v2, v3
.LBB118_2884:
	s_or_b32 exec_lo, exec_lo, s9
.LBB118_2885:
	s_delay_alu instid0(SALU_CYCLE_1)
	s_or_b32 exec_lo, exec_lo, s7
	s_mov_b32 s7, 0
	global_store_b8 v[4:5], v7, off
.LBB118_2886:
	s_and_b32 vcc_lo, exec_lo, s7
	s_cbranch_vccz .LBB118_2896
; %bb.2887:
	v_cvt_f32_f64_e32 v2, v[0:1]
	s_mov_b32 s7, exec_lo
                                        ; implicit-def: $vgpr3
	s_delay_alu instid0(VALU_DEP_1) | instskip(NEXT) | instid1(VALU_DEP_1)
	v_and_b32_e32 v7, 0x7fffffff, v2
	v_cmpx_gt_u32_e32 0x43f00000, v7
	s_xor_b32 s7, exec_lo, s7
	s_cbranch_execz .LBB118_2893
; %bb.2888:
	s_mov_b32 s8, exec_lo
                                        ; implicit-def: $vgpr3
	v_cmpx_lt_u32_e32 0x3c7fffff, v7
	s_xor_b32 s8, exec_lo, s8
; %bb.2889:
	v_bfe_u32 v3, v2, 20, 1
	s_delay_alu instid0(VALU_DEP_1) | instskip(NEXT) | instid1(VALU_DEP_1)
	v_add3_u32 v3, v2, v3, 0x407ffff
	v_and_b32_e32 v7, 0xff00000, v3
	v_lshrrev_b32_e32 v3, 20, v3
	s_delay_alu instid0(VALU_DEP_2) | instskip(NEXT) | instid1(VALU_DEP_2)
	v_cmp_ne_u32_e32 vcc_lo, 0x7f00000, v7
	v_cndmask_b32_e32 v3, 0x7e, v3, vcc_lo
; %bb.2890:
	s_and_not1_saveexec_b32 s8, s8
; %bb.2891:
	v_add_f32_e64 v3, 0x46800000, |v2|
; %bb.2892:
	s_or_b32 exec_lo, exec_lo, s8
                                        ; implicit-def: $vgpr7
.LBB118_2893:
	s_and_not1_saveexec_b32 s7, s7
; %bb.2894:
	v_mov_b32_e32 v3, 0x7f
	v_cmp_lt_u32_e32 vcc_lo, 0x7f800000, v7
	s_delay_alu instid0(VALU_DEP_2)
	v_cndmask_b32_e32 v3, 0x7e, v3, vcc_lo
; %bb.2895:
	s_or_b32 exec_lo, exec_lo, s7
	v_lshrrev_b32_e32 v2, 24, v2
	s_delay_alu instid0(VALU_DEP_1)
	v_and_or_b32 v2, 0x80, v2, v3
	global_store_b8 v[4:5], v2, off
.LBB118_2896:
	s_mov_b32 s7, 0
.LBB118_2897:
	s_delay_alu instid0(SALU_CYCLE_1)
	s_and_not1_b32 vcc_lo, exec_lo, s7
	s_cbranch_vccnz .LBB118_2907
; %bb.2898:
	s_delay_alu instid0(VALU_DEP_4) | instskip(SKIP_1) | instid1(VALU_DEP_1)
	v_cvt_f32_f64_e32 v2, v[0:1]
	s_mov_b32 s7, exec_lo
                                        ; implicit-def: $vgpr3
	v_and_b32_e32 v7, 0x7fffffff, v2
	s_delay_alu instid0(VALU_DEP_1)
	v_cmpx_gt_u32_e32 0x47800000, v7
	s_xor_b32 s7, exec_lo, s7
	s_cbranch_execz .LBB118_2904
; %bb.2899:
	s_mov_b32 s8, exec_lo
                                        ; implicit-def: $vgpr3
	v_cmpx_lt_u32_e32 0x387fffff, v7
	s_xor_b32 s8, exec_lo, s8
; %bb.2900:
	v_bfe_u32 v3, v2, 21, 1
	s_delay_alu instid0(VALU_DEP_1) | instskip(NEXT) | instid1(VALU_DEP_1)
	v_add3_u32 v3, v2, v3, 0x80fffff
	v_lshrrev_b32_e32 v3, 21, v3
; %bb.2901:
	s_and_not1_saveexec_b32 s8, s8
; %bb.2902:
	v_add_f32_e64 v3, 0x43000000, |v2|
; %bb.2903:
	s_or_b32 exec_lo, exec_lo, s8
                                        ; implicit-def: $vgpr7
.LBB118_2904:
	s_and_not1_saveexec_b32 s7, s7
; %bb.2905:
	v_mov_b32_e32 v3, 0x7f
	v_cmp_lt_u32_e32 vcc_lo, 0x7f800000, v7
	s_delay_alu instid0(VALU_DEP_2)
	v_cndmask_b32_e32 v3, 0x7c, v3, vcc_lo
; %bb.2906:
	s_or_b32 exec_lo, exec_lo, s7
	v_lshrrev_b32_e32 v2, 24, v2
	s_delay_alu instid0(VALU_DEP_1)
	v_and_or_b32 v2, 0x80, v2, v3
	global_store_b8 v[4:5], v2, off
.LBB118_2907:
	s_mov_b32 s7, 0
	s_mov_b32 s8, -1
.LBB118_2908:
	s_and_not1_b32 vcc_lo, exec_lo, s7
	s_mov_b32 s7, 0
	s_cbranch_vccnz .LBB118_2915
; %bb.2909:
	v_cmp_lt_i16_e32 vcc_lo, 14, v12
	s_mov_b32 s7, -1
	s_cbranch_vccz .LBB118_2913
; %bb.2910:
	v_cmp_eq_u16_e32 vcc_lo, 15, v12
	s_mov_b32 s0, -1
	s_cbranch_vccz .LBB118_2912
; %bb.2911:
	v_cvt_f32_f64_e32 v2, v[0:1]
	s_mov_b32 s0, 0
	s_mov_b32 s8, -1
	s_delay_alu instid0(VALU_DEP_1) | instskip(SKIP_1) | instid1(VALU_DEP_2)
	v_bfe_u32 v3, v2, 16, 1
	v_cmp_o_f32_e32 vcc_lo, v2, v2
	v_add3_u32 v3, v2, v3, 0x7fff
	s_delay_alu instid0(VALU_DEP_1) | instskip(NEXT) | instid1(VALU_DEP_1)
	v_lshrrev_b32_e32 v3, 16, v3
	v_cndmask_b32_e32 v2, 0x7fc0, v3, vcc_lo
	global_store_b16 v[4:5], v2, off
.LBB118_2912:
	s_mov_b32 s7, 0
.LBB118_2913:
	s_delay_alu instid0(SALU_CYCLE_1)
	s_and_b32 vcc_lo, exec_lo, s7
	s_mov_b32 s7, 0
	s_cbranch_vccz .LBB118_2915
; %bb.2914:
	v_cmp_ne_u16_e64 s0, 11, v12
	s_mov_b32 s7, -1
.LBB118_2915:
	s_delay_alu instid0(VALU_DEP_1)
	s_and_b32 vcc_lo, exec_lo, s0
	s_cbranch_vccnz .LBB118_3104
; %bb.2916:
	s_and_not1_b32 vcc_lo, exec_lo, s7
	s_cbranch_vccnz .LBB118_2918
.LBB118_2917:
	s_delay_alu instid0(VALU_DEP_2)
	v_cmp_neq_f64_e32 vcc_lo, 0, v[0:1]
	s_mov_b32 s8, -1
	v_cndmask_b32_e64 v2, 0, 1, vcc_lo
	global_store_b8 v[4:5], v2, off
.LBB118_2918:
	s_mov_b32 s0, 0
	s_branch .LBB118_2920
.LBB118_2919:
	s_mov_b32 s0, -1
	s_mov_b32 s8, 0
.LBB118_2920:
	s_and_b32 vcc_lo, exec_lo, s0
	s_cbranch_vccz .LBB118_2959
; %bb.2921:
	v_cmp_gt_i16_e32 vcc_lo, 5, v12
	s_mov_b32 s0, -1
	s_cbranch_vccnz .LBB118_2942
; %bb.2922:
	v_cmp_gt_i16_e32 vcc_lo, 8, v12
	s_cbranch_vccnz .LBB118_2932
; %bb.2923:
	v_cmp_gt_i16_e32 vcc_lo, 9, v12
	s_cbranch_vccnz .LBB118_2929
; %bb.2924:
	v_cmp_lt_i16_e32 vcc_lo, 9, v12
	s_cbranch_vccz .LBB118_2926
; %bb.2925:
	v_mov_b32_e32 v2, 0
	s_mov_b32 s0, 0
	s_delay_alu instid0(VALU_DEP_1)
	v_mov_b32_e32 v3, v2
	global_store_b128 v[4:5], v[0:3], off
.LBB118_2926:
	s_and_not1_b32 vcc_lo, exec_lo, s0
	s_cbranch_vccnz .LBB118_2928
; %bb.2927:
	v_cvt_f32_f64_e32 v2, v[0:1]
	v_mov_b32_e32 v3, 0
	global_store_b64 v[4:5], v[2:3], off
.LBB118_2928:
	s_mov_b32 s0, 0
.LBB118_2929:
	s_delay_alu instid0(SALU_CYCLE_1)
	s_and_not1_b32 vcc_lo, exec_lo, s0
	s_cbranch_vccnz .LBB118_2931
; %bb.2930:
	s_delay_alu instid0(VALU_DEP_4) | instskip(NEXT) | instid1(VALU_DEP_1)
	v_cvt_f32_f64_e32 v2, v[0:1]
	v_cvt_f16_f32_e32 v2, v2
	s_delay_alu instid0(VALU_DEP_1)
	v_and_b32_e32 v2, 0xffff, v2
	global_store_b32 v[4:5], v2, off
.LBB118_2931:
	s_mov_b32 s0, 0
.LBB118_2932:
	s_delay_alu instid0(SALU_CYCLE_1)
	s_and_not1_b32 vcc_lo, exec_lo, s0
	s_cbranch_vccnz .LBB118_2941
; %bb.2933:
	v_cmp_gt_i16_e32 vcc_lo, 6, v12
	s_mov_b32 s0, -1
	s_cbranch_vccnz .LBB118_2939
; %bb.2934:
	v_cmp_lt_i16_e32 vcc_lo, 6, v12
	s_cbranch_vccz .LBB118_2936
; %bb.2935:
	s_mov_b32 s0, 0
	global_store_b64 v[4:5], v[0:1], off
.LBB118_2936:
	s_and_not1_b32 vcc_lo, exec_lo, s0
	s_cbranch_vccnz .LBB118_2938
; %bb.2937:
	v_cvt_f32_f64_e32 v2, v[0:1]
	global_store_b32 v[4:5], v2, off
.LBB118_2938:
	s_mov_b32 s0, 0
.LBB118_2939:
	s_delay_alu instid0(SALU_CYCLE_1)
	s_and_not1_b32 vcc_lo, exec_lo, s0
	s_cbranch_vccnz .LBB118_2941
; %bb.2940:
	s_delay_alu instid0(VALU_DEP_4) | instskip(NEXT) | instid1(VALU_DEP_1)
	v_cvt_f32_f64_e32 v2, v[0:1]
	v_cvt_f16_f32_e32 v2, v2
	global_store_b16 v[4:5], v2, off
.LBB118_2941:
	s_mov_b32 s0, 0
.LBB118_2942:
	s_delay_alu instid0(SALU_CYCLE_1)
	s_and_not1_b32 vcc_lo, exec_lo, s0
	s_cbranch_vccnz .LBB118_2958
; %bb.2943:
	v_cmp_gt_i16_e32 vcc_lo, 2, v12
	s_mov_b32 s0, -1
	s_cbranch_vccnz .LBB118_2953
; %bb.2944:
	v_cmp_gt_i16_e32 vcc_lo, 3, v12
	s_cbranch_vccnz .LBB118_2950
; %bb.2945:
	v_cmp_lt_i16_e32 vcc_lo, 3, v12
	s_cbranch_vccz .LBB118_2947
; %bb.2946:
	v_trunc_f64_e32 v[2:3], v[0:1]
	s_mov_b32 s0, 0
	s_delay_alu instid0(VALU_DEP_1) | instskip(NEXT) | instid1(VALU_DEP_1)
	v_ldexp_f64 v[10:11], v[2:3], 0xffffffe0
	v_floor_f64_e32 v[10:11], v[10:11]
	s_delay_alu instid0(VALU_DEP_1) | instskip(SKIP_1) | instid1(VALU_DEP_2)
	v_fma_f64 v[2:3], 0xc1f00000, v[10:11], v[2:3]
	v_cvt_i32_f64_e32 v11, v[10:11]
	v_cvt_u32_f64_e32 v10, v[2:3]
	global_store_b64 v[4:5], v[10:11], off
.LBB118_2947:
	s_and_not1_b32 vcc_lo, exec_lo, s0
	s_cbranch_vccnz .LBB118_2949
; %bb.2948:
	v_cvt_i32_f64_e32 v2, v[0:1]
	global_store_b32 v[4:5], v2, off
.LBB118_2949:
	s_mov_b32 s0, 0
.LBB118_2950:
	s_delay_alu instid0(SALU_CYCLE_1)
	s_and_not1_b32 vcc_lo, exec_lo, s0
	s_cbranch_vccnz .LBB118_2952
; %bb.2951:
	s_delay_alu instid0(VALU_DEP_4)
	v_cvt_i32_f64_e32 v2, v[0:1]
	global_store_b16 v[4:5], v2, off
.LBB118_2952:
	s_mov_b32 s0, 0
.LBB118_2953:
	s_delay_alu instid0(SALU_CYCLE_1)
	s_and_not1_b32 vcc_lo, exec_lo, s0
	s_cbranch_vccnz .LBB118_2958
; %bb.2954:
	v_cmp_lt_i16_e32 vcc_lo, 0, v12
	s_mov_b32 s0, -1
	s_cbranch_vccz .LBB118_2956
; %bb.2955:
	s_delay_alu instid0(VALU_DEP_4)
	v_cvt_i32_f64_e32 v2, v[0:1]
	s_mov_b32 s0, 0
	global_store_b8 v[4:5], v2, off
.LBB118_2956:
	s_and_not1_b32 vcc_lo, exec_lo, s0
	s_cbranch_vccnz .LBB118_2958
; %bb.2957:
	s_delay_alu instid0(VALU_DEP_4) | instskip(NEXT) | instid1(VALU_DEP_1)
	v_trunc_f64_e32 v[0:1], v[0:1]
	v_ldexp_f64 v[2:3], v[0:1], 0xffffffe0
	s_delay_alu instid0(VALU_DEP_1) | instskip(NEXT) | instid1(VALU_DEP_1)
	v_floor_f64_e32 v[2:3], v[2:3]
	v_fma_f64 v[0:1], 0xc1f00000, v[2:3], v[0:1]
	s_delay_alu instid0(VALU_DEP_1)
	v_cvt_u32_f64_e32 v0, v[0:1]
	global_store_b8 v[4:5], v0, off
.LBB118_2958:
	s_mov_b32 s8, -1
.LBB118_2959:
	s_delay_alu instid0(SALU_CYCLE_1)
	s_and_not1_b32 vcc_lo, exec_lo, s8
	s_cbranch_vccnz .LBB118_3036
; %bb.2960:
	v_cndmask_b32_e64 v0, 0, 1, s1
	v_add_nc_u32_e32 v2, s6, v6
	v_cmp_gt_i16_e32 vcc_lo, 11, v12
	s_delay_alu instid0(VALU_DEP_3) | instskip(NEXT) | instid1(VALU_DEP_3)
	v_cvt_f64_u32_e32 v[0:1], v0
	v_ashrrev_i32_e32 v3, 31, v2
	v_add_co_u32 v4, s0, s4, v2
	s_delay_alu instid0(VALU_DEP_1) | instskip(NEXT) | instid1(VALU_DEP_4)
	v_add_co_ci_u32_e64 v5, s0, s5, v3, s0
	v_mul_f64 v[0:1], v[8:9], v[0:1]
	s_delay_alu instid0(VALU_DEP_1)
	v_mul_f64 v[0:1], s[2:3], v[0:1]
	s_cbranch_vccnz .LBB118_3081
; %bb.2961:
	v_cmp_lt_i16_e32 vcc_lo, 25, v12
	s_mov_b32 s2, -1
	s_mov_b32 s1, 0
	s_mov_b32 s0, 0
	s_cbranch_vccz .LBB118_2994
; %bb.2962:
	v_cmp_lt_i16_e32 vcc_lo, 28, v12
	s_cbranch_vccz .LBB118_2978
; %bb.2963:
	v_cmp_lt_i16_e32 vcc_lo, 43, v12
	;; [unrolled: 3-line block ×3, first 2 shown]
	s_cbranch_vccz .LBB118_2968
; %bb.2965:
	v_cmp_eq_u16_e32 vcc_lo, 46, v12
	s_mov_b32 s0, -1
	s_cbranch_vccz .LBB118_2967
; %bb.2966:
	v_cvt_f32_f64_e32 v2, v[0:1]
	s_mov_b32 s0, 0
	s_delay_alu instid0(VALU_DEP_1) | instskip(SKIP_1) | instid1(VALU_DEP_2)
	v_bfe_u32 v3, v2, 16, 1
	v_cmp_o_f32_e32 vcc_lo, v2, v2
	v_add3_u32 v3, v2, v3, 0x7fff
	s_delay_alu instid0(VALU_DEP_1) | instskip(NEXT) | instid1(VALU_DEP_1)
	v_lshrrev_b32_e32 v3, 16, v3
	v_cndmask_b32_e32 v2, 0x7fc0, v3, vcc_lo
	global_store_b32 v[4:5], v2, off
.LBB118_2967:
	s_mov_b32 s2, 0
.LBB118_2968:
	s_delay_alu instid0(SALU_CYCLE_1)
	s_and_b32 vcc_lo, exec_lo, s2
	s_cbranch_vccz .LBB118_2973
; %bb.2969:
	v_cmp_eq_u16_e32 vcc_lo, 44, v12
	s_mov_b32 s0, -1
	s_cbranch_vccz .LBB118_2973
; %bb.2970:
	v_cvt_f32_f64_e32 v2, v[0:1]
	v_mov_b32_e32 v3, 0xff
	s_mov_b32 s2, exec_lo
	s_delay_alu instid0(VALU_DEP_2) | instskip(NEXT) | instid1(VALU_DEP_1)
	v_bfe_u32 v6, v2, 23, 8
	v_cmpx_ne_u32_e32 0xff, v6
; %bb.2971:
	v_and_b32_e32 v3, 0x400000, v2
	v_and_or_b32 v6, 0x3fffff, v2, v6
	v_lshrrev_b32_e32 v2, 23, v2
	s_delay_alu instid0(VALU_DEP_3) | instskip(NEXT) | instid1(VALU_DEP_3)
	v_cmp_ne_u32_e32 vcc_lo, 0, v3
	v_cmp_ne_u32_e64 s0, 0, v6
	s_delay_alu instid0(VALU_DEP_1) | instskip(NEXT) | instid1(SALU_CYCLE_1)
	s_and_b32 s0, vcc_lo, s0
	v_cndmask_b32_e64 v3, 0, 1, s0
	s_delay_alu instid0(VALU_DEP_1)
	v_add_nc_u32_e32 v3, v2, v3
; %bb.2972:
	s_or_b32 exec_lo, exec_lo, s2
	s_mov_b32 s0, 0
	global_store_b8 v[4:5], v3, off
.LBB118_2973:
	s_mov_b32 s2, 0
.LBB118_2974:
	s_delay_alu instid0(SALU_CYCLE_1)
	s_and_b32 vcc_lo, exec_lo, s2
	s_cbranch_vccz .LBB118_2977
; %bb.2975:
	v_cmp_eq_u16_e32 vcc_lo, 29, v12
	s_mov_b32 s0, -1
	s_cbranch_vccz .LBB118_2977
; %bb.2976:
	v_trunc_f64_e32 v[2:3], v[0:1]
	s_mov_b32 s0, 0
	s_delay_alu instid0(VALU_DEP_1) | instskip(NEXT) | instid1(VALU_DEP_1)
	v_ldexp_f64 v[6:7], v[2:3], 0xffffffe0
	v_floor_f64_e32 v[6:7], v[6:7]
	s_delay_alu instid0(VALU_DEP_1) | instskip(SKIP_1) | instid1(VALU_DEP_2)
	v_fma_f64 v[2:3], 0xc1f00000, v[6:7], v[2:3]
	v_cvt_u32_f64_e32 v7, v[6:7]
	v_cvt_u32_f64_e32 v6, v[2:3]
	global_store_b64 v[4:5], v[6:7], off
.LBB118_2977:
	s_mov_b32 s2, 0
.LBB118_2978:
	s_delay_alu instid0(SALU_CYCLE_1)
	s_and_b32 vcc_lo, exec_lo, s2
	s_cbranch_vccz .LBB118_2993
; %bb.2979:
	v_cmp_gt_i16_e32 vcc_lo, 27, v12
	s_mov_b32 s2, -1
	s_cbranch_vccnz .LBB118_2985
; %bb.2980:
	v_cmp_lt_i16_e32 vcc_lo, 27, v12
	s_cbranch_vccz .LBB118_2982
; %bb.2981:
	v_cvt_u32_f64_e32 v2, v[0:1]
	s_mov_b32 s2, 0
	global_store_b32 v[4:5], v2, off
.LBB118_2982:
	s_and_not1_b32 vcc_lo, exec_lo, s2
	s_cbranch_vccnz .LBB118_2984
; %bb.2983:
	v_cvt_u32_f64_e32 v2, v[0:1]
	global_store_b16 v[4:5], v2, off
.LBB118_2984:
	s_mov_b32 s2, 0
.LBB118_2985:
	s_delay_alu instid0(SALU_CYCLE_1)
	s_and_not1_b32 vcc_lo, exec_lo, s2
	s_cbranch_vccnz .LBB118_2993
; %bb.2986:
	s_delay_alu instid0(VALU_DEP_4) | instskip(SKIP_2) | instid1(VALU_DEP_2)
	v_cvt_f32_f64_e32 v2, v[0:1]
	v_mov_b32_e32 v6, 0x80
	s_mov_b32 s2, exec_lo
	v_and_b32_e32 v3, 0x7fffffff, v2
	s_delay_alu instid0(VALU_DEP_1)
	v_cmpx_gt_u32_e32 0x43800000, v3
	s_cbranch_execz .LBB118_2992
; %bb.2987:
	v_cmp_lt_u32_e32 vcc_lo, 0x3bffffff, v3
	s_mov_b32 s3, 0
                                        ; implicit-def: $vgpr3
	s_and_saveexec_b32 s4, vcc_lo
	s_delay_alu instid0(SALU_CYCLE_1)
	s_xor_b32 s4, exec_lo, s4
	s_cbranch_execz .LBB118_3108
; %bb.2988:
	v_bfe_u32 v3, v2, 20, 1
	s_mov_b32 s3, exec_lo
	s_delay_alu instid0(VALU_DEP_1) | instskip(NEXT) | instid1(VALU_DEP_1)
	v_add3_u32 v3, v2, v3, 0x487ffff
	v_lshrrev_b32_e32 v3, 20, v3
	s_or_saveexec_b32 s4, s4
                                        ; implicit-def: $sgpr5
	s_delay_alu instid0(SALU_CYCLE_1)
	s_xor_b32 exec_lo, exec_lo, s4
	s_cbranch_execnz .LBB118_3109
.LBB118_2989:
	s_or_b32 exec_lo, exec_lo, s4
	v_mov_b32_e32 v6, s5
	s_and_saveexec_b32 s4, s3
.LBB118_2990:
	v_lshrrev_b32_e32 v2, 24, v2
	s_delay_alu instid0(VALU_DEP_1)
	v_and_or_b32 v6, 0x80, v2, v3
.LBB118_2991:
	s_or_b32 exec_lo, exec_lo, s4
.LBB118_2992:
	s_delay_alu instid0(SALU_CYCLE_1)
	s_or_b32 exec_lo, exec_lo, s2
	global_store_b8 v[4:5], v6, off
.LBB118_2993:
	s_mov_b32 s2, 0
.LBB118_2994:
	s_delay_alu instid0(SALU_CYCLE_1)
	s_and_b32 vcc_lo, exec_lo, s2
	s_cbranch_vccz .LBB118_3034
; %bb.2995:
	v_cmp_lt_i16_e32 vcc_lo, 22, v12
	s_mov_b32 s1, -1
	s_cbranch_vccz .LBB118_3027
; %bb.2996:
	v_cmp_gt_i16_e32 vcc_lo, 24, v12
	s_cbranch_vccnz .LBB118_3016
; %bb.2997:
	v_cmp_lt_i16_e32 vcc_lo, 24, v12
	s_cbranch_vccz .LBB118_3005
; %bb.2998:
	v_cvt_f32_f64_e32 v2, v[0:1]
	v_mov_b32_e32 v6, 0x80
	s_mov_b32 s1, exec_lo
	s_delay_alu instid0(VALU_DEP_2) | instskip(NEXT) | instid1(VALU_DEP_1)
	v_and_b32_e32 v3, 0x7fffffff, v2
	v_cmpx_gt_u32_e32 0x47800000, v3
	s_cbranch_execz .LBB118_3004
; %bb.2999:
	v_cmp_lt_u32_e32 vcc_lo, 0x37ffffff, v3
	s_mov_b32 s2, 0
                                        ; implicit-def: $vgpr3
	s_and_saveexec_b32 s3, vcc_lo
	s_delay_alu instid0(SALU_CYCLE_1)
	s_xor_b32 s3, exec_lo, s3
	s_cbranch_execz .LBB118_3114
; %bb.3000:
	v_bfe_u32 v3, v2, 21, 1
	s_mov_b32 s2, exec_lo
	s_delay_alu instid0(VALU_DEP_1) | instskip(NEXT) | instid1(VALU_DEP_1)
	v_add3_u32 v3, v2, v3, 0x88fffff
	v_lshrrev_b32_e32 v3, 21, v3
	s_or_saveexec_b32 s3, s3
                                        ; implicit-def: $sgpr4
	s_delay_alu instid0(SALU_CYCLE_1)
	s_xor_b32 exec_lo, exec_lo, s3
	s_cbranch_execnz .LBB118_3115
.LBB118_3001:
	s_or_b32 exec_lo, exec_lo, s3
	v_mov_b32_e32 v6, s4
	s_and_saveexec_b32 s3, s2
.LBB118_3002:
	v_lshrrev_b32_e32 v2, 24, v2
	s_delay_alu instid0(VALU_DEP_1)
	v_and_or_b32 v6, 0x80, v2, v3
.LBB118_3003:
	s_or_b32 exec_lo, exec_lo, s3
.LBB118_3004:
	s_delay_alu instid0(SALU_CYCLE_1)
	s_or_b32 exec_lo, exec_lo, s1
	s_mov_b32 s1, 0
	global_store_b8 v[4:5], v6, off
.LBB118_3005:
	s_and_b32 vcc_lo, exec_lo, s1
	s_cbranch_vccz .LBB118_3015
; %bb.3006:
	v_cvt_f32_f64_e32 v2, v[0:1]
	s_mov_b32 s1, exec_lo
                                        ; implicit-def: $vgpr3
	s_delay_alu instid0(VALU_DEP_1) | instskip(NEXT) | instid1(VALU_DEP_1)
	v_and_b32_e32 v6, 0x7fffffff, v2
	v_cmpx_gt_u32_e32 0x43f00000, v6
	s_xor_b32 s1, exec_lo, s1
	s_cbranch_execz .LBB118_3012
; %bb.3007:
	s_mov_b32 s2, exec_lo
                                        ; implicit-def: $vgpr3
	v_cmpx_lt_u32_e32 0x3c7fffff, v6
	s_xor_b32 s2, exec_lo, s2
; %bb.3008:
	v_bfe_u32 v3, v2, 20, 1
	s_delay_alu instid0(VALU_DEP_1) | instskip(NEXT) | instid1(VALU_DEP_1)
	v_add3_u32 v3, v2, v3, 0x407ffff
	v_and_b32_e32 v6, 0xff00000, v3
	v_lshrrev_b32_e32 v3, 20, v3
	s_delay_alu instid0(VALU_DEP_2) | instskip(NEXT) | instid1(VALU_DEP_2)
	v_cmp_ne_u32_e32 vcc_lo, 0x7f00000, v6
	v_cndmask_b32_e32 v3, 0x7e, v3, vcc_lo
; %bb.3009:
	s_and_not1_saveexec_b32 s2, s2
; %bb.3010:
	v_add_f32_e64 v3, 0x46800000, |v2|
; %bb.3011:
	s_or_b32 exec_lo, exec_lo, s2
                                        ; implicit-def: $vgpr6
.LBB118_3012:
	s_and_not1_saveexec_b32 s1, s1
; %bb.3013:
	v_mov_b32_e32 v3, 0x7f
	v_cmp_lt_u32_e32 vcc_lo, 0x7f800000, v6
	s_delay_alu instid0(VALU_DEP_2)
	v_cndmask_b32_e32 v3, 0x7e, v3, vcc_lo
; %bb.3014:
	s_or_b32 exec_lo, exec_lo, s1
	v_lshrrev_b32_e32 v2, 24, v2
	s_delay_alu instid0(VALU_DEP_1)
	v_and_or_b32 v2, 0x80, v2, v3
	global_store_b8 v[4:5], v2, off
.LBB118_3015:
	s_mov_b32 s1, 0
.LBB118_3016:
	s_delay_alu instid0(SALU_CYCLE_1)
	s_and_not1_b32 vcc_lo, exec_lo, s1
	s_cbranch_vccnz .LBB118_3026
; %bb.3017:
	s_delay_alu instid0(VALU_DEP_4) | instskip(SKIP_1) | instid1(VALU_DEP_1)
	v_cvt_f32_f64_e32 v2, v[0:1]
	s_mov_b32 s1, exec_lo
                                        ; implicit-def: $vgpr3
	v_and_b32_e32 v6, 0x7fffffff, v2
	s_delay_alu instid0(VALU_DEP_1)
	v_cmpx_gt_u32_e32 0x47800000, v6
	s_xor_b32 s1, exec_lo, s1
	s_cbranch_execz .LBB118_3023
; %bb.3018:
	s_mov_b32 s2, exec_lo
                                        ; implicit-def: $vgpr3
	v_cmpx_lt_u32_e32 0x387fffff, v6
	s_xor_b32 s2, exec_lo, s2
; %bb.3019:
	v_bfe_u32 v3, v2, 21, 1
	s_delay_alu instid0(VALU_DEP_1) | instskip(NEXT) | instid1(VALU_DEP_1)
	v_add3_u32 v3, v2, v3, 0x80fffff
	v_lshrrev_b32_e32 v3, 21, v3
; %bb.3020:
	s_and_not1_saveexec_b32 s2, s2
; %bb.3021:
	v_add_f32_e64 v3, 0x43000000, |v2|
; %bb.3022:
	s_or_b32 exec_lo, exec_lo, s2
                                        ; implicit-def: $vgpr6
.LBB118_3023:
	s_and_not1_saveexec_b32 s1, s1
; %bb.3024:
	v_mov_b32_e32 v3, 0x7f
	v_cmp_lt_u32_e32 vcc_lo, 0x7f800000, v6
	s_delay_alu instid0(VALU_DEP_2)
	v_cndmask_b32_e32 v3, 0x7c, v3, vcc_lo
; %bb.3025:
	s_or_b32 exec_lo, exec_lo, s1
	v_lshrrev_b32_e32 v2, 24, v2
	s_delay_alu instid0(VALU_DEP_1)
	v_and_or_b32 v2, 0x80, v2, v3
	global_store_b8 v[4:5], v2, off
.LBB118_3026:
	s_mov_b32 s1, 0
.LBB118_3027:
	s_delay_alu instid0(SALU_CYCLE_1)
	s_and_not1_b32 vcc_lo, exec_lo, s1
	s_mov_b32 s1, 0
	s_cbranch_vccnz .LBB118_3034
; %bb.3028:
	v_cmp_lt_i16_e32 vcc_lo, 14, v12
	s_mov_b32 s1, -1
	s_cbranch_vccz .LBB118_3032
; %bb.3029:
	v_cmp_eq_u16_e32 vcc_lo, 15, v12
	s_mov_b32 s0, -1
	s_cbranch_vccz .LBB118_3031
; %bb.3030:
	v_cvt_f32_f64_e32 v2, v[0:1]
	s_mov_b32 s0, 0
	s_delay_alu instid0(VALU_DEP_1) | instskip(SKIP_1) | instid1(VALU_DEP_2)
	v_bfe_u32 v3, v2, 16, 1
	v_cmp_o_f32_e32 vcc_lo, v2, v2
	v_add3_u32 v3, v2, v3, 0x7fff
	s_delay_alu instid0(VALU_DEP_1) | instskip(NEXT) | instid1(VALU_DEP_1)
	v_lshrrev_b32_e32 v3, 16, v3
	v_cndmask_b32_e32 v2, 0x7fc0, v3, vcc_lo
	global_store_b16 v[4:5], v2, off
.LBB118_3031:
	s_mov_b32 s1, 0
.LBB118_3032:
	s_delay_alu instid0(SALU_CYCLE_1)
	s_and_b32 vcc_lo, exec_lo, s1
	s_mov_b32 s1, 0
	s_cbranch_vccz .LBB118_3034
; %bb.3033:
	v_cmp_ne_u16_e64 s0, 11, v12
	s_mov_b32 s1, -1
.LBB118_3034:
	s_delay_alu instid0(VALU_DEP_1)
	s_and_b32 vcc_lo, exec_lo, s0
	s_cbranch_vccnz .LBB118_3112
.LBB118_3035:
	s_mov_b32 s0, 0
	s_branch .LBB118_3037
.LBB118_3036:
	s_mov_b32 s0, 0
	s_mov_b32 s1, 0
                                        ; implicit-def: $vgpr12
                                        ; implicit-def: $vgpr4_vgpr5
                                        ; implicit-def: $vgpr0_vgpr1
.LBB118_3037:
	s_and_not1_b32 s2, s18, exec_lo
	s_and_b32 s3, s15, exec_lo
	s_and_b32 s0, s0, exec_lo
	;; [unrolled: 1-line block ×3, first 2 shown]
	s_or_b32 s18, s2, s3
.LBB118_3038:
	s_or_b32 exec_lo, exec_lo, s17
	s_and_saveexec_b32 s1, s18
	s_cbranch_execz .LBB118_3041
; %bb.3039:
	; divergent unreachable
	s_or_b32 exec_lo, exec_lo, s1
	s_and_saveexec_b32 s1, s15
	s_delay_alu instid0(SALU_CYCLE_1)
	s_xor_b32 s1, exec_lo, s1
	s_cbranch_execnz .LBB118_3042
.LBB118_3040:
	s_or_b32 exec_lo, exec_lo, s1
	s_and_saveexec_b32 s1, s0
	s_cbranch_execnz .LBB118_3043
	s_branch .LBB118_3080
.LBB118_3041:
	s_or_b32 exec_lo, exec_lo, s1
	s_and_saveexec_b32 s1, s15
	s_delay_alu instid0(SALU_CYCLE_1)
	s_xor_b32 s1, exec_lo, s1
	s_cbranch_execz .LBB118_3040
.LBB118_3042:
	s_waitcnt vmcnt(0)
	s_delay_alu instid0(VALU_DEP_1)
	v_cmp_neq_f64_e32 vcc_lo, 0, v[0:1]
	v_cndmask_b32_e64 v2, 0, 1, vcc_lo
	global_store_b8 v[4:5], v2, off
	s_or_b32 exec_lo, exec_lo, s1
	s_and_saveexec_b32 s1, s0
	s_cbranch_execz .LBB118_3080
.LBB118_3043:
	v_cmp_gt_i16_e32 vcc_lo, 5, v12
	s_mov_b32 s0, -1
	s_cbranch_vccnz .LBB118_3064
; %bb.3044:
	v_cmp_gt_i16_e32 vcc_lo, 8, v12
	s_cbranch_vccnz .LBB118_3054
; %bb.3045:
	v_cmp_gt_i16_e32 vcc_lo, 9, v12
	s_cbranch_vccnz .LBB118_3051
; %bb.3046:
	v_cmp_lt_i16_e32 vcc_lo, 9, v12
	s_cbranch_vccz .LBB118_3048
; %bb.3047:
	s_waitcnt vmcnt(0)
	v_mov_b32_e32 v2, 0
	s_mov_b32 s0, 0
	s_delay_alu instid0(VALU_DEP_1)
	v_mov_b32_e32 v3, v2
	global_store_b128 v[4:5], v[0:3], off
.LBB118_3048:
	s_and_not1_b32 vcc_lo, exec_lo, s0
	s_cbranch_vccnz .LBB118_3050
; %bb.3049:
	s_waitcnt vmcnt(0)
	v_cvt_f32_f64_e32 v2, v[0:1]
	v_mov_b32_e32 v3, 0
	global_store_b64 v[4:5], v[2:3], off
.LBB118_3050:
	s_mov_b32 s0, 0
.LBB118_3051:
	s_delay_alu instid0(SALU_CYCLE_1)
	s_and_not1_b32 vcc_lo, exec_lo, s0
	s_cbranch_vccnz .LBB118_3053
; %bb.3052:
	s_waitcnt vmcnt(0)
	s_delay_alu instid0(VALU_DEP_4) | instskip(NEXT) | instid1(VALU_DEP_1)
	v_cvt_f32_f64_e32 v2, v[0:1]
	v_cvt_f16_f32_e32 v2, v2
	s_delay_alu instid0(VALU_DEP_1)
	v_and_b32_e32 v2, 0xffff, v2
	global_store_b32 v[4:5], v2, off
.LBB118_3053:
	s_mov_b32 s0, 0
.LBB118_3054:
	s_delay_alu instid0(SALU_CYCLE_1)
	s_and_not1_b32 vcc_lo, exec_lo, s0
	s_cbranch_vccnz .LBB118_3063
; %bb.3055:
	v_cmp_gt_i16_e32 vcc_lo, 6, v12
	s_mov_b32 s0, -1
	s_cbranch_vccnz .LBB118_3061
; %bb.3056:
	v_cmp_lt_i16_e32 vcc_lo, 6, v12
	s_cbranch_vccz .LBB118_3058
; %bb.3057:
	s_mov_b32 s0, 0
	s_waitcnt vmcnt(0)
	global_store_b64 v[4:5], v[0:1], off
.LBB118_3058:
	s_and_not1_b32 vcc_lo, exec_lo, s0
	s_cbranch_vccnz .LBB118_3060
; %bb.3059:
	s_waitcnt vmcnt(0)
	v_cvt_f32_f64_e32 v2, v[0:1]
	global_store_b32 v[4:5], v2, off
.LBB118_3060:
	s_mov_b32 s0, 0
.LBB118_3061:
	s_delay_alu instid0(SALU_CYCLE_1)
	s_and_not1_b32 vcc_lo, exec_lo, s0
	s_cbranch_vccnz .LBB118_3063
; %bb.3062:
	s_waitcnt vmcnt(0)
	s_delay_alu instid0(VALU_DEP_4) | instskip(NEXT) | instid1(VALU_DEP_1)
	v_cvt_f32_f64_e32 v2, v[0:1]
	v_cvt_f16_f32_e32 v2, v2
	global_store_b16 v[4:5], v2, off
.LBB118_3063:
	s_mov_b32 s0, 0
.LBB118_3064:
	s_delay_alu instid0(SALU_CYCLE_1)
	s_and_not1_b32 vcc_lo, exec_lo, s0
	s_cbranch_vccnz .LBB118_3080
; %bb.3065:
	v_cmp_gt_i16_e32 vcc_lo, 2, v12
	s_mov_b32 s0, -1
	s_cbranch_vccnz .LBB118_3075
; %bb.3066:
	v_cmp_gt_i16_e32 vcc_lo, 3, v12
	s_cbranch_vccnz .LBB118_3072
; %bb.3067:
	v_cmp_lt_i16_e32 vcc_lo, 3, v12
	s_cbranch_vccz .LBB118_3069
; %bb.3068:
	s_waitcnt vmcnt(0)
	v_trunc_f64_e32 v[2:3], v[0:1]
	s_mov_b32 s0, 0
	s_delay_alu instid0(VALU_DEP_1) | instskip(NEXT) | instid1(VALU_DEP_1)
	v_ldexp_f64 v[6:7], v[2:3], 0xffffffe0
	v_floor_f64_e32 v[6:7], v[6:7]
	s_delay_alu instid0(VALU_DEP_1) | instskip(SKIP_1) | instid1(VALU_DEP_2)
	v_fma_f64 v[2:3], 0xc1f00000, v[6:7], v[2:3]
	v_cvt_i32_f64_e32 v7, v[6:7]
	v_cvt_u32_f64_e32 v6, v[2:3]
	global_store_b64 v[4:5], v[6:7], off
.LBB118_3069:
	s_and_not1_b32 vcc_lo, exec_lo, s0
	s_cbranch_vccnz .LBB118_3071
; %bb.3070:
	s_waitcnt vmcnt(0)
	v_cvt_i32_f64_e32 v2, v[0:1]
	global_store_b32 v[4:5], v2, off
.LBB118_3071:
	s_mov_b32 s0, 0
.LBB118_3072:
	s_delay_alu instid0(SALU_CYCLE_1)
	s_and_not1_b32 vcc_lo, exec_lo, s0
	s_cbranch_vccnz .LBB118_3074
; %bb.3073:
	s_waitcnt vmcnt(0)
	s_delay_alu instid0(VALU_DEP_4)
	v_cvt_i32_f64_e32 v2, v[0:1]
	global_store_b16 v[4:5], v2, off
.LBB118_3074:
	s_mov_b32 s0, 0
.LBB118_3075:
	s_delay_alu instid0(SALU_CYCLE_1)
	s_and_not1_b32 vcc_lo, exec_lo, s0
	s_cbranch_vccnz .LBB118_3080
; %bb.3076:
	v_cmp_lt_i16_e32 vcc_lo, 0, v12
	s_mov_b32 s0, -1
	s_cbranch_vccz .LBB118_3078
; %bb.3077:
	s_waitcnt vmcnt(0)
	s_delay_alu instid0(VALU_DEP_4)
	v_cvt_i32_f64_e32 v2, v[0:1]
	s_mov_b32 s0, 0
	global_store_b8 v[4:5], v2, off
.LBB118_3078:
	s_and_not1_b32 vcc_lo, exec_lo, s0
	s_cbranch_vccnz .LBB118_3080
; %bb.3079:
	s_waitcnt vmcnt(0)
	s_delay_alu instid0(VALU_DEP_4) | instskip(NEXT) | instid1(VALU_DEP_1)
	v_trunc_f64_e32 v[0:1], v[0:1]
	v_ldexp_f64 v[2:3], v[0:1], 0xffffffe0
	s_delay_alu instid0(VALU_DEP_1) | instskip(NEXT) | instid1(VALU_DEP_1)
	v_floor_f64_e32 v[2:3], v[2:3]
	v_fma_f64 v[0:1], 0xc1f00000, v[2:3], v[0:1]
	s_delay_alu instid0(VALU_DEP_1)
	v_cvt_u32_f64_e32 v0, v[0:1]
	global_store_b8 v[4:5], v0, off
	s_nop 0
	s_sendmsg sendmsg(MSG_DEALLOC_VGPRS)
	s_endpgm
.LBB118_3080:
	s_nop 0
	s_sendmsg sendmsg(MSG_DEALLOC_VGPRS)
	s_endpgm
.LBB118_3081:
	s_mov_b32 s1, 0
	s_mov_b32 s0, -1
	s_branch .LBB118_3037
.LBB118_3082:
	s_cbranch_execnz .LBB118_3086
; %bb.3083:
	s_mov_b32 s7, 0
	s_and_not1_b32 s1, s1, exec_lo
	s_or_b32 s15, s15, exec_lo
	s_cbranch_execz .LBB118_2551
	s_branch .LBB118_2552
.LBB118_3084:
	s_or_saveexec_b32 s12, s12
                                        ; implicit-def: $sgpr13
	s_delay_alu instid0(SALU_CYCLE_1)
	s_xor_b32 exec_lo, exec_lo, s12
	s_cbranch_execz .LBB118_2631
.LBB118_3085:
	v_add_f32_e64 v3, 0x46000000, |v2|
	s_and_not1_b32 s11, s11, exec_lo
	s_mov_b32 s13, 0
	s_delay_alu instid0(VALU_DEP_1) | instskip(NEXT) | instid1(VALU_DEP_1)
	v_and_b32_e32 v3, 0xff, v3
	v_cmp_ne_u32_e32 vcc_lo, 0, v3
	s_and_b32 s14, vcc_lo, exec_lo
	s_delay_alu instid0(SALU_CYCLE_1)
	s_or_b32 s11, s11, s14
	s_or_b32 exec_lo, exec_lo, s12
	v_mov_b32_e32 v14, s13
	s_and_saveexec_b32 s12, s11
	s_cbranch_execnz .LBB118_2632
	s_branch .LBB118_2633
.LBB118_3086:
	s_trap 2
	s_sendmsg_rtn_b32 s0, sendmsg(MSG_RTN_GET_DOORBELL)
	s_mov_b32 ttmp2, m0
	s_waitcnt lgkmcnt(0)
	s_and_b32 s0, s0, 0x3ff
	s_delay_alu instid0(SALU_CYCLE_1) | instskip(NEXT) | instid1(SALU_CYCLE_1)
	s_bitset1_b32 s0, 10
	s_mov_b32 m0, s0
	s_sendmsg sendmsg(MSG_INTERRUPT)
	s_mov_b32 m0, ttmp2
.LBB118_3087:                           ; =>This Inner Loop Header: Depth=1
	s_sethalt 5
	s_branch .LBB118_3087
.LBB118_3088:
	s_cbranch_execnz .LBB118_3094
; %bb.3089:
	s_or_b32 s15, s15, exec_lo
	s_cbranch_execz .LBB118_2679
	s_branch .LBB118_2680
.LBB118_3090:
	s_or_saveexec_b32 s11, s11
                                        ; implicit-def: $sgpr12
	s_delay_alu instid0(SALU_CYCLE_1)
	s_xor_b32 exec_lo, exec_lo, s11
	s_cbranch_execz .LBB118_2644
.LBB118_3091:
	v_add_f32_e64 v3, 0x42800000, |v2|
	s_and_not1_b32 s7, s7, exec_lo
	s_mov_b32 s12, 0
	s_delay_alu instid0(VALU_DEP_1) | instskip(NEXT) | instid1(VALU_DEP_1)
	v_and_b32_e32 v3, 0xff, v3
	v_cmp_ne_u32_e32 vcc_lo, 0, v3
	s_and_b32 s13, vcc_lo, exec_lo
	s_delay_alu instid0(SALU_CYCLE_1)
	s_or_b32 s7, s7, s13
	s_or_b32 exec_lo, exec_lo, s11
	v_mov_b32_e32 v14, s12
	s_and_saveexec_b32 s11, s7
	s_cbranch_execnz .LBB118_2645
	s_branch .LBB118_2646
.LBB118_3092:
	s_or_saveexec_b32 s11, s11
                                        ; implicit-def: $sgpr12
	s_delay_alu instid0(SALU_CYCLE_1)
	s_xor_b32 exec_lo, exec_lo, s11
	s_cbranch_execz .LBB118_2750
.LBB118_3093:
	v_add_f32_e64 v3, 0x46000000, |v2|
	s_and_not1_b32 s9, s9, exec_lo
	s_mov_b32 s12, 0
	s_delay_alu instid0(VALU_DEP_1) | instskip(NEXT) | instid1(VALU_DEP_1)
	v_and_b32_e32 v3, 0xff, v3
	v_cmp_ne_u32_e32 vcc_lo, 0, v3
	s_and_b32 s13, vcc_lo, exec_lo
	s_delay_alu instid0(SALU_CYCLE_1)
	s_or_b32 s9, s9, s13
	s_or_b32 exec_lo, exec_lo, s11
	v_mov_b32_e32 v11, s12
	s_and_saveexec_b32 s11, s9
	s_cbranch_execnz .LBB118_2751
	s_branch .LBB118_2752
.LBB118_3094:
	s_trap 2
	s_sendmsg_rtn_b32 s0, sendmsg(MSG_RTN_GET_DOORBELL)
	s_mov_b32 ttmp2, m0
	s_waitcnt lgkmcnt(0)
	s_and_b32 s0, s0, 0x3ff
	s_delay_alu instid0(SALU_CYCLE_1) | instskip(NEXT) | instid1(SALU_CYCLE_1)
	s_bitset1_b32 s0, 10
	s_mov_b32 m0, s0
	s_sendmsg sendmsg(MSG_INTERRUPT)
	s_mov_b32 m0, ttmp2
.LBB118_3095:                           ; =>This Inner Loop Header: Depth=1
	s_sethalt 5
	s_branch .LBB118_3095
.LBB118_3096:
	s_cbranch_execnz .LBB118_3102
; %bb.3097:
	s_or_b32 s15, s15, exec_lo
	s_cbranch_execz .LBB118_2798
	s_branch .LBB118_2799
.LBB118_3098:
	s_or_saveexec_b32 s9, s9
                                        ; implicit-def: $sgpr11
	s_delay_alu instid0(SALU_CYCLE_1)
	s_xor_b32 exec_lo, exec_lo, s9
	s_cbranch_execz .LBB118_2763
.LBB118_3099:
	v_add_f32_e64 v3, 0x42800000, |v2|
	s_and_not1_b32 s8, s8, exec_lo
	s_mov_b32 s11, 0
	s_delay_alu instid0(VALU_DEP_1) | instskip(NEXT) | instid1(VALU_DEP_1)
	v_and_b32_e32 v3, 0xff, v3
	v_cmp_ne_u32_e32 vcc_lo, 0, v3
	s_and_b32 s12, vcc_lo, exec_lo
	s_delay_alu instid0(SALU_CYCLE_1)
	s_or_b32 s8, s8, s12
	s_or_b32 exec_lo, exec_lo, s9
	v_mov_b32_e32 v11, s11
	s_and_saveexec_b32 s9, s8
	s_cbranch_execnz .LBB118_2764
	s_branch .LBB118_2765
.LBB118_3100:
	s_or_saveexec_b32 s10, s10
                                        ; implicit-def: $sgpr11
	s_delay_alu instid0(SALU_CYCLE_1)
	s_xor_b32 exec_lo, exec_lo, s10
	s_cbranch_execz .LBB118_2869
.LBB118_3101:
	v_add_f32_e64 v3, 0x46000000, |v2|
	s_and_not1_b32 s9, s9, exec_lo
	s_mov_b32 s11, 0
	s_delay_alu instid0(VALU_DEP_1) | instskip(NEXT) | instid1(VALU_DEP_1)
	v_and_b32_e32 v3, 0xff, v3
	v_cmp_ne_u32_e32 vcc_lo, 0, v3
	s_and_b32 s12, vcc_lo, exec_lo
	s_delay_alu instid0(SALU_CYCLE_1)
	s_or_b32 s9, s9, s12
	s_or_b32 exec_lo, exec_lo, s10
	v_mov_b32_e32 v7, s11
	s_and_saveexec_b32 s10, s9
	s_cbranch_execnz .LBB118_2870
	s_branch .LBB118_2871
.LBB118_3102:
	s_trap 2
	s_sendmsg_rtn_b32 s0, sendmsg(MSG_RTN_GET_DOORBELL)
	s_mov_b32 ttmp2, m0
	s_waitcnt lgkmcnt(0)
	s_and_b32 s0, s0, 0x3ff
	s_delay_alu instid0(SALU_CYCLE_1) | instskip(NEXT) | instid1(SALU_CYCLE_1)
	s_bitset1_b32 s0, 10
	s_mov_b32 m0, s0
	s_sendmsg sendmsg(MSG_INTERRUPT)
	s_mov_b32 m0, ttmp2
.LBB118_3103:                           ; =>This Inner Loop Header: Depth=1
	s_sethalt 5
	s_branch .LBB118_3103
.LBB118_3104:
	s_cbranch_execnz .LBB118_3110
; %bb.3105:
	s_or_b32 s15, s15, exec_lo
	s_cbranch_execz .LBB118_2917
	s_branch .LBB118_2918
.LBB118_3106:
	s_or_saveexec_b32 s9, s9
                                        ; implicit-def: $sgpr10
	s_delay_alu instid0(SALU_CYCLE_1)
	s_xor_b32 exec_lo, exec_lo, s9
	s_cbranch_execz .LBB118_2882
.LBB118_3107:
	v_add_f32_e64 v3, 0x42800000, |v2|
	s_and_not1_b32 s8, s8, exec_lo
	s_mov_b32 s10, 0
	s_delay_alu instid0(VALU_DEP_1) | instskip(NEXT) | instid1(VALU_DEP_1)
	v_and_b32_e32 v3, 0xff, v3
	v_cmp_ne_u32_e32 vcc_lo, 0, v3
	s_and_b32 s11, vcc_lo, exec_lo
	s_delay_alu instid0(SALU_CYCLE_1)
	s_or_b32 s8, s8, s11
	s_or_b32 exec_lo, exec_lo, s9
	v_mov_b32_e32 v7, s10
	s_and_saveexec_b32 s9, s8
	s_cbranch_execnz .LBB118_2883
	s_branch .LBB118_2884
.LBB118_3108:
	s_or_saveexec_b32 s4, s4
                                        ; implicit-def: $sgpr5
	s_delay_alu instid0(SALU_CYCLE_1)
	s_xor_b32 exec_lo, exec_lo, s4
	s_cbranch_execz .LBB118_2989
.LBB118_3109:
	v_add_f32_e64 v3, 0x46000000, |v2|
	s_and_not1_b32 s3, s3, exec_lo
	s_mov_b32 s5, 0
	s_delay_alu instid0(VALU_DEP_1) | instskip(NEXT) | instid1(VALU_DEP_1)
	v_and_b32_e32 v3, 0xff, v3
	v_cmp_ne_u32_e32 vcc_lo, 0, v3
	s_and_b32 s6, vcc_lo, exec_lo
	s_delay_alu instid0(SALU_CYCLE_1)
	s_or_b32 s3, s3, s6
	s_or_b32 exec_lo, exec_lo, s4
	v_mov_b32_e32 v6, s5
	s_and_saveexec_b32 s4, s3
	s_cbranch_execnz .LBB118_2990
	s_branch .LBB118_2991
.LBB118_3110:
	s_trap 2
	s_sendmsg_rtn_b32 s0, sendmsg(MSG_RTN_GET_DOORBELL)
	s_mov_b32 ttmp2, m0
	s_waitcnt lgkmcnt(0)
	s_and_b32 s0, s0, 0x3ff
	s_delay_alu instid0(SALU_CYCLE_1) | instskip(NEXT) | instid1(SALU_CYCLE_1)
	s_bitset1_b32 s0, 10
	s_mov_b32 m0, s0
	s_sendmsg sendmsg(MSG_INTERRUPT)
	s_mov_b32 m0, ttmp2
.LBB118_3111:                           ; =>This Inner Loop Header: Depth=1
	s_sethalt 5
	s_branch .LBB118_3111
.LBB118_3112:
	s_cbranch_execnz .LBB118_3116
; %bb.3113:
	s_mov_b32 s1, 0
	s_or_b32 s15, s15, exec_lo
	s_branch .LBB118_3035
.LBB118_3114:
	s_or_saveexec_b32 s3, s3
                                        ; implicit-def: $sgpr4
	s_delay_alu instid0(SALU_CYCLE_1)
	s_xor_b32 exec_lo, exec_lo, s3
	s_cbranch_execz .LBB118_3001
.LBB118_3115:
	v_add_f32_e64 v3, 0x42800000, |v2|
	s_and_not1_b32 s2, s2, exec_lo
	s_mov_b32 s4, 0
	s_delay_alu instid0(VALU_DEP_1) | instskip(NEXT) | instid1(VALU_DEP_1)
	v_and_b32_e32 v3, 0xff, v3
	v_cmp_ne_u32_e32 vcc_lo, 0, v3
	s_and_b32 s5, vcc_lo, exec_lo
	s_delay_alu instid0(SALU_CYCLE_1)
	s_or_b32 s2, s2, s5
	s_or_b32 exec_lo, exec_lo, s3
	v_mov_b32_e32 v6, s4
	s_and_saveexec_b32 s3, s2
	s_cbranch_execnz .LBB118_3002
	s_branch .LBB118_3003
.LBB118_3116:
	s_trap 2
	s_sendmsg_rtn_b32 s0, sendmsg(MSG_RTN_GET_DOORBELL)
	s_mov_b32 ttmp2, m0
	s_waitcnt lgkmcnt(0)
	s_and_b32 s0, s0, 0x3ff
	s_delay_alu instid0(SALU_CYCLE_1) | instskip(NEXT) | instid1(SALU_CYCLE_1)
	s_bitset1_b32 s0, 10
	s_mov_b32 m0, s0
	s_sendmsg sendmsg(MSG_INTERRUPT)
	s_mov_b32 m0, ttmp2
.LBB118_3117:                           ; =>This Inner Loop Header: Depth=1
	s_sethalt 5
	s_branch .LBB118_3117
	.section	.rodata,"a",@progbits
	.p2align	6, 0x0
	.amdhsa_kernel _ZN2at6native32elementwise_kernel_manual_unrollILi128ELi4EZNS0_15gpu_kernel_implIZNS0_12_GLOBAL__N_119masked_scale_kernelIbddEEvRNS_6TensorERKS5_S8_T1_EUldbE_EEvRNS_18TensorIteratorBaseERKT_EUlibE_EEviS9_
		.amdhsa_group_segment_fixed_size 0
		.amdhsa_private_segment_fixed_size 0
		.amdhsa_kernarg_size 64
		.amdhsa_user_sgpr_count 15
		.amdhsa_user_sgpr_dispatch_ptr 0
		.amdhsa_user_sgpr_queue_ptr 0
		.amdhsa_user_sgpr_kernarg_segment_ptr 1
		.amdhsa_user_sgpr_dispatch_id 0
		.amdhsa_user_sgpr_private_segment_size 0
		.amdhsa_wavefront_size32 1
		.amdhsa_uses_dynamic_stack 0
		.amdhsa_enable_private_segment 0
		.amdhsa_system_sgpr_workgroup_id_x 1
		.amdhsa_system_sgpr_workgroup_id_y 0
		.amdhsa_system_sgpr_workgroup_id_z 0
		.amdhsa_system_sgpr_workgroup_info 0
		.amdhsa_system_vgpr_workitem_id 0
		.amdhsa_next_free_vgpr 18
		.amdhsa_next_free_sgpr 37
		.amdhsa_reserve_vcc 1
		.amdhsa_float_round_mode_32 0
		.amdhsa_float_round_mode_16_64 0
		.amdhsa_float_denorm_mode_32 3
		.amdhsa_float_denorm_mode_16_64 3
		.amdhsa_dx10_clamp 1
		.amdhsa_ieee_mode 1
		.amdhsa_fp16_overflow 0
		.amdhsa_workgroup_processor_mode 1
		.amdhsa_memory_ordered 1
		.amdhsa_forward_progress 0
		.amdhsa_shared_vgpr_count 0
		.amdhsa_exception_fp_ieee_invalid_op 0
		.amdhsa_exception_fp_denorm_src 0
		.amdhsa_exception_fp_ieee_div_zero 0
		.amdhsa_exception_fp_ieee_overflow 0
		.amdhsa_exception_fp_ieee_underflow 0
		.amdhsa_exception_fp_ieee_inexact 0
		.amdhsa_exception_int_div_zero 0
	.end_amdhsa_kernel
	.section	.text._ZN2at6native32elementwise_kernel_manual_unrollILi128ELi4EZNS0_15gpu_kernel_implIZNS0_12_GLOBAL__N_119masked_scale_kernelIbddEEvRNS_6TensorERKS5_S8_T1_EUldbE_EEvRNS_18TensorIteratorBaseERKT_EUlibE_EEviS9_,"axG",@progbits,_ZN2at6native32elementwise_kernel_manual_unrollILi128ELi4EZNS0_15gpu_kernel_implIZNS0_12_GLOBAL__N_119masked_scale_kernelIbddEEvRNS_6TensorERKS5_S8_T1_EUldbE_EEvRNS_18TensorIteratorBaseERKT_EUlibE_EEviS9_,comdat
.Lfunc_end118:
	.size	_ZN2at6native32elementwise_kernel_manual_unrollILi128ELi4EZNS0_15gpu_kernel_implIZNS0_12_GLOBAL__N_119masked_scale_kernelIbddEEvRNS_6TensorERKS5_S8_T1_EUldbE_EEvRNS_18TensorIteratorBaseERKT_EUlibE_EEviS9_, .Lfunc_end118-_ZN2at6native32elementwise_kernel_manual_unrollILi128ELi4EZNS0_15gpu_kernel_implIZNS0_12_GLOBAL__N_119masked_scale_kernelIbddEEvRNS_6TensorERKS5_S8_T1_EUldbE_EEvRNS_18TensorIteratorBaseERKT_EUlibE_EEviS9_
                                        ; -- End function
	.section	.AMDGPU.csdata,"",@progbits
; Kernel info:
; codeLenInByte = 54180
; NumSgprs: 39
; NumVgprs: 18
; ScratchSize: 0
; MemoryBound: 1
; FloatMode: 240
; IeeeMode: 1
; LDSByteSize: 0 bytes/workgroup (compile time only)
; SGPRBlocks: 4
; VGPRBlocks: 2
; NumSGPRsForWavesPerEU: 39
; NumVGPRsForWavesPerEU: 18
; Occupancy: 16
; WaveLimiterHint : 0
; COMPUTE_PGM_RSRC2:SCRATCH_EN: 0
; COMPUTE_PGM_RSRC2:USER_SGPR: 15
; COMPUTE_PGM_RSRC2:TRAP_HANDLER: 0
; COMPUTE_PGM_RSRC2:TGID_X_EN: 1
; COMPUTE_PGM_RSRC2:TGID_Y_EN: 0
; COMPUTE_PGM_RSRC2:TGID_Z_EN: 0
; COMPUTE_PGM_RSRC2:TIDIG_COMP_CNT: 0
	.section	.text._ZN2at6native32elementwise_kernel_manual_unrollILi128ELi4EZNS0_15gpu_kernel_implIZNS0_12_GLOBAL__N_119masked_scale_kernelIbddEEvRNS_6TensorERKS5_S8_T1_EUldbE_EEvRNS_18TensorIteratorBaseERKT_EUlibE0_EEviS9_,"axG",@progbits,_ZN2at6native32elementwise_kernel_manual_unrollILi128ELi4EZNS0_15gpu_kernel_implIZNS0_12_GLOBAL__N_119masked_scale_kernelIbddEEvRNS_6TensorERKS5_S8_T1_EUldbE_EEvRNS_18TensorIteratorBaseERKT_EUlibE0_EEviS9_,comdat
	.globl	_ZN2at6native32elementwise_kernel_manual_unrollILi128ELi4EZNS0_15gpu_kernel_implIZNS0_12_GLOBAL__N_119masked_scale_kernelIbddEEvRNS_6TensorERKS5_S8_T1_EUldbE_EEvRNS_18TensorIteratorBaseERKT_EUlibE0_EEviS9_ ; -- Begin function _ZN2at6native32elementwise_kernel_manual_unrollILi128ELi4EZNS0_15gpu_kernel_implIZNS0_12_GLOBAL__N_119masked_scale_kernelIbddEEvRNS_6TensorERKS5_S8_T1_EUldbE_EEvRNS_18TensorIteratorBaseERKT_EUlibE0_EEviS9_
	.p2align	8
	.type	_ZN2at6native32elementwise_kernel_manual_unrollILi128ELi4EZNS0_15gpu_kernel_implIZNS0_12_GLOBAL__N_119masked_scale_kernelIbddEEvRNS_6TensorERKS5_S8_T1_EUldbE_EEvRNS_18TensorIteratorBaseERKT_EUlibE0_EEviS9_,@function
_ZN2at6native32elementwise_kernel_manual_unrollILi128ELi4EZNS0_15gpu_kernel_implIZNS0_12_GLOBAL__N_119masked_scale_kernelIbddEEvRNS_6TensorERKS5_S8_T1_EUldbE_EEvRNS_18TensorIteratorBaseERKT_EUlibE0_EEviS9_: ; @_ZN2at6native32elementwise_kernel_manual_unrollILi128ELi4EZNS0_15gpu_kernel_implIZNS0_12_GLOBAL__N_119masked_scale_kernelIbddEEvRNS_6TensorERKS5_S8_T1_EUldbE_EEvRNS_18TensorIteratorBaseERKT_EUlibE0_EEviS9_
; %bb.0:
	s_clause 0x1
	s_load_b32 s26, s[0:1], 0x8
	s_load_b32 s37, s[0:1], 0x0
	v_lshl_or_b32 v9, s15, 9, v0
	s_or_b32 s20, s0, 8
	s_mov_b32 s3, -1
	s_mov_b32 s28, 0
	s_mov_b32 s21, s1
	v_or_b32_e32 v13, 0x180, v9
	s_mov_b32 s8, 0
	s_mov_b32 s2, exec_lo
	s_waitcnt lgkmcnt(0)
	s_add_i32 s27, s26, -1
	s_delay_alu instid0(SALU_CYCLE_1)
	s_cmp_gt_u32 s27, 1
	s_cselect_b32 s29, -1, 0
	v_cmpx_le_i32_e64 s37, v13
	s_xor_b32 s30, exec_lo, s2
	s_cbranch_execz .LBB119_1509
; %bb.1:
	s_clause 0x5
	s_load_b32 s31, s[20:21], 0x1a8
	s_load_b128 s[16:19], s[20:21], 0x4
	s_load_b64 s[24:25], s[20:21], 0x14
	s_load_b128 s[12:15], s[20:21], 0xc4
	s_load_b64 s[22:23], s[20:21], 0xd4
	s_load_b256 s[4:11], s[20:21], 0x188
	s_cmp_lg_u32 s26, 0
	s_mov_b32 s43, 0
	s_cselect_b32 s38, -1, 0
	s_min_u32 s36, s27, 15
	s_cmp_gt_u32 s26, 1
	s_mov_b32 s41, 0
	s_mov_b32 s40, 0
	s_cselect_b32 s35, -1, 0
	s_mov_b32 s39, 0
	s_mov_b32 s42, exec_lo
	s_waitcnt lgkmcnt(0)
	s_lshr_b32 s34, s31, 8
	s_lshr_b32 s33, s31, 16
	v_cmpx_gt_i32_e64 s37, v9
	s_cbranch_execz .LBB119_385
; %bb.2:
	s_and_not1_b32 vcc_lo, exec_lo, s29
	s_cbranch_vccnz .LBB119_8
; %bb.3:
	v_dual_mov_b32 v2, 0 :: v_dual_mov_b32 v3, 0
	v_mov_b32_e32 v0, 0
	s_and_not1_b32 vcc_lo, exec_lo, s38
	s_cbranch_vccnz .LBB119_9
; %bb.4:
	s_add_i32 s2, s36, 1
	v_dual_mov_b32 v3, 0 :: v_dual_mov_b32 v0, 0
	v_dual_mov_b32 v2, 0 :: v_dual_mov_b32 v1, v9
	s_and_b32 s40, s2, 30
	s_add_u32 s2, s20, 0xffffffec
	s_addc_u32 s3, s21, -1
	s_set_inst_prefetch_distance 0x1
	.p2align	6
.LBB119_5:                              ; =>This Inner Loop Header: Depth=1
	s_clause 0x2
	s_load_b128 s[44:47], s[2:3], 0x18
	s_load_b64 s[52:53], s[2:3], 0x28
	s_load_b128 s[48:51], s[2:3], 0xd8
	s_waitcnt lgkmcnt(0)
	v_mul_hi_u32 v4, s45, v1
	s_delay_alu instid0(VALU_DEP_1) | instskip(NEXT) | instid1(VALU_DEP_1)
	v_add_nc_u32_e32 v4, v1, v4
	v_lshrrev_b32_e32 v4, s46, v4
	s_delay_alu instid0(VALU_DEP_1)
	v_mul_hi_u32 v5, s52, v4
	v_mul_lo_u32 v6, v4, s44
	s_load_b64 s[44:45], s[2:3], 0xe8
	s_add_u32 s2, s2, 24
	s_addc_u32 s3, s3, 0
	s_add_i32 s40, s40, -2
	s_delay_alu instid0(SALU_CYCLE_1) | instskip(NEXT) | instid1(VALU_DEP_2)
	s_cmp_lg_u32 s40, 0
	v_add_nc_u32_e32 v5, v4, v5
	s_delay_alu instid0(VALU_DEP_2) | instskip(NEXT) | instid1(VALU_DEP_2)
	v_sub_nc_u32_e32 v6, v1, v6
	v_lshrrev_b32_e32 v1, s53, v5
	s_delay_alu instid0(VALU_DEP_2) | instskip(NEXT) | instid1(VALU_DEP_2)
	v_mul_lo_u32 v7, v6, s48
	v_mul_lo_u32 v5, v1, s47
	s_delay_alu instid0(VALU_DEP_1) | instskip(SKIP_2) | instid1(VALU_DEP_3)
	v_sub_nc_u32_e32 v4, v4, v5
	v_mul_lo_u32 v5, v6, s49
	v_mul_lo_u32 v6, v6, s50
	v_mul_lo_u32 v8, v4, s51
	s_waitcnt lgkmcnt(0)
	v_mul_lo_u32 v10, v4, s44
	v_mul_lo_u32 v4, v4, s45
	s_delay_alu instid0(VALU_DEP_3) | instskip(NEXT) | instid1(VALU_DEP_3)
	v_add3_u32 v2, v7, v2, v8
	v_add3_u32 v0, v5, v0, v10
	s_delay_alu instid0(VALU_DEP_3)
	v_add3_u32 v3, v6, v3, v4
	s_cbranch_scc1 .LBB119_5
; %bb.6:
	s_set_inst_prefetch_distance 0x2
	s_bitcmp1_b32 s36, 0
	s_cselect_b32 s40, -1, 0
	s_delay_alu instid0(SALU_CYCLE_1)
	s_and_b32 vcc_lo, exec_lo, s40
	s_cbranch_vccnz .LBB119_9
; %bb.7:
	s_clause 0x3
	s_load_b64 s[40:41], s[2:3], 0x18
	s_load_b32 s46, s[2:3], 0x20
	s_load_b64 s[44:45], s[2:3], 0xd8
	s_load_b32 s2, s[2:3], 0xe0
	s_waitcnt lgkmcnt(0)
	v_mul_hi_u32 v4, s41, v1
	s_delay_alu instid0(VALU_DEP_1) | instskip(NEXT) | instid1(VALU_DEP_1)
	v_add_nc_u32_e32 v4, v1, v4
	v_lshrrev_b32_e32 v4, s46, v4
	s_delay_alu instid0(VALU_DEP_1) | instskip(NEXT) | instid1(VALU_DEP_1)
	v_mul_lo_u32 v4, v4, s40
	v_sub_nc_u32_e32 v7, v1, v4
	s_delay_alu instid0(VALU_DEP_1) | instskip(SKIP_1) | instid1(VALU_DEP_2)
	v_mad_u64_u32 v[4:5], null, v7, s44, v[2:3]
	v_mad_u64_u32 v[1:2], null, v7, s45, v[0:1]
	;; [unrolled: 1-line block ×3, first 2 shown]
	v_mov_b32_e32 v2, v4
	s_delay_alu instid0(VALU_DEP_3) | instskip(NEXT) | instid1(VALU_DEP_3)
	v_mov_b32_e32 v0, v1
	v_mov_b32_e32 v3, v5
	s_branch .LBB119_9
.LBB119_8:
	s_mov_b32 s39, -1
                                        ; implicit-def: $vgpr2
                                        ; implicit-def: $vgpr0
                                        ; implicit-def: $vgpr3
.LBB119_9:
	s_delay_alu instid0(SALU_CYCLE_1)
	s_and_not1_b32 vcc_lo, exec_lo, s39
	s_cbranch_vccnz .LBB119_12
; %bb.10:
	v_mul_hi_u32 v0, s17, v9
	s_and_not1_b32 vcc_lo, exec_lo, s35
	s_delay_alu instid0(VALU_DEP_1) | instskip(NEXT) | instid1(VALU_DEP_1)
	v_add_nc_u32_e32 v0, v9, v0
	v_lshrrev_b32_e32 v1, s18, v0
	s_delay_alu instid0(VALU_DEP_1) | instskip(NEXT) | instid1(VALU_DEP_1)
	v_mul_lo_u32 v0, v1, s16
	v_sub_nc_u32_e32 v3, v9, v0
	s_delay_alu instid0(VALU_DEP_1)
	v_mul_lo_u32 v2, v3, s12
	v_mul_lo_u32 v0, v3, s13
	;; [unrolled: 1-line block ×3, first 2 shown]
	s_cbranch_vccnz .LBB119_12
; %bb.11:
	v_mul_hi_u32 v4, s24, v1
	s_delay_alu instid0(VALU_DEP_1) | instskip(NEXT) | instid1(VALU_DEP_1)
	v_add_nc_u32_e32 v4, v1, v4
	v_lshrrev_b32_e32 v4, s25, v4
	s_delay_alu instid0(VALU_DEP_1) | instskip(NEXT) | instid1(VALU_DEP_1)
	v_mul_lo_u32 v4, v4, s19
	v_sub_nc_u32_e32 v7, v1, v4
	s_delay_alu instid0(VALU_DEP_1) | instskip(SKIP_1) | instid1(VALU_DEP_2)
	v_mad_u64_u32 v[4:5], null, v7, s15, v[2:3]
	v_mad_u64_u32 v[1:2], null, v7, s22, v[0:1]
	;; [unrolled: 1-line block ×3, first 2 shown]
	v_mov_b32_e32 v2, v4
	s_delay_alu instid0(VALU_DEP_3) | instskip(NEXT) | instid1(VALU_DEP_3)
	v_mov_b32_e32 v0, v1
	v_mov_b32_e32 v3, v5
.LBB119_12:
	v_and_b32_e64 v6, 0xff, s34
	s_delay_alu instid0(VALU_DEP_3) | instskip(NEXT) | instid1(VALU_DEP_1)
	v_add_co_u32 v4, s2, s6, v0
	v_add_co_ci_u32_e64 v5, null, s7, 0, s2
	s_delay_alu instid0(VALU_DEP_3)
	v_cmp_gt_i16_e32 vcc_lo, 11, v6
	s_mov_b32 s41, 0
	s_cbranch_vccnz .LBB119_19
; %bb.13:
	v_cmp_lt_i16_e32 vcc_lo, 25, v6
	s_cbranch_vccz .LBB119_28
; %bb.14:
	v_cmp_lt_i16_e32 vcc_lo, 28, v6
	s_cbranch_vccz .LBB119_148
	;; [unrolled: 3-line block ×4, first 2 shown]
; %bb.17:
	v_cmp_eq_u16_e32 vcc_lo, 46, v6
	s_mov_b32 s3, 0
	s_cbranch_vccz .LBB119_154
; %bb.18:
	global_load_b32 v0, v[4:5], off
	s_mov_b32 s2, -1
	s_waitcnt vmcnt(0)
	v_lshlrev_b32_e32 v0, 16, v0
	s_delay_alu instid0(VALU_DEP_1)
	v_cvt_f64_f32_e32 v[0:1], v0
	s_branch .LBB119_156
.LBB119_19:
	s_mov_b32 s2, 0
                                        ; implicit-def: $vgpr0_vgpr1
	s_cbranch_execnz .LBB119_221
.LBB119_20:
	s_and_not1_b32 vcc_lo, exec_lo, s2
	s_cbranch_vccnz .LBB119_268
.LBB119_21:
	v_and_b32_e64 v5, 0xff, s33
	v_add_co_u32 v3, s2, s8, v3
	s_delay_alu instid0(VALU_DEP_1) | instskip(NEXT) | instid1(VALU_DEP_3)
	v_add_co_ci_u32_e64 v4, null, s9, 0, s2
	v_cmp_gt_i16_e32 vcc_lo, 11, v5
	s_mov_b32 s3, 0
	s_cbranch_vccnz .LBB119_29
; %bb.22:
	v_cmp_lt_i16_e32 vcc_lo, 25, v5
	s_cbranch_vccz .LBB119_149
; %bb.23:
	v_cmp_lt_i16_e32 vcc_lo, 28, v5
	s_cbranch_vccz .LBB119_151
	;; [unrolled: 3-line block ×4, first 2 shown]
; %bb.26:
	v_cmp_eq_u16_e32 vcc_lo, 46, v5
	s_mov_b32 s40, 0
	s_cbranch_vccz .LBB119_269
; %bb.27:
	global_load_b32 v6, v[3:4], off
	s_mov_b32 s2, -1
	s_waitcnt vmcnt(0)
	v_and_b32_e32 v6, 0x7fff7fff, v6
	s_delay_alu instid0(VALU_DEP_1)
	v_cmp_ne_u32_e32 vcc_lo, 0, v6
	s_and_b32 s39, vcc_lo, exec_lo
	s_branch .LBB119_271
.LBB119_28:
	s_mov_b32 s2, 0
                                        ; implicit-def: $vgpr0_vgpr1
	s_cbranch_execnz .LBB119_188
	s_branch .LBB119_220
.LBB119_29:
	s_mov_b32 s2, 0
                                        ; implicit-def: $sgpr39
	s_cbranch_execnz .LBB119_334
.LBB119_30:
	s_and_not1_b32 vcc_lo, exec_lo, s2
	s_cbranch_vccnz .LBB119_382
.LBB119_31:
	v_cndmask_b32_e64 v3, 0, 1, s39
	v_and_b32_e64 v6, 0xff, s31
	s_mov_b32 s2, 0
	s_mov_b32 s39, -1
	s_delay_alu instid0(VALU_DEP_2) | instskip(NEXT) | instid1(VALU_DEP_2)
	v_cvt_f64_u32_e32 v[3:4], v3
	v_cmp_gt_i16_e32 vcc_lo, 11, v6
	s_and_b32 vcc_lo, exec_lo, vcc_lo
	s_waitcnt vmcnt(0)
	s_delay_alu instid0(VALU_DEP_2) | instskip(SKIP_1) | instid1(VALU_DEP_1)
	v_mul_f64 v[0:1], v[0:1], v[3:4]
	v_add_co_u32 v4, s3, s4, v2
	v_add_co_ci_u32_e64 v5, null, s5, 0, s3
	s_mov_b32 s3, 0
	s_delay_alu instid0(VALU_DEP_3)
	v_mul_f64 v[0:1], s[10:11], v[0:1]
	s_cbranch_vccnz .LBB119_108
; %bb.32:
	v_cmp_lt_i16_e32 vcc_lo, 25, v6
	s_cbranch_vccz .LBB119_65
; %bb.33:
	v_cmp_lt_i16_e32 vcc_lo, 28, v6
	s_cbranch_vccz .LBB119_48
; %bb.34:
	v_cmp_lt_i16_e32 vcc_lo, 43, v6
	s_cbranch_vccz .LBB119_44
; %bb.35:
	v_cmp_lt_i16_e32 vcc_lo, 45, v6
	s_cbranch_vccz .LBB119_38
; %bb.36:
	v_cmp_eq_u16_e32 vcc_lo, 46, v6
	s_mov_b32 s39, 0
	s_mov_b32 s2, -1
	s_cbranch_vccz .LBB119_38
; %bb.37:
	v_cvt_f32_f64_e32 v2, v[0:1]
	s_mov_b32 s3, -1
	s_mov_b32 s2, 0
	s_delay_alu instid0(VALU_DEP_1) | instskip(SKIP_1) | instid1(VALU_DEP_2)
	v_bfe_u32 v3, v2, 16, 1
	v_cmp_o_f32_e32 vcc_lo, v2, v2
	v_add3_u32 v3, v2, v3, 0x7fff
	s_delay_alu instid0(VALU_DEP_1) | instskip(NEXT) | instid1(VALU_DEP_1)
	v_lshrrev_b32_e32 v3, 16, v3
	v_cndmask_b32_e32 v2, 0x7fc0, v3, vcc_lo
	global_store_b32 v[4:5], v2, off
.LBB119_38:
	s_and_b32 vcc_lo, exec_lo, s39
	s_cbranch_vccz .LBB119_43
; %bb.39:
	v_cmp_eq_u16_e32 vcc_lo, 44, v6
	s_mov_b32 s2, -1
	s_cbranch_vccz .LBB119_43
; %bb.40:
	v_cvt_f32_f64_e32 v2, v[0:1]
	v_mov_b32_e32 v3, 0xff
	s_mov_b32 s3, exec_lo
	s_delay_alu instid0(VALU_DEP_2) | instskip(NEXT) | instid1(VALU_DEP_1)
	v_bfe_u32 v7, v2, 23, 8
	v_cmpx_ne_u32_e32 0xff, v7
; %bb.41:
	v_and_b32_e32 v3, 0x400000, v2
	v_and_or_b32 v7, 0x3fffff, v2, v7
	v_lshrrev_b32_e32 v2, 23, v2
	s_delay_alu instid0(VALU_DEP_3) | instskip(NEXT) | instid1(VALU_DEP_3)
	v_cmp_ne_u32_e32 vcc_lo, 0, v3
	v_cmp_ne_u32_e64 s2, 0, v7
	s_delay_alu instid0(VALU_DEP_1) | instskip(NEXT) | instid1(SALU_CYCLE_1)
	s_and_b32 s2, vcc_lo, s2
	v_cndmask_b32_e64 v3, 0, 1, s2
	s_delay_alu instid0(VALU_DEP_1)
	v_add_nc_u32_e32 v3, v2, v3
; %bb.42:
	s_or_b32 exec_lo, exec_lo, s3
	s_mov_b32 s3, -1
	s_mov_b32 s2, 0
	global_store_b8 v[4:5], v3, off
.LBB119_43:
	s_mov_b32 s39, 0
.LBB119_44:
	s_delay_alu instid0(SALU_CYCLE_1)
	s_and_b32 vcc_lo, exec_lo, s39
	s_cbranch_vccz .LBB119_47
; %bb.45:
	v_cmp_eq_u16_e32 vcc_lo, 29, v6
	s_mov_b32 s2, -1
	s_cbranch_vccz .LBB119_47
; %bb.46:
	v_trunc_f64_e32 v[2:3], v[0:1]
	s_mov_b32 s3, -1
	s_mov_b32 s2, 0
	s_delay_alu instid0(VALU_DEP_1) | instskip(NEXT) | instid1(VALU_DEP_1)
	v_ldexp_f64 v[7:8], v[2:3], 0xffffffe0
	v_floor_f64_e32 v[7:8], v[7:8]
	s_delay_alu instid0(VALU_DEP_1) | instskip(SKIP_1) | instid1(VALU_DEP_2)
	v_fma_f64 v[2:3], 0xc1f00000, v[7:8], v[2:3]
	v_cvt_u32_f64_e32 v8, v[7:8]
	v_cvt_u32_f64_e32 v7, v[2:3]
	global_store_b64 v[4:5], v[7:8], off
.LBB119_47:
	s_mov_b32 s39, 0
.LBB119_48:
	s_delay_alu instid0(SALU_CYCLE_1)
	s_and_b32 vcc_lo, exec_lo, s39
	s_cbranch_vccz .LBB119_64
; %bb.49:
	v_cmp_gt_i16_e32 vcc_lo, 27, v6
	s_mov_b32 s3, -1
	s_cbranch_vccnz .LBB119_55
; %bb.50:
	v_cmp_lt_i16_e32 vcc_lo, 27, v6
	s_cbranch_vccz .LBB119_52
; %bb.51:
	v_cvt_u32_f64_e32 v2, v[0:1]
	s_mov_b32 s3, 0
	global_store_b32 v[4:5], v2, off
.LBB119_52:
	s_and_not1_b32 vcc_lo, exec_lo, s3
	s_cbranch_vccnz .LBB119_54
; %bb.53:
	v_cvt_u32_f64_e32 v2, v[0:1]
	global_store_b16 v[4:5], v2, off
.LBB119_54:
	s_mov_b32 s3, 0
.LBB119_55:
	s_delay_alu instid0(SALU_CYCLE_1)
	s_and_not1_b32 vcc_lo, exec_lo, s3
	s_cbranch_vccnz .LBB119_63
; %bb.56:
	s_delay_alu instid0(VALU_DEP_4) | instskip(SKIP_2) | instid1(VALU_DEP_2)
	v_cvt_f32_f64_e32 v2, v[0:1]
	v_mov_b32_e32 v7, 0x80
	s_mov_b32 s3, exec_lo
	v_and_b32_e32 v3, 0x7fffffff, v2
	s_delay_alu instid0(VALU_DEP_1)
	v_cmpx_gt_u32_e32 0x43800000, v3
	s_cbranch_execz .LBB119_62
; %bb.57:
	v_cmp_lt_u32_e32 vcc_lo, 0x3bffffff, v3
	s_mov_b32 s39, 0
                                        ; implicit-def: $vgpr3
	s_and_saveexec_b32 s40, vcc_lo
	s_delay_alu instid0(SALU_CYCLE_1)
	s_xor_b32 s40, exec_lo, s40
	s_cbranch_execz .LBB119_421
; %bb.58:
	v_bfe_u32 v3, v2, 20, 1
	s_mov_b32 s39, exec_lo
	s_delay_alu instid0(VALU_DEP_1) | instskip(NEXT) | instid1(VALU_DEP_1)
	v_add3_u32 v3, v2, v3, 0x487ffff
	v_lshrrev_b32_e32 v3, 20, v3
	s_or_saveexec_b32 s40, s40
                                        ; implicit-def: $sgpr44
	s_delay_alu instid0(SALU_CYCLE_1)
	s_xor_b32 exec_lo, exec_lo, s40
	s_cbranch_execnz .LBB119_422
.LBB119_59:
	s_or_b32 exec_lo, exec_lo, s40
	v_mov_b32_e32 v7, s44
	s_and_saveexec_b32 s40, s39
.LBB119_60:
	v_lshrrev_b32_e32 v2, 24, v2
	s_delay_alu instid0(VALU_DEP_1)
	v_and_or_b32 v7, 0x80, v2, v3
.LBB119_61:
	s_or_b32 exec_lo, exec_lo, s40
.LBB119_62:
	s_delay_alu instid0(SALU_CYCLE_1)
	s_or_b32 exec_lo, exec_lo, s3
	global_store_b8 v[4:5], v7, off
.LBB119_63:
	s_mov_b32 s3, -1
.LBB119_64:
	s_mov_b32 s39, 0
.LBB119_65:
	s_delay_alu instid0(SALU_CYCLE_1)
	s_and_b32 vcc_lo, exec_lo, s39
	s_cbranch_vccz .LBB119_106
; %bb.66:
	v_cmp_lt_i16_e32 vcc_lo, 22, v6
	s_mov_b32 s39, -1
	s_cbranch_vccz .LBB119_98
; %bb.67:
	v_cmp_gt_i16_e32 vcc_lo, 24, v6
	s_mov_b32 s3, -1
	s_cbranch_vccnz .LBB119_87
; %bb.68:
	v_cmp_lt_i16_e32 vcc_lo, 24, v6
	s_cbranch_vccz .LBB119_76
; %bb.69:
	v_cvt_f32_f64_e32 v2, v[0:1]
	v_mov_b32_e32 v7, 0x80
	s_mov_b32 s3, exec_lo
	s_delay_alu instid0(VALU_DEP_2) | instskip(NEXT) | instid1(VALU_DEP_1)
	v_and_b32_e32 v3, 0x7fffffff, v2
	v_cmpx_gt_u32_e32 0x47800000, v3
	s_cbranch_execz .LBB119_75
; %bb.70:
	v_cmp_lt_u32_e32 vcc_lo, 0x37ffffff, v3
	s_mov_b32 s39, 0
                                        ; implicit-def: $vgpr3
	s_and_saveexec_b32 s40, vcc_lo
	s_delay_alu instid0(SALU_CYCLE_1)
	s_xor_b32 s40, exec_lo, s40
	s_cbranch_execz .LBB119_540
; %bb.71:
	v_bfe_u32 v3, v2, 21, 1
	s_mov_b32 s39, exec_lo
	s_delay_alu instid0(VALU_DEP_1) | instskip(NEXT) | instid1(VALU_DEP_1)
	v_add3_u32 v3, v2, v3, 0x88fffff
	v_lshrrev_b32_e32 v3, 21, v3
	s_or_saveexec_b32 s40, s40
                                        ; implicit-def: $sgpr44
	s_delay_alu instid0(SALU_CYCLE_1)
	s_xor_b32 exec_lo, exec_lo, s40
	s_cbranch_execnz .LBB119_541
.LBB119_72:
	s_or_b32 exec_lo, exec_lo, s40
	v_mov_b32_e32 v7, s44
	s_and_saveexec_b32 s40, s39
.LBB119_73:
	v_lshrrev_b32_e32 v2, 24, v2
	s_delay_alu instid0(VALU_DEP_1)
	v_and_or_b32 v7, 0x80, v2, v3
.LBB119_74:
	s_or_b32 exec_lo, exec_lo, s40
.LBB119_75:
	s_delay_alu instid0(SALU_CYCLE_1)
	s_or_b32 exec_lo, exec_lo, s3
	s_mov_b32 s3, 0
	global_store_b8 v[4:5], v7, off
.LBB119_76:
	s_and_b32 vcc_lo, exec_lo, s3
	s_cbranch_vccz .LBB119_86
; %bb.77:
	v_cvt_f32_f64_e32 v2, v[0:1]
	s_mov_b32 s3, exec_lo
                                        ; implicit-def: $vgpr3
	s_delay_alu instid0(VALU_DEP_1) | instskip(NEXT) | instid1(VALU_DEP_1)
	v_and_b32_e32 v7, 0x7fffffff, v2
	v_cmpx_gt_u32_e32 0x43f00000, v7
	s_xor_b32 s3, exec_lo, s3
	s_cbranch_execz .LBB119_83
; %bb.78:
	s_mov_b32 s39, exec_lo
                                        ; implicit-def: $vgpr3
	v_cmpx_lt_u32_e32 0x3c7fffff, v7
	s_xor_b32 s39, exec_lo, s39
; %bb.79:
	v_bfe_u32 v3, v2, 20, 1
	s_delay_alu instid0(VALU_DEP_1) | instskip(NEXT) | instid1(VALU_DEP_1)
	v_add3_u32 v3, v2, v3, 0x407ffff
	v_and_b32_e32 v7, 0xff00000, v3
	v_lshrrev_b32_e32 v3, 20, v3
	s_delay_alu instid0(VALU_DEP_2) | instskip(NEXT) | instid1(VALU_DEP_2)
	v_cmp_ne_u32_e32 vcc_lo, 0x7f00000, v7
	v_cndmask_b32_e32 v3, 0x7e, v3, vcc_lo
; %bb.80:
	s_and_not1_saveexec_b32 s39, s39
; %bb.81:
	v_add_f32_e64 v3, 0x46800000, |v2|
; %bb.82:
	s_or_b32 exec_lo, exec_lo, s39
                                        ; implicit-def: $vgpr7
.LBB119_83:
	s_and_not1_saveexec_b32 s3, s3
; %bb.84:
	v_mov_b32_e32 v3, 0x7f
	v_cmp_lt_u32_e32 vcc_lo, 0x7f800000, v7
	s_delay_alu instid0(VALU_DEP_2)
	v_cndmask_b32_e32 v3, 0x7e, v3, vcc_lo
; %bb.85:
	s_or_b32 exec_lo, exec_lo, s3
	v_lshrrev_b32_e32 v2, 24, v2
	s_delay_alu instid0(VALU_DEP_1)
	v_and_or_b32 v2, 0x80, v2, v3
	global_store_b8 v[4:5], v2, off
.LBB119_86:
	s_mov_b32 s3, 0
.LBB119_87:
	s_delay_alu instid0(SALU_CYCLE_1)
	s_and_not1_b32 vcc_lo, exec_lo, s3
	s_cbranch_vccnz .LBB119_97
; %bb.88:
	s_delay_alu instid0(VALU_DEP_4) | instskip(SKIP_1) | instid1(VALU_DEP_1)
	v_cvt_f32_f64_e32 v2, v[0:1]
	s_mov_b32 s3, exec_lo
                                        ; implicit-def: $vgpr3
	v_and_b32_e32 v7, 0x7fffffff, v2
	s_delay_alu instid0(VALU_DEP_1)
	v_cmpx_gt_u32_e32 0x47800000, v7
	s_xor_b32 s3, exec_lo, s3
	s_cbranch_execz .LBB119_94
; %bb.89:
	s_mov_b32 s39, exec_lo
                                        ; implicit-def: $vgpr3
	v_cmpx_lt_u32_e32 0x387fffff, v7
	s_xor_b32 s39, exec_lo, s39
; %bb.90:
	v_bfe_u32 v3, v2, 21, 1
	s_delay_alu instid0(VALU_DEP_1) | instskip(NEXT) | instid1(VALU_DEP_1)
	v_add3_u32 v3, v2, v3, 0x80fffff
	v_lshrrev_b32_e32 v3, 21, v3
; %bb.91:
	s_and_not1_saveexec_b32 s39, s39
; %bb.92:
	v_add_f32_e64 v3, 0x43000000, |v2|
; %bb.93:
	s_or_b32 exec_lo, exec_lo, s39
                                        ; implicit-def: $vgpr7
.LBB119_94:
	s_and_not1_saveexec_b32 s3, s3
; %bb.95:
	v_mov_b32_e32 v3, 0x7f
	v_cmp_lt_u32_e32 vcc_lo, 0x7f800000, v7
	s_delay_alu instid0(VALU_DEP_2)
	v_cndmask_b32_e32 v3, 0x7c, v3, vcc_lo
; %bb.96:
	s_or_b32 exec_lo, exec_lo, s3
	v_lshrrev_b32_e32 v2, 24, v2
	s_delay_alu instid0(VALU_DEP_1)
	v_and_or_b32 v2, 0x80, v2, v3
	global_store_b8 v[4:5], v2, off
.LBB119_97:
	s_mov_b32 s39, 0
	s_mov_b32 s3, -1
.LBB119_98:
	s_and_not1_b32 vcc_lo, exec_lo, s39
	s_cbranch_vccnz .LBB119_106
; %bb.99:
	v_cmp_lt_i16_e32 vcc_lo, 14, v6
	s_mov_b32 s39, -1
	s_cbranch_vccz .LBB119_103
; %bb.100:
	v_cmp_eq_u16_e32 vcc_lo, 15, v6
	s_mov_b32 s2, -1
	s_cbranch_vccz .LBB119_102
; %bb.101:
	v_cvt_f32_f64_e32 v2, v[0:1]
	s_mov_b32 s3, -1
	s_mov_b32 s2, 0
	s_delay_alu instid0(VALU_DEP_1) | instskip(SKIP_1) | instid1(VALU_DEP_2)
	v_bfe_u32 v3, v2, 16, 1
	v_cmp_o_f32_e32 vcc_lo, v2, v2
	v_add3_u32 v3, v2, v3, 0x7fff
	s_delay_alu instid0(VALU_DEP_1) | instskip(NEXT) | instid1(VALU_DEP_1)
	v_lshrrev_b32_e32 v3, 16, v3
	v_cndmask_b32_e32 v2, 0x7fc0, v3, vcc_lo
	global_store_b16 v[4:5], v2, off
.LBB119_102:
	s_mov_b32 s39, 0
.LBB119_103:
	s_delay_alu instid0(SALU_CYCLE_1)
	s_and_b32 vcc_lo, exec_lo, s39
	s_cbranch_vccz .LBB119_106
; %bb.104:
	v_cmp_eq_u16_e32 vcc_lo, 11, v6
	s_mov_b32 s2, -1
	s_cbranch_vccz .LBB119_106
; %bb.105:
	v_cmp_neq_f64_e32 vcc_lo, 0, v[0:1]
	s_mov_b32 s3, -1
	s_mov_b32 s2, 0
	v_cndmask_b32_e64 v2, 0, 1, vcc_lo
	global_store_b8 v[4:5], v2, off
.LBB119_106:
.LBB119_107:
	s_and_not1_b32 vcc_lo, exec_lo, s3
	s_mov_b32 s3, 0
	s_cbranch_vccz .LBB119_147
	s_branch .LBB119_383
.LBB119_108:
	s_and_b32 vcc_lo, exec_lo, s39
	s_cbranch_vccz .LBB119_107
; %bb.109:
	v_cmp_gt_i16_e32 vcc_lo, 5, v6
	s_mov_b32 s3, -1
	s_cbranch_vccnz .LBB119_130
; %bb.110:
	v_cmp_gt_i16_e32 vcc_lo, 8, v6
	s_cbranch_vccnz .LBB119_120
; %bb.111:
	v_cmp_gt_i16_e32 vcc_lo, 9, v6
	s_cbranch_vccnz .LBB119_117
; %bb.112:
	v_cmp_lt_i16_e32 vcc_lo, 9, v6
	s_cbranch_vccz .LBB119_114
; %bb.113:
	v_mov_b32_e32 v2, 0
	s_mov_b32 s3, 0
	s_delay_alu instid0(VALU_DEP_1)
	v_mov_b32_e32 v3, v2
	global_store_b128 v[4:5], v[0:3], off
.LBB119_114:
	s_and_not1_b32 vcc_lo, exec_lo, s3
	s_cbranch_vccnz .LBB119_116
; %bb.115:
	v_cvt_f32_f64_e32 v2, v[0:1]
	v_mov_b32_e32 v3, 0
	global_store_b64 v[4:5], v[2:3], off
.LBB119_116:
	s_mov_b32 s3, 0
.LBB119_117:
	s_delay_alu instid0(SALU_CYCLE_1)
	s_and_not1_b32 vcc_lo, exec_lo, s3
	s_cbranch_vccnz .LBB119_119
; %bb.118:
	s_delay_alu instid0(VALU_DEP_4) | instskip(NEXT) | instid1(VALU_DEP_1)
	v_cvt_f32_f64_e32 v2, v[0:1]
	v_cvt_f16_f32_e32 v2, v2
	s_delay_alu instid0(VALU_DEP_1)
	v_and_b32_e32 v2, 0xffff, v2
	global_store_b32 v[4:5], v2, off
.LBB119_119:
	s_mov_b32 s3, 0
.LBB119_120:
	s_delay_alu instid0(SALU_CYCLE_1)
	s_and_not1_b32 vcc_lo, exec_lo, s3
	s_cbranch_vccnz .LBB119_129
; %bb.121:
	v_cmp_gt_i16_e32 vcc_lo, 6, v6
	s_mov_b32 s3, -1
	s_cbranch_vccnz .LBB119_127
; %bb.122:
	v_cmp_lt_i16_e32 vcc_lo, 6, v6
	s_cbranch_vccz .LBB119_124
; %bb.123:
	s_mov_b32 s3, 0
	global_store_b64 v[4:5], v[0:1], off
.LBB119_124:
	s_and_not1_b32 vcc_lo, exec_lo, s3
	s_cbranch_vccnz .LBB119_126
; %bb.125:
	v_cvt_f32_f64_e32 v2, v[0:1]
	global_store_b32 v[4:5], v2, off
.LBB119_126:
	s_mov_b32 s3, 0
.LBB119_127:
	s_delay_alu instid0(SALU_CYCLE_1)
	s_and_not1_b32 vcc_lo, exec_lo, s3
	s_cbranch_vccnz .LBB119_129
; %bb.128:
	s_delay_alu instid0(VALU_DEP_4) | instskip(NEXT) | instid1(VALU_DEP_1)
	v_cvt_f32_f64_e32 v2, v[0:1]
	v_cvt_f16_f32_e32 v2, v2
	global_store_b16 v[4:5], v2, off
.LBB119_129:
	s_mov_b32 s3, 0
.LBB119_130:
	s_delay_alu instid0(SALU_CYCLE_1)
	s_and_not1_b32 vcc_lo, exec_lo, s3
	s_cbranch_vccnz .LBB119_146
; %bb.131:
	v_cmp_gt_i16_e32 vcc_lo, 2, v6
	s_mov_b32 s3, -1
	s_cbranch_vccnz .LBB119_141
; %bb.132:
	v_cmp_gt_i16_e32 vcc_lo, 3, v6
	s_cbranch_vccnz .LBB119_138
; %bb.133:
	v_cmp_lt_i16_e32 vcc_lo, 3, v6
	s_cbranch_vccz .LBB119_135
; %bb.134:
	v_trunc_f64_e32 v[2:3], v[0:1]
	s_mov_b32 s3, 0
	s_delay_alu instid0(VALU_DEP_1) | instskip(NEXT) | instid1(VALU_DEP_1)
	v_ldexp_f64 v[7:8], v[2:3], 0xffffffe0
	v_floor_f64_e32 v[7:8], v[7:8]
	s_delay_alu instid0(VALU_DEP_1) | instskip(SKIP_1) | instid1(VALU_DEP_2)
	v_fma_f64 v[2:3], 0xc1f00000, v[7:8], v[2:3]
	v_cvt_i32_f64_e32 v8, v[7:8]
	v_cvt_u32_f64_e32 v7, v[2:3]
	global_store_b64 v[4:5], v[7:8], off
.LBB119_135:
	s_and_not1_b32 vcc_lo, exec_lo, s3
	s_cbranch_vccnz .LBB119_137
; %bb.136:
	v_cvt_i32_f64_e32 v2, v[0:1]
	global_store_b32 v[4:5], v2, off
.LBB119_137:
	s_mov_b32 s3, 0
.LBB119_138:
	s_delay_alu instid0(SALU_CYCLE_1)
	s_and_not1_b32 vcc_lo, exec_lo, s3
	s_cbranch_vccnz .LBB119_140
; %bb.139:
	s_delay_alu instid0(VALU_DEP_4)
	v_cvt_i32_f64_e32 v2, v[0:1]
	global_store_b16 v[4:5], v2, off
.LBB119_140:
	s_mov_b32 s3, 0
.LBB119_141:
	s_delay_alu instid0(SALU_CYCLE_1)
	s_and_not1_b32 vcc_lo, exec_lo, s3
	s_cbranch_vccnz .LBB119_146
; %bb.142:
	v_cmp_lt_i16_e32 vcc_lo, 0, v6
	s_mov_b32 s3, -1
	s_cbranch_vccz .LBB119_144
; %bb.143:
	s_delay_alu instid0(VALU_DEP_4)
	v_cvt_i32_f64_e32 v2, v[0:1]
	s_mov_b32 s3, 0
	global_store_b8 v[4:5], v2, off
.LBB119_144:
	s_and_not1_b32 vcc_lo, exec_lo, s3
	s_cbranch_vccnz .LBB119_146
; %bb.145:
	s_delay_alu instid0(VALU_DEP_4) | instskip(NEXT) | instid1(VALU_DEP_1)
	v_trunc_f64_e32 v[0:1], v[0:1]
	v_ldexp_f64 v[2:3], v[0:1], 0xffffffe0
	s_delay_alu instid0(VALU_DEP_1) | instskip(NEXT) | instid1(VALU_DEP_1)
	v_floor_f64_e32 v[2:3], v[2:3]
	v_fma_f64 v[0:1], 0xc1f00000, v[2:3], v[0:1]
	s_delay_alu instid0(VALU_DEP_1)
	v_cvt_u32_f64_e32 v0, v[0:1]
	global_store_b8 v[4:5], v0, off
.LBB119_146:
	s_mov_b32 s3, 0
.LBB119_147:
	v_add_nc_u32_e32 v9, 0x80, v9
	s_mov_b32 s44, -1
	s_branch .LBB119_384
.LBB119_148:
	s_mov_b32 s3, -1
	s_mov_b32 s2, 0
                                        ; implicit-def: $vgpr0_vgpr1
	s_branch .LBB119_167
.LBB119_149:
	s_mov_b32 s40, -1
	s_mov_b32 s2, 0
                                        ; implicit-def: $sgpr39
	s_branch .LBB119_298
.LBB119_150:
	s_mov_b32 s3, -1
	s_mov_b32 s2, 0
                                        ; implicit-def: $vgpr0_vgpr1
	s_branch .LBB119_162
.LBB119_151:
	s_mov_b32 s40, -1
	s_mov_b32 s2, 0
                                        ; implicit-def: $sgpr39
	s_branch .LBB119_279
.LBB119_152:
	s_mov_b32 s3, -1
	s_branch .LBB119_155
.LBB119_153:
	s_mov_b32 s40, -1
	s_mov_b32 s2, 0
                                        ; implicit-def: $sgpr39
	s_branch .LBB119_274
.LBB119_154:
	s_mov_b32 s41, -1
.LBB119_155:
	s_mov_b32 s2, 0
                                        ; implicit-def: $vgpr0_vgpr1
.LBB119_156:
	s_and_b32 vcc_lo, exec_lo, s3
	s_cbranch_vccz .LBB119_161
; %bb.157:
	v_cmp_eq_u16_e32 vcc_lo, 44, v6
	s_cbranch_vccz .LBB119_160
; %bb.158:
	global_load_u8 v7, v[4:5], off
	s_mov_b32 s41, 0
	s_mov_b32 s2, -1
	s_waitcnt vmcnt(0)
	v_cmp_ne_u32_e32 vcc_lo, 0xff, v7
	v_lshlrev_b32_e32 v0, 23, v7
	s_delay_alu instid0(VALU_DEP_1) | instskip(NEXT) | instid1(VALU_DEP_1)
	v_cvt_f64_f32_e32 v[0:1], v0
	v_cndmask_b32_e32 v1, 0x7ff80000, v1, vcc_lo
	s_delay_alu instid0(VALU_DEP_2) | instskip(SKIP_1) | instid1(VALU_DEP_3)
	v_cndmask_b32_e32 v0, 0x20000000, v0, vcc_lo
	v_cmp_ne_u32_e32 vcc_lo, 0, v7
	v_cndmask_b32_e32 v1, 0x38000000, v1, vcc_lo
	s_delay_alu instid0(VALU_DEP_3)
	v_cndmask_b32_e32 v0, 0, v0, vcc_lo
	s_branch .LBB119_161
.LBB119_159:
	s_mov_b32 s40, -1
	s_branch .LBB119_270
.LBB119_160:
	s_mov_b32 s41, -1
                                        ; implicit-def: $vgpr0_vgpr1
.LBB119_161:
	s_mov_b32 s3, 0
.LBB119_162:
	s_delay_alu instid0(SALU_CYCLE_1)
	s_and_b32 vcc_lo, exec_lo, s3
	s_cbranch_vccz .LBB119_166
; %bb.163:
	v_cmp_eq_u16_e32 vcc_lo, 29, v6
	s_cbranch_vccz .LBB119_165
; %bb.164:
	global_load_b64 v[0:1], v[4:5], off
	s_mov_b32 s2, -1
	s_mov_b32 s41, 0
	s_mov_b32 s3, 0
	s_waitcnt vmcnt(0)
	v_cvt_f64_u32_e32 v[7:8], v1
	v_cvt_f64_u32_e32 v[0:1], v0
	s_delay_alu instid0(VALU_DEP_2) | instskip(NEXT) | instid1(VALU_DEP_1)
	v_ldexp_f64 v[7:8], v[7:8], 32
	v_add_f64 v[0:1], v[7:8], v[0:1]
	s_branch .LBB119_167
.LBB119_165:
	s_mov_b32 s41, -1
                                        ; implicit-def: $vgpr0_vgpr1
.LBB119_166:
	s_mov_b32 s3, 0
.LBB119_167:
	s_delay_alu instid0(SALU_CYCLE_1)
	s_and_b32 vcc_lo, exec_lo, s3
	s_cbranch_vccz .LBB119_187
; %bb.168:
	v_cmp_gt_i16_e32 vcc_lo, 27, v6
	s_cbranch_vccnz .LBB119_171
; %bb.169:
	v_cmp_lt_i16_e32 vcc_lo, 27, v6
	s_cbranch_vccz .LBB119_172
; %bb.170:
	global_load_b32 v0, v[4:5], off
	s_mov_b32 s2, 0
	s_waitcnt vmcnt(0)
	v_cvt_f64_u32_e32 v[0:1], v0
	s_branch .LBB119_173
.LBB119_171:
	s_mov_b32 s2, -1
                                        ; implicit-def: $vgpr0_vgpr1
	s_branch .LBB119_176
.LBB119_172:
	s_mov_b32 s2, -1
                                        ; implicit-def: $vgpr0_vgpr1
.LBB119_173:
	s_delay_alu instid0(SALU_CYCLE_1)
	s_and_not1_b32 vcc_lo, exec_lo, s2
	s_cbranch_vccnz .LBB119_175
; %bb.174:
	global_load_u16 v0, v[4:5], off
	s_waitcnt vmcnt(0)
	v_cvt_f64_u32_e32 v[0:1], v0
.LBB119_175:
	s_mov_b32 s2, 0
.LBB119_176:
	s_delay_alu instid0(SALU_CYCLE_1)
	s_and_not1_b32 vcc_lo, exec_lo, s2
	s_cbranch_vccnz .LBB119_186
; %bb.177:
	global_load_u8 v7, v[4:5], off
	s_mov_b32 s39, 0
	s_mov_b32 s40, exec_lo
                                        ; implicit-def: $sgpr2_sgpr3
	s_waitcnt vmcnt(0)
	v_cmpx_lt_i16_e32 0x7f, v7
	s_xor_b32 s40, exec_lo, s40
	s_cbranch_execz .LBB119_181
; %bb.178:
	s_mov_b32 s44, -1
	s_mov_b32 s39, exec_lo
                                        ; implicit-def: $sgpr2_sgpr3
	v_cmpx_eq_u16_e32 0x80, v7
; %bb.179:
	s_mov_b32 s3, 0x7ff80000
	s_brev_b32 s2, 4
	s_xor_b32 s44, exec_lo, -1
; %bb.180:
	s_or_b32 exec_lo, exec_lo, s39
	s_delay_alu instid0(SALU_CYCLE_1)
	s_and_b32 s39, s44, exec_lo
.LBB119_181:
	s_or_saveexec_b32 s40, s40
	v_dual_mov_b32 v0, s2 :: v_dual_mov_b32 v1, s3
	s_xor_b32 exec_lo, exec_lo, s40
; %bb.182:
	v_cmp_ne_u16_e32 vcc_lo, 0, v7
	v_mov_b32_e32 v0, 0
	v_mov_b32_e32 v1, 0
	s_and_not1_b32 s2, s39, exec_lo
	s_and_b32 s3, vcc_lo, exec_lo
	s_delay_alu instid0(SALU_CYCLE_1)
	s_or_b32 s39, s2, s3
; %bb.183:
	s_or_b32 exec_lo, exec_lo, s40
	s_and_saveexec_b32 s2, s39
	s_cbranch_execz .LBB119_185
; %bb.184:
	v_and_b32_e32 v0, 0xffff, v7
	s_delay_alu instid0(VALU_DEP_1) | instskip(NEXT) | instid1(VALU_DEP_1)
	v_and_b32_e32 v1, 7, v0
	v_clz_i32_u32_e32 v8, v1
	s_delay_alu instid0(VALU_DEP_1) | instskip(NEXT) | instid1(VALU_DEP_1)
	v_min_u32_e32 v8, 32, v8
	v_subrev_nc_u32_e32 v10, 28, v8
	v_sub_nc_u32_e32 v8, 29, v8
	s_delay_alu instid0(VALU_DEP_2) | instskip(SKIP_1) | instid1(VALU_DEP_2)
	v_lshlrev_b32_e32 v10, v10, v0
	v_bfe_u32 v0, v0, 3, 4
	v_and_b32_e32 v10, 7, v10
	s_delay_alu instid0(VALU_DEP_2) | instskip(SKIP_1) | instid1(VALU_DEP_3)
	v_cmp_eq_u32_e32 vcc_lo, 0, v0
	v_dual_cndmask_b32 v0, v0, v8 :: v_dual_lshlrev_b32 v7, 24, v7
	v_cndmask_b32_e32 v1, v1, v10, vcc_lo
	s_delay_alu instid0(VALU_DEP_2) | instskip(NEXT) | instid1(VALU_DEP_3)
	v_and_b32_e32 v7, 0x80000000, v7
	v_lshl_add_u32 v0, v0, 23, 0x3b800000
	s_delay_alu instid0(VALU_DEP_3) | instskip(NEXT) | instid1(VALU_DEP_1)
	v_lshlrev_b32_e32 v1, 20, v1
	v_or3_b32 v0, v7, v0, v1
	s_delay_alu instid0(VALU_DEP_1)
	v_cvt_f64_f32_e32 v[0:1], v0
.LBB119_185:
	s_or_b32 exec_lo, exec_lo, s2
.LBB119_186:
	s_mov_b32 s2, -1
.LBB119_187:
	s_branch .LBB119_220
.LBB119_188:
	v_cmp_lt_i16_e32 vcc_lo, 22, v6
	s_cbranch_vccz .LBB119_200
; %bb.189:
	v_cmp_gt_i16_e32 vcc_lo, 24, v6
	s_cbranch_vccnz .LBB119_201
; %bb.190:
	v_cmp_lt_i16_e32 vcc_lo, 24, v6
	s_cbranch_vccz .LBB119_202
; %bb.191:
	global_load_u8 v7, v[4:5], off
	s_mov_b32 s39, 0
	s_mov_b32 s40, exec_lo
                                        ; implicit-def: $sgpr2_sgpr3
	s_waitcnt vmcnt(0)
	v_cmpx_lt_i16_e32 0x7f, v7
	s_xor_b32 s40, exec_lo, s40
	s_cbranch_execz .LBB119_195
; %bb.192:
	s_mov_b32 s44, -1
	s_mov_b32 s39, exec_lo
                                        ; implicit-def: $sgpr2_sgpr3
	v_cmpx_eq_u16_e32 0x80, v7
; %bb.193:
	s_mov_b32 s3, 0x7ff80000
	s_brev_b32 s2, 4
	s_xor_b32 s44, exec_lo, -1
; %bb.194:
	s_or_b32 exec_lo, exec_lo, s39
	s_delay_alu instid0(SALU_CYCLE_1)
	s_and_b32 s39, s44, exec_lo
.LBB119_195:
	s_or_saveexec_b32 s40, s40
	v_dual_mov_b32 v0, s2 :: v_dual_mov_b32 v1, s3
	s_xor_b32 exec_lo, exec_lo, s40
; %bb.196:
	v_cmp_ne_u16_e32 vcc_lo, 0, v7
	v_mov_b32_e32 v0, 0
	v_mov_b32_e32 v1, 0
	s_and_not1_b32 s2, s39, exec_lo
	s_and_b32 s3, vcc_lo, exec_lo
	s_delay_alu instid0(SALU_CYCLE_1)
	s_or_b32 s39, s2, s3
; %bb.197:
	s_or_b32 exec_lo, exec_lo, s40
	s_and_saveexec_b32 s2, s39
	s_cbranch_execz .LBB119_199
; %bb.198:
	v_and_b32_e32 v0, 0xffff, v7
	s_delay_alu instid0(VALU_DEP_1) | instskip(NEXT) | instid1(VALU_DEP_1)
	v_and_b32_e32 v1, 3, v0
	v_clz_i32_u32_e32 v8, v1
	s_delay_alu instid0(VALU_DEP_1) | instskip(NEXT) | instid1(VALU_DEP_1)
	v_min_u32_e32 v8, 32, v8
	v_subrev_nc_u32_e32 v10, 29, v8
	v_sub_nc_u32_e32 v8, 30, v8
	s_delay_alu instid0(VALU_DEP_2) | instskip(SKIP_1) | instid1(VALU_DEP_2)
	v_lshlrev_b32_e32 v10, v10, v0
	v_bfe_u32 v0, v0, 2, 5
	v_and_b32_e32 v10, 3, v10
	s_delay_alu instid0(VALU_DEP_2) | instskip(SKIP_1) | instid1(VALU_DEP_3)
	v_cmp_eq_u32_e32 vcc_lo, 0, v0
	v_dual_cndmask_b32 v0, v0, v8 :: v_dual_lshlrev_b32 v7, 24, v7
	v_cndmask_b32_e32 v1, v1, v10, vcc_lo
	s_delay_alu instid0(VALU_DEP_2) | instskip(NEXT) | instid1(VALU_DEP_3)
	v_and_b32_e32 v7, 0x80000000, v7
	v_lshl_add_u32 v0, v0, 23, 0x37800000
	s_delay_alu instid0(VALU_DEP_3) | instskip(NEXT) | instid1(VALU_DEP_1)
	v_lshlrev_b32_e32 v1, 21, v1
	v_or3_b32 v0, v7, v0, v1
	s_delay_alu instid0(VALU_DEP_1)
	v_cvt_f64_f32_e32 v[0:1], v0
.LBB119_199:
	s_or_b32 exec_lo, exec_lo, s2
	s_mov_b32 s2, 0
	s_branch .LBB119_203
.LBB119_200:
	s_mov_b32 s3, -1
                                        ; implicit-def: $vgpr0_vgpr1
	s_branch .LBB119_209
.LBB119_201:
	s_mov_b32 s2, -1
                                        ; implicit-def: $vgpr0_vgpr1
	s_branch .LBB119_206
.LBB119_202:
	s_mov_b32 s2, -1
                                        ; implicit-def: $vgpr0_vgpr1
.LBB119_203:
	s_delay_alu instid0(SALU_CYCLE_1)
	s_and_b32 vcc_lo, exec_lo, s2
	s_cbranch_vccz .LBB119_205
; %bb.204:
	global_load_u8 v0, v[4:5], off
	s_waitcnt vmcnt(0)
	v_lshlrev_b32_e32 v0, 24, v0
	s_delay_alu instid0(VALU_DEP_1) | instskip(NEXT) | instid1(VALU_DEP_1)
	v_and_b32_e32 v1, 0x7f000000, v0
	v_clz_i32_u32_e32 v7, v1
	v_add_nc_u32_e32 v10, 0x1000000, v1
	v_cmp_ne_u32_e32 vcc_lo, 0, v1
	s_delay_alu instid0(VALU_DEP_3) | instskip(NEXT) | instid1(VALU_DEP_1)
	v_min_u32_e32 v7, 32, v7
	v_sub_nc_u32_e64 v7, v7, 4 clamp
	s_delay_alu instid0(VALU_DEP_1) | instskip(SKIP_1) | instid1(VALU_DEP_2)
	v_lshlrev_b32_e32 v8, v7, v1
	v_lshlrev_b32_e32 v7, 23, v7
	v_lshrrev_b32_e32 v8, 4, v8
	s_delay_alu instid0(VALU_DEP_1) | instskip(SKIP_1) | instid1(VALU_DEP_2)
	v_sub_nc_u32_e32 v7, v8, v7
	v_ashrrev_i32_e32 v8, 8, v10
	v_add_nc_u32_e32 v7, 0x3c000000, v7
	s_delay_alu instid0(VALU_DEP_1) | instskip(NEXT) | instid1(VALU_DEP_1)
	v_and_or_b32 v7, 0x7f800000, v8, v7
	v_cndmask_b32_e32 v1, 0, v7, vcc_lo
	s_delay_alu instid0(VALU_DEP_1) | instskip(NEXT) | instid1(VALU_DEP_1)
	v_and_or_b32 v0, 0x80000000, v0, v1
	v_cvt_f64_f32_e32 v[0:1], v0
.LBB119_205:
	s_mov_b32 s2, 0
.LBB119_206:
	s_delay_alu instid0(SALU_CYCLE_1)
	s_and_not1_b32 vcc_lo, exec_lo, s2
	s_cbranch_vccnz .LBB119_208
; %bb.207:
	global_load_u8 v0, v[4:5], off
	s_waitcnt vmcnt(0)
	v_lshlrev_b32_e32 v1, 25, v0
	v_lshlrev_b16 v0, 8, v0
	s_delay_alu instid0(VALU_DEP_2) | instskip(NEXT) | instid1(VALU_DEP_2)
	v_lshrrev_b32_e32 v7, 4, v1
	v_and_or_b32 v8, 0x7f00, v0, 0.5
	v_cmp_gt_u32_e32 vcc_lo, 0x8000000, v1
	v_bfe_i32 v0, v0, 0, 16
	s_delay_alu instid0(VALU_DEP_4) | instskip(NEXT) | instid1(VALU_DEP_1)
	v_or_b32_e32 v7, 0x70000000, v7
	v_dual_add_f32 v8, -0.5, v8 :: v_dual_mul_f32 v7, 0x7800000, v7
	s_delay_alu instid0(VALU_DEP_1) | instskip(NEXT) | instid1(VALU_DEP_1)
	v_cndmask_b32_e32 v1, v7, v8, vcc_lo
	v_and_or_b32 v0, 0x80000000, v0, v1
	s_delay_alu instid0(VALU_DEP_1)
	v_cvt_f64_f32_e32 v[0:1], v0
.LBB119_208:
	s_mov_b32 s3, 0
	s_mov_b32 s2, -1
.LBB119_209:
	s_and_not1_b32 vcc_lo, exec_lo, s3
	s_cbranch_vccnz .LBB119_220
; %bb.210:
	v_cmp_lt_i16_e32 vcc_lo, 14, v6
	s_cbranch_vccz .LBB119_213
; %bb.211:
	v_cmp_eq_u16_e32 vcc_lo, 15, v6
	s_cbranch_vccz .LBB119_214
; %bb.212:
	global_load_u16 v0, v[4:5], off
	s_mov_b32 s2, -1
	s_mov_b32 s41, 0
	s_waitcnt vmcnt(0)
	v_lshlrev_b32_e32 v0, 16, v0
	s_delay_alu instid0(VALU_DEP_1)
	v_cvt_f64_f32_e32 v[0:1], v0
	s_branch .LBB119_215
.LBB119_213:
	s_mov_b32 s3, -1
                                        ; implicit-def: $vgpr0_vgpr1
	s_branch .LBB119_216
.LBB119_214:
	s_mov_b32 s41, -1
                                        ; implicit-def: $vgpr0_vgpr1
.LBB119_215:
	s_mov_b32 s3, 0
.LBB119_216:
	s_delay_alu instid0(SALU_CYCLE_1)
	s_and_b32 vcc_lo, exec_lo, s3
	s_cbranch_vccz .LBB119_220
; %bb.217:
	v_cmp_eq_u16_e32 vcc_lo, 11, v6
	s_cbranch_vccz .LBB119_219
; %bb.218:
	global_load_u8 v0, v[4:5], off
	s_mov_b32 s41, 0
	s_mov_b32 s2, -1
	s_waitcnt vmcnt(0)
	v_cmp_ne_u16_e32 vcc_lo, 0, v0
	v_mov_b32_e32 v0, 0
	v_cndmask_b32_e64 v1, 0, 0x3ff00000, vcc_lo
	s_branch .LBB119_220
.LBB119_219:
	s_mov_b32 s41, -1
                                        ; implicit-def: $vgpr0_vgpr1
.LBB119_220:
	s_branch .LBB119_20
.LBB119_221:
	v_cmp_gt_i16_e32 vcc_lo, 5, v6
	s_cbranch_vccnz .LBB119_226
; %bb.222:
	v_cmp_gt_i16_e32 vcc_lo, 8, v6
	s_cbranch_vccnz .LBB119_227
; %bb.223:
	;; [unrolled: 3-line block ×3, first 2 shown]
	v_cmp_lt_i16_e32 vcc_lo, 9, v6
	s_cbranch_vccz .LBB119_229
; %bb.225:
	global_load_b64 v[0:1], v[4:5], off
	s_mov_b32 s2, 0
	s_branch .LBB119_230
.LBB119_226:
                                        ; implicit-def: $vgpr0_vgpr1
	s_branch .LBB119_248
.LBB119_227:
	s_mov_b32 s2, -1
                                        ; implicit-def: $vgpr0_vgpr1
	s_branch .LBB119_236
.LBB119_228:
	s_mov_b32 s2, -1
                                        ; implicit-def: $vgpr0_vgpr1
	s_branch .LBB119_233
.LBB119_229:
	s_mov_b32 s2, -1
                                        ; implicit-def: $vgpr0_vgpr1
.LBB119_230:
	s_delay_alu instid0(SALU_CYCLE_1)
	s_and_not1_b32 vcc_lo, exec_lo, s2
	s_cbranch_vccnz .LBB119_232
; %bb.231:
	global_load_b32 v0, v[4:5], off
	s_waitcnt vmcnt(0)
	v_cvt_f64_f32_e32 v[0:1], v0
.LBB119_232:
	s_mov_b32 s2, 0
.LBB119_233:
	s_delay_alu instid0(SALU_CYCLE_1)
	s_and_not1_b32 vcc_lo, exec_lo, s2
	s_cbranch_vccnz .LBB119_235
; %bb.234:
	global_load_b32 v0, v[4:5], off
	s_waitcnt vmcnt(0)
	v_cvt_f32_f16_e32 v0, v0
	s_delay_alu instid0(VALU_DEP_1)
	v_cvt_f64_f32_e32 v[0:1], v0
.LBB119_235:
	s_mov_b32 s2, 0
.LBB119_236:
	s_delay_alu instid0(SALU_CYCLE_1)
	s_and_not1_b32 vcc_lo, exec_lo, s2
	s_cbranch_vccnz .LBB119_247
; %bb.237:
	v_cmp_gt_i16_e32 vcc_lo, 6, v6
	s_cbranch_vccnz .LBB119_240
; %bb.238:
	v_cmp_lt_i16_e32 vcc_lo, 6, v6
	s_cbranch_vccz .LBB119_241
; %bb.239:
	global_load_b64 v[0:1], v[4:5], off
	s_mov_b32 s2, 0
	s_branch .LBB119_242
.LBB119_240:
	s_mov_b32 s2, -1
                                        ; implicit-def: $vgpr0_vgpr1
	s_branch .LBB119_245
.LBB119_241:
	s_mov_b32 s2, -1
                                        ; implicit-def: $vgpr0_vgpr1
.LBB119_242:
	s_delay_alu instid0(SALU_CYCLE_1)
	s_and_not1_b32 vcc_lo, exec_lo, s2
	s_cbranch_vccnz .LBB119_244
; %bb.243:
	global_load_b32 v0, v[4:5], off
	s_waitcnt vmcnt(0)
	v_cvt_f64_f32_e32 v[0:1], v0
.LBB119_244:
	s_mov_b32 s2, 0
.LBB119_245:
	s_delay_alu instid0(SALU_CYCLE_1)
	s_and_not1_b32 vcc_lo, exec_lo, s2
	s_cbranch_vccnz .LBB119_247
; %bb.246:
	global_load_u16 v0, v[4:5], off
	s_waitcnt vmcnt(0)
	v_cvt_f32_f16_e32 v0, v0
	s_delay_alu instid0(VALU_DEP_1)
	v_cvt_f64_f32_e32 v[0:1], v0
.LBB119_247:
	s_cbranch_execnz .LBB119_267
.LBB119_248:
	v_cmp_gt_i16_e32 vcc_lo, 2, v6
	s_cbranch_vccnz .LBB119_252
; %bb.249:
	v_cmp_gt_i16_e32 vcc_lo, 3, v6
	s_cbranch_vccnz .LBB119_253
; %bb.250:
	v_cmp_lt_i16_e32 vcc_lo, 3, v6
	s_cbranch_vccz .LBB119_254
; %bb.251:
	global_load_b64 v[0:1], v[4:5], off
	s_mov_b32 s2, 0
	s_waitcnt vmcnt(0)
	v_cvt_f64_i32_e32 v[7:8], v1
	v_cvt_f64_u32_e32 v[0:1], v0
	s_delay_alu instid0(VALU_DEP_2) | instskip(NEXT) | instid1(VALU_DEP_1)
	v_ldexp_f64 v[7:8], v[7:8], 32
	v_add_f64 v[0:1], v[7:8], v[0:1]
	s_branch .LBB119_255
.LBB119_252:
	s_mov_b32 s2, -1
                                        ; implicit-def: $vgpr0_vgpr1
	s_branch .LBB119_261
.LBB119_253:
	s_mov_b32 s2, -1
                                        ; implicit-def: $vgpr0_vgpr1
	s_branch .LBB119_258
.LBB119_254:
	s_mov_b32 s2, -1
                                        ; implicit-def: $vgpr0_vgpr1
.LBB119_255:
	s_delay_alu instid0(SALU_CYCLE_1)
	s_and_not1_b32 vcc_lo, exec_lo, s2
	s_cbranch_vccnz .LBB119_257
; %bb.256:
	global_load_b32 v0, v[4:5], off
	s_waitcnt vmcnt(0)
	v_cvt_f64_i32_e32 v[0:1], v0
.LBB119_257:
	s_mov_b32 s2, 0
.LBB119_258:
	s_delay_alu instid0(SALU_CYCLE_1)
	s_and_not1_b32 vcc_lo, exec_lo, s2
	s_cbranch_vccnz .LBB119_260
; %bb.259:
	global_load_i16 v0, v[4:5], off
	s_waitcnt vmcnt(0)
	v_cvt_f64_i32_e32 v[0:1], v0
.LBB119_260:
	s_mov_b32 s2, 0
.LBB119_261:
	s_delay_alu instid0(SALU_CYCLE_1)
	s_and_not1_b32 vcc_lo, exec_lo, s2
	s_cbranch_vccnz .LBB119_267
; %bb.262:
	v_cmp_lt_i16_e32 vcc_lo, 0, v6
	s_mov_b32 s2, 0
	s_cbranch_vccz .LBB119_264
; %bb.263:
	global_load_i8 v0, v[4:5], off
	s_waitcnt vmcnt(0)
	v_cvt_f64_i32_e32 v[0:1], v0
	s_branch .LBB119_265
.LBB119_264:
	s_mov_b32 s2, -1
                                        ; implicit-def: $vgpr0_vgpr1
.LBB119_265:
	s_delay_alu instid0(SALU_CYCLE_1)
	s_and_not1_b32 vcc_lo, exec_lo, s2
	s_cbranch_vccnz .LBB119_267
; %bb.266:
	global_load_u8 v0, v[4:5], off
	s_waitcnt vmcnt(0)
	v_cvt_f64_u32_e32 v[0:1], v0
.LBB119_267:
	s_branch .LBB119_21
.LBB119_268:
	s_mov_b32 s2, 0
	s_mov_b32 s3, 0
	s_branch .LBB119_383
.LBB119_269:
	s_mov_b32 s3, -1
.LBB119_270:
	s_mov_b32 s2, 0
                                        ; implicit-def: $sgpr39
.LBB119_271:
	s_and_b32 vcc_lo, exec_lo, s40
	s_cbranch_vccz .LBB119_273
; %bb.272:
	v_cmp_eq_u16_e64 s2, 44, v5
	s_mov_b32 s3, -1
	s_or_b32 s39, s39, exec_lo
.LBB119_273:
	s_mov_b32 s40, 0
.LBB119_274:
	s_delay_alu instid0(SALU_CYCLE_1)
	s_and_b32 vcc_lo, exec_lo, s40
	s_cbranch_vccz .LBB119_278
; %bb.275:
	v_cmp_eq_u16_e32 vcc_lo, 29, v5
	s_cbranch_vccz .LBB119_277
; %bb.276:
	global_load_b64 v[6:7], v[3:4], off
	s_mov_b32 s2, -1
	s_mov_b32 s3, 0
	s_mov_b32 s40, 0
	s_waitcnt vmcnt(0)
	v_cmp_ne_u64_e32 vcc_lo, 0, v[6:7]
	s_and_b32 s39, vcc_lo, exec_lo
	s_branch .LBB119_279
.LBB119_277:
	s_mov_b32 s3, -1
                                        ; implicit-def: $sgpr39
.LBB119_278:
	s_mov_b32 s40, 0
.LBB119_279:
	s_delay_alu instid0(SALU_CYCLE_1)
	s_and_b32 vcc_lo, exec_lo, s40
	s_cbranch_vccz .LBB119_297
; %bb.280:
	v_cmp_gt_i16_e32 vcc_lo, 27, v5
	s_cbranch_vccnz .LBB119_283
; %bb.281:
	v_cmp_lt_i16_e32 vcc_lo, 27, v5
	s_cbranch_vccz .LBB119_284
; %bb.282:
	global_load_b32 v6, v[3:4], off
	s_mov_b32 s2, 0
	s_waitcnt vmcnt(0)
	v_cmp_ne_u32_e32 vcc_lo, 0, v6
	s_and_b32 s39, vcc_lo, exec_lo
	s_branch .LBB119_285
.LBB119_283:
	s_mov_b32 s2, -1
                                        ; implicit-def: $sgpr39
	s_branch .LBB119_288
.LBB119_284:
	s_mov_b32 s2, -1
                                        ; implicit-def: $sgpr39
.LBB119_285:
	s_delay_alu instid0(SALU_CYCLE_1)
	s_and_not1_b32 vcc_lo, exec_lo, s2
	s_cbranch_vccnz .LBB119_287
; %bb.286:
	global_load_u16 v6, v[3:4], off
	s_and_not1_b32 s2, s39, exec_lo
	s_waitcnt vmcnt(0)
	v_cmp_ne_u16_e32 vcc_lo, 0, v6
	s_and_b32 s39, vcc_lo, exec_lo
	s_delay_alu instid0(SALU_CYCLE_1)
	s_or_b32 s39, s2, s39
.LBB119_287:
	s_mov_b32 s2, 0
.LBB119_288:
	s_delay_alu instid0(SALU_CYCLE_1)
	s_and_not1_b32 vcc_lo, exec_lo, s2
	s_cbranch_vccnz .LBB119_296
; %bb.289:
	global_load_u8 v6, v[3:4], off
	s_mov_b32 s2, 0
	s_mov_b32 s40, exec_lo
                                        ; implicit-def: $sgpr39
	s_waitcnt vmcnt(0)
	v_cmpx_lt_i16_e32 0x7f, v6
	s_xor_b32 s40, exec_lo, s40
	s_cbranch_execz .LBB119_310
; %bb.290:
	s_mov_b32 s2, -1
	s_mov_b32 s44, exec_lo
                                        ; implicit-def: $sgpr39
	v_cmpx_eq_u16_e32 0x80, v6
; %bb.291:
	s_mov_b32 s39, -1
	s_xor_b32 s2, exec_lo, -1
; %bb.292:
	s_or_b32 exec_lo, exec_lo, s44
	s_delay_alu instid0(SALU_CYCLE_1)
	s_and_b32 s2, s2, exec_lo
	s_and_not1_saveexec_b32 s40, s40
	s_cbranch_execnz .LBB119_311
.LBB119_293:
	s_or_b32 exec_lo, exec_lo, s40
	s_and_saveexec_b32 s40, s2
	s_cbranch_execz .LBB119_295
.LBB119_294:
	v_and_b32_e32 v6, 0xffff, v6
	s_and_not1_b32 s2, s39, exec_lo
	s_delay_alu instid0(VALU_DEP_1) | instskip(NEXT) | instid1(VALU_DEP_1)
	v_and_b32_e32 v7, 7, v6
	v_clz_i32_u32_e32 v8, v7
	s_delay_alu instid0(VALU_DEP_1) | instskip(NEXT) | instid1(VALU_DEP_1)
	v_min_u32_e32 v8, 32, v8
	v_subrev_nc_u32_e32 v10, 28, v8
	v_sub_nc_u32_e32 v8, 29, v8
	s_delay_alu instid0(VALU_DEP_2) | instskip(SKIP_1) | instid1(VALU_DEP_2)
	v_lshlrev_b32_e32 v10, v10, v6
	v_bfe_u32 v6, v6, 3, 4
	v_and_b32_e32 v10, 7, v10
	s_delay_alu instid0(VALU_DEP_2) | instskip(NEXT) | instid1(VALU_DEP_2)
	v_cmp_eq_u32_e32 vcc_lo, 0, v6
	v_dual_cndmask_b32 v6, v6, v8 :: v_dual_cndmask_b32 v7, v7, v10
	s_delay_alu instid0(VALU_DEP_1) | instskip(NEXT) | instid1(VALU_DEP_2)
	v_lshl_add_u32 v6, v6, 23, 0x3b800000
	v_lshlrev_b32_e32 v7, 20, v7
	s_delay_alu instid0(VALU_DEP_1) | instskip(NEXT) | instid1(VALU_DEP_1)
	v_and_or_b32 v6, 0x7f800000, v6, v7
	v_cmp_ne_u32_e32 vcc_lo, 0, v6
	s_and_b32 s39, vcc_lo, exec_lo
	s_delay_alu instid0(SALU_CYCLE_1)
	s_or_b32 s39, s2, s39
.LBB119_295:
	s_or_b32 exec_lo, exec_lo, s40
.LBB119_296:
	s_mov_b32 s2, -1
.LBB119_297:
	s_mov_b32 s40, 0
.LBB119_298:
	s_delay_alu instid0(SALU_CYCLE_1)
	s_and_b32 vcc_lo, exec_lo, s40
	s_cbranch_vccz .LBB119_333
; %bb.299:
	v_cmp_lt_i16_e32 vcc_lo, 22, v5
	s_cbranch_vccz .LBB119_309
; %bb.300:
	v_cmp_gt_i16_e32 vcc_lo, 24, v5
	s_cbranch_vccnz .LBB119_312
; %bb.301:
	v_cmp_lt_i16_e32 vcc_lo, 24, v5
	s_cbranch_vccz .LBB119_313
; %bb.302:
	global_load_u8 v6, v[3:4], off
	s_mov_b32 s2, 0
	s_mov_b32 s40, exec_lo
                                        ; implicit-def: $sgpr39
	s_waitcnt vmcnt(0)
	v_cmpx_lt_i16_e32 0x7f, v6
	s_xor_b32 s40, exec_lo, s40
	s_cbranch_execz .LBB119_325
; %bb.303:
	s_mov_b32 s2, -1
	s_mov_b32 s44, exec_lo
                                        ; implicit-def: $sgpr39
	v_cmpx_eq_u16_e32 0x80, v6
; %bb.304:
	s_mov_b32 s39, -1
	s_xor_b32 s2, exec_lo, -1
; %bb.305:
	s_or_b32 exec_lo, exec_lo, s44
	s_delay_alu instid0(SALU_CYCLE_1)
	s_and_b32 s2, s2, exec_lo
	s_and_not1_saveexec_b32 s40, s40
	s_cbranch_execnz .LBB119_326
.LBB119_306:
	s_or_b32 exec_lo, exec_lo, s40
	s_and_saveexec_b32 s40, s2
	s_cbranch_execz .LBB119_308
.LBB119_307:
	v_and_b32_e32 v6, 0xffff, v6
	s_and_not1_b32 s2, s39, exec_lo
	s_delay_alu instid0(VALU_DEP_1) | instskip(NEXT) | instid1(VALU_DEP_1)
	v_and_b32_e32 v7, 3, v6
	v_clz_i32_u32_e32 v8, v7
	s_delay_alu instid0(VALU_DEP_1) | instskip(NEXT) | instid1(VALU_DEP_1)
	v_min_u32_e32 v8, 32, v8
	v_subrev_nc_u32_e32 v10, 29, v8
	v_sub_nc_u32_e32 v8, 30, v8
	s_delay_alu instid0(VALU_DEP_2) | instskip(SKIP_1) | instid1(VALU_DEP_2)
	v_lshlrev_b32_e32 v10, v10, v6
	v_bfe_u32 v6, v6, 2, 5
	v_and_b32_e32 v10, 3, v10
	s_delay_alu instid0(VALU_DEP_2) | instskip(NEXT) | instid1(VALU_DEP_2)
	v_cmp_eq_u32_e32 vcc_lo, 0, v6
	v_dual_cndmask_b32 v6, v6, v8 :: v_dual_cndmask_b32 v7, v7, v10
	s_delay_alu instid0(VALU_DEP_1) | instskip(NEXT) | instid1(VALU_DEP_2)
	v_lshl_add_u32 v6, v6, 23, 0x37800000
	v_lshlrev_b32_e32 v7, 21, v7
	s_delay_alu instid0(VALU_DEP_1) | instskip(NEXT) | instid1(VALU_DEP_1)
	v_and_or_b32 v6, 0x7f800000, v6, v7
	v_cmp_ne_u32_e32 vcc_lo, 0, v6
	s_and_b32 s39, vcc_lo, exec_lo
	s_delay_alu instid0(SALU_CYCLE_1)
	s_or_b32 s39, s2, s39
.LBB119_308:
	s_or_b32 exec_lo, exec_lo, s40
	s_mov_b32 s2, 0
	s_branch .LBB119_314
.LBB119_309:
	s_mov_b32 s40, -1
                                        ; implicit-def: $sgpr39
	s_branch .LBB119_320
.LBB119_310:
	s_and_not1_saveexec_b32 s40, s40
	s_cbranch_execz .LBB119_293
.LBB119_311:
	v_cmp_ne_u16_e32 vcc_lo, 0, v6
	s_and_not1_b32 s2, s2, exec_lo
	s_and_not1_b32 s39, s39, exec_lo
	s_and_b32 s44, vcc_lo, exec_lo
	s_delay_alu instid0(SALU_CYCLE_1)
	s_or_b32 s2, s2, s44
	s_or_b32 exec_lo, exec_lo, s40
	s_and_saveexec_b32 s40, s2
	s_cbranch_execnz .LBB119_294
	s_branch .LBB119_295
.LBB119_312:
	s_mov_b32 s2, -1
                                        ; implicit-def: $sgpr39
	s_branch .LBB119_317
.LBB119_313:
	s_mov_b32 s2, -1
                                        ; implicit-def: $sgpr39
.LBB119_314:
	s_delay_alu instid0(SALU_CYCLE_1)
	s_and_b32 vcc_lo, exec_lo, s2
	s_cbranch_vccz .LBB119_316
; %bb.315:
	global_load_u8 v6, v[3:4], off
	s_and_not1_b32 s39, s39, exec_lo
	s_waitcnt vmcnt(0)
	v_lshlrev_b32_e32 v6, 24, v6
	s_delay_alu instid0(VALU_DEP_1) | instskip(NEXT) | instid1(VALU_DEP_1)
	v_and_b32_e32 v6, 0x7f000000, v6
	v_clz_i32_u32_e32 v7, v6
	v_add_nc_u32_e32 v10, 0x1000000, v6
	v_cmp_ne_u32_e32 vcc_lo, 0, v6
	s_delay_alu instid0(VALU_DEP_3) | instskip(NEXT) | instid1(VALU_DEP_3)
	v_min_u32_e32 v7, 32, v7
	v_ashrrev_i32_e32 v10, 8, v10
	s_delay_alu instid0(VALU_DEP_2) | instskip(NEXT) | instid1(VALU_DEP_1)
	v_sub_nc_u32_e64 v7, v7, 4 clamp
	v_lshlrev_b32_e32 v8, v7, v6
	v_lshlrev_b32_e32 v7, 23, v7
	s_delay_alu instid0(VALU_DEP_2) | instskip(NEXT) | instid1(VALU_DEP_1)
	v_lshrrev_b32_e32 v8, 4, v8
	v_sub_nc_u32_e32 v7, v8, v7
	v_and_b32_e32 v8, 0x7f800000, v10
	s_delay_alu instid0(VALU_DEP_2) | instskip(NEXT) | instid1(VALU_DEP_1)
	v_add_nc_u32_e32 v7, 0x3c000000, v7
	v_and_or_b32 v7, 0x7ff00000, v7, v8
	s_delay_alu instid0(VALU_DEP_1) | instskip(NEXT) | instid1(VALU_DEP_1)
	v_cmp_ne_u32_e64 s2, 0, v7
	s_and_b32 s2, vcc_lo, s2
	s_delay_alu instid0(SALU_CYCLE_1) | instskip(NEXT) | instid1(SALU_CYCLE_1)
	s_and_b32 s2, s2, exec_lo
	s_or_b32 s39, s39, s2
.LBB119_316:
	s_mov_b32 s2, 0
.LBB119_317:
	s_delay_alu instid0(SALU_CYCLE_1)
	s_and_not1_b32 vcc_lo, exec_lo, s2
	s_cbranch_vccnz .LBB119_319
; %bb.318:
	global_load_u8 v6, v[3:4], off
	s_and_not1_b32 s2, s39, exec_lo
	s_waitcnt vmcnt(0)
	v_lshlrev_b32_e32 v7, 25, v6
	v_lshlrev_b32_e32 v6, 8, v6
	s_delay_alu instid0(VALU_DEP_2) | instskip(NEXT) | instid1(VALU_DEP_2)
	v_lshrrev_b32_e32 v8, 4, v7
	v_and_or_b32 v6, 0x7f00, v6, 0.5
	s_delay_alu instid0(VALU_DEP_2) | instskip(NEXT) | instid1(VALU_DEP_2)
	v_or_b32_e32 v8, 0x70000000, v8
	v_add_f32_e32 v6, -0.5, v6
	s_delay_alu instid0(VALU_DEP_2) | instskip(SKIP_1) | instid1(VALU_DEP_2)
	v_mul_f32_e32 v8, 0x7800000, v8
	v_cmp_gt_u32_e32 vcc_lo, 0x8000000, v7
	v_cndmask_b32_e32 v6, v8, v6, vcc_lo
	s_delay_alu instid0(VALU_DEP_1) | instskip(SKIP_1) | instid1(SALU_CYCLE_1)
	v_cmp_neq_f32_e32 vcc_lo, 0, v6
	s_and_b32 s39, vcc_lo, exec_lo
	s_or_b32 s39, s2, s39
.LBB119_319:
	s_mov_b32 s40, 0
	s_mov_b32 s2, -1
.LBB119_320:
	s_and_not1_b32 vcc_lo, exec_lo, s40
	s_cbranch_vccnz .LBB119_333
; %bb.321:
	v_cmp_lt_i16_e32 vcc_lo, 14, v5
	s_cbranch_vccz .LBB119_324
; %bb.322:
	v_cmp_eq_u16_e32 vcc_lo, 15, v5
	s_cbranch_vccz .LBB119_327
; %bb.323:
	global_load_u16 v6, v[3:4], off
	s_mov_b32 s3, 0
	s_mov_b32 s2, -1
	s_waitcnt vmcnt(0)
	v_and_b32_e32 v6, 0x7fff, v6
	s_delay_alu instid0(VALU_DEP_1)
	v_cmp_ne_u16_e32 vcc_lo, 0, v6
	s_and_b32 s39, vcc_lo, exec_lo
	s_branch .LBB119_328
.LBB119_324:
	s_mov_b32 s40, -1
                                        ; implicit-def: $sgpr39
	s_branch .LBB119_329
.LBB119_325:
	s_and_not1_saveexec_b32 s40, s40
	s_cbranch_execz .LBB119_306
.LBB119_326:
	v_cmp_ne_u16_e32 vcc_lo, 0, v6
	s_and_not1_b32 s2, s2, exec_lo
	s_and_not1_b32 s39, s39, exec_lo
	s_and_b32 s44, vcc_lo, exec_lo
	s_delay_alu instid0(SALU_CYCLE_1)
	s_or_b32 s2, s2, s44
	s_or_b32 exec_lo, exec_lo, s40
	s_and_saveexec_b32 s40, s2
	s_cbranch_execnz .LBB119_307
	s_branch .LBB119_308
.LBB119_327:
	s_mov_b32 s3, -1
                                        ; implicit-def: $sgpr39
.LBB119_328:
	s_mov_b32 s40, 0
.LBB119_329:
	s_delay_alu instid0(SALU_CYCLE_1)
	s_and_b32 vcc_lo, exec_lo, s40
	s_cbranch_vccz .LBB119_333
; %bb.330:
	v_cmp_eq_u16_e32 vcc_lo, 11, v5
	s_cbranch_vccz .LBB119_332
; %bb.331:
	global_load_u8 v6, v[3:4], off
	s_mov_b32 s3, 0
	s_mov_b32 s2, -1
	s_waitcnt vmcnt(0)
	v_cmp_ne_u16_e32 vcc_lo, 0, v6
	s_and_b32 s39, vcc_lo, exec_lo
	s_branch .LBB119_333
.LBB119_332:
	s_mov_b32 s3, -1
                                        ; implicit-def: $sgpr39
.LBB119_333:
	s_branch .LBB119_30
.LBB119_334:
	v_cmp_gt_i16_e32 vcc_lo, 5, v5
	s_cbranch_vccnz .LBB119_339
; %bb.335:
	v_cmp_gt_i16_e32 vcc_lo, 8, v5
	s_cbranch_vccnz .LBB119_340
; %bb.336:
	;; [unrolled: 3-line block ×3, first 2 shown]
	v_cmp_lt_i16_e32 vcc_lo, 9, v5
	s_cbranch_vccz .LBB119_342
; %bb.338:
	global_load_b128 v[10:13], v[3:4], off
	s_waitcnt vmcnt(0)
	v_cmp_neq_f64_e32 vcc_lo, 0, v[10:11]
	v_cmp_neq_f64_e64 s2, 0, v[12:13]
	s_delay_alu instid0(VALU_DEP_1)
	s_or_b32 s39, vcc_lo, s2
	s_mov_b32 s2, 0
	s_and_b32 s39, s39, exec_lo
	s_branch .LBB119_343
.LBB119_339:
	s_mov_b32 s2, -1
                                        ; implicit-def: $sgpr39
	s_branch .LBB119_361
.LBB119_340:
	s_mov_b32 s2, -1
                                        ; implicit-def: $sgpr39
	s_branch .LBB119_349
.LBB119_341:
	s_mov_b32 s2, -1
                                        ; implicit-def: $sgpr39
	s_branch .LBB119_346
.LBB119_342:
	s_mov_b32 s2, -1
                                        ; implicit-def: $sgpr39
.LBB119_343:
	s_delay_alu instid0(SALU_CYCLE_1)
	s_and_not1_b32 vcc_lo, exec_lo, s2
	s_cbranch_vccnz .LBB119_345
; %bb.344:
	global_load_b64 v[6:7], v[3:4], off
	s_and_not1_b32 s2, s39, exec_lo
	s_waitcnt vmcnt(0)
	v_or_b32_e32 v6, v6, v7
	s_delay_alu instid0(VALU_DEP_1) | instskip(NEXT) | instid1(VALU_DEP_1)
	v_and_b32_e32 v6, 0x7fffffff, v6
	v_cmp_ne_u32_e32 vcc_lo, 0, v6
	s_and_b32 s39, vcc_lo, exec_lo
	s_delay_alu instid0(SALU_CYCLE_1)
	s_or_b32 s39, s2, s39
.LBB119_345:
	s_mov_b32 s2, 0
.LBB119_346:
	s_delay_alu instid0(SALU_CYCLE_1)
	s_and_not1_b32 vcc_lo, exec_lo, s2
	s_cbranch_vccnz .LBB119_348
; %bb.347:
	global_load_b32 v6, v[3:4], off
	s_and_not1_b32 s2, s39, exec_lo
	s_waitcnt vmcnt(0)
	v_and_b32_e32 v6, 0x7fff7fff, v6
	s_delay_alu instid0(VALU_DEP_1) | instskip(SKIP_1) | instid1(SALU_CYCLE_1)
	v_cmp_ne_u32_e32 vcc_lo, 0, v6
	s_and_b32 s39, vcc_lo, exec_lo
	s_or_b32 s39, s2, s39
.LBB119_348:
	s_mov_b32 s2, 0
.LBB119_349:
	s_delay_alu instid0(SALU_CYCLE_1)
	s_and_not1_b32 vcc_lo, exec_lo, s2
	s_cbranch_vccnz .LBB119_360
; %bb.350:
	v_cmp_gt_i16_e32 vcc_lo, 6, v5
	s_cbranch_vccnz .LBB119_353
; %bb.351:
	v_cmp_lt_i16_e32 vcc_lo, 6, v5
	s_cbranch_vccz .LBB119_354
; %bb.352:
	global_load_b64 v[6:7], v[3:4], off
	s_mov_b32 s2, 0
	s_waitcnt vmcnt(0)
	v_cmp_neq_f64_e32 vcc_lo, 0, v[6:7]
	s_and_b32 s39, vcc_lo, exec_lo
	s_branch .LBB119_355
.LBB119_353:
	s_mov_b32 s2, -1
                                        ; implicit-def: $sgpr39
	s_branch .LBB119_358
.LBB119_354:
	s_mov_b32 s2, -1
                                        ; implicit-def: $sgpr39
.LBB119_355:
	s_delay_alu instid0(SALU_CYCLE_1)
	s_and_not1_b32 vcc_lo, exec_lo, s2
	s_cbranch_vccnz .LBB119_357
; %bb.356:
	global_load_b32 v6, v[3:4], off
	s_and_not1_b32 s2, s39, exec_lo
	s_waitcnt vmcnt(0)
	v_cmp_neq_f32_e32 vcc_lo, 0, v6
	s_and_b32 s39, vcc_lo, exec_lo
	s_delay_alu instid0(SALU_CYCLE_1)
	s_or_b32 s39, s2, s39
.LBB119_357:
	s_mov_b32 s2, 0
.LBB119_358:
	s_delay_alu instid0(SALU_CYCLE_1)
	s_and_not1_b32 vcc_lo, exec_lo, s2
	s_cbranch_vccnz .LBB119_360
; %bb.359:
	global_load_u16 v6, v[3:4], off
	s_and_not1_b32 s2, s39, exec_lo
	s_waitcnt vmcnt(0)
	v_and_b32_e32 v6, 0x7fff, v6
	s_delay_alu instid0(VALU_DEP_1) | instskip(SKIP_1) | instid1(SALU_CYCLE_1)
	v_cmp_ne_u16_e32 vcc_lo, 0, v6
	s_and_b32 s39, vcc_lo, exec_lo
	s_or_b32 s39, s2, s39
.LBB119_360:
	s_mov_b32 s2, 0
.LBB119_361:
	s_delay_alu instid0(SALU_CYCLE_1)
	s_and_not1_b32 vcc_lo, exec_lo, s2
	s_cbranch_vccnz .LBB119_381
; %bb.362:
	v_cmp_gt_i16_e32 vcc_lo, 2, v5
	s_cbranch_vccnz .LBB119_366
; %bb.363:
	v_cmp_gt_i16_e32 vcc_lo, 3, v5
	s_cbranch_vccnz .LBB119_367
; %bb.364:
	v_cmp_lt_i16_e32 vcc_lo, 3, v5
	s_cbranch_vccz .LBB119_368
; %bb.365:
	global_load_b64 v[6:7], v[3:4], off
	s_mov_b32 s2, 0
	s_waitcnt vmcnt(0)
	v_cmp_ne_u64_e32 vcc_lo, 0, v[6:7]
	s_and_b32 s39, vcc_lo, exec_lo
	s_branch .LBB119_369
.LBB119_366:
	s_mov_b32 s2, -1
                                        ; implicit-def: $sgpr39
	s_branch .LBB119_375
.LBB119_367:
	s_mov_b32 s2, -1
                                        ; implicit-def: $sgpr39
	s_branch .LBB119_372
.LBB119_368:
	s_mov_b32 s2, -1
                                        ; implicit-def: $sgpr39
.LBB119_369:
	s_delay_alu instid0(SALU_CYCLE_1)
	s_and_not1_b32 vcc_lo, exec_lo, s2
	s_cbranch_vccnz .LBB119_371
; %bb.370:
	global_load_b32 v6, v[3:4], off
	s_and_not1_b32 s2, s39, exec_lo
	s_waitcnt vmcnt(0)
	v_cmp_ne_u32_e32 vcc_lo, 0, v6
	s_and_b32 s39, vcc_lo, exec_lo
	s_delay_alu instid0(SALU_CYCLE_1)
	s_or_b32 s39, s2, s39
.LBB119_371:
	s_mov_b32 s2, 0
.LBB119_372:
	s_delay_alu instid0(SALU_CYCLE_1)
	s_and_not1_b32 vcc_lo, exec_lo, s2
	s_cbranch_vccnz .LBB119_374
; %bb.373:
	global_load_u16 v6, v[3:4], off
	s_and_not1_b32 s2, s39, exec_lo
	s_waitcnt vmcnt(0)
	v_cmp_ne_u16_e32 vcc_lo, 0, v6
	s_and_b32 s39, vcc_lo, exec_lo
	s_delay_alu instid0(SALU_CYCLE_1)
	s_or_b32 s39, s2, s39
.LBB119_374:
	s_mov_b32 s2, 0
.LBB119_375:
	s_delay_alu instid0(SALU_CYCLE_1)
	s_and_not1_b32 vcc_lo, exec_lo, s2
	s_cbranch_vccnz .LBB119_381
; %bb.376:
	v_cmp_lt_i16_e32 vcc_lo, 0, v5
	s_mov_b32 s2, 0
	s_cbranch_vccz .LBB119_378
; %bb.377:
	global_load_u8 v5, v[3:4], off
	s_waitcnt vmcnt(0)
	v_cmp_ne_u16_e32 vcc_lo, 0, v5
	s_and_b32 s39, vcc_lo, exec_lo
	s_branch .LBB119_379
.LBB119_378:
	s_mov_b32 s2, -1
                                        ; implicit-def: $sgpr39
.LBB119_379:
	s_delay_alu instid0(SALU_CYCLE_1)
	s_and_not1_b32 vcc_lo, exec_lo, s2
	s_cbranch_vccnz .LBB119_381
; %bb.380:
	global_load_u8 v3, v[3:4], off
	s_and_not1_b32 s2, s39, exec_lo
	s_waitcnt vmcnt(0)
	v_cmp_ne_u16_e32 vcc_lo, 0, v3
	s_and_b32 s39, vcc_lo, exec_lo
	s_delay_alu instid0(SALU_CYCLE_1)
	s_or_b32 s39, s2, s39
.LBB119_381:
	s_branch .LBB119_31
.LBB119_382:
	s_mov_b32 s2, 0
.LBB119_383:
	s_mov_b32 s44, 0
                                        ; implicit-def: $vgpr9
.LBB119_384:
	s_and_b32 s39, s2, exec_lo
	s_and_b32 s40, s3, exec_lo
	s_and_b32 s41, s41, exec_lo
	s_or_not1_b32 s3, s44, exec_lo
.LBB119_385:
	s_or_b32 exec_lo, exec_lo, s42
	s_mov_b32 s44, 0
	s_mov_b32 s2, 0
                                        ; implicit-def: $vgpr7
                                        ; implicit-def: $vgpr5_vgpr6
                                        ; implicit-def: $vgpr2
                                        ; implicit-def: $vgpr0
                                        ; implicit-def: $vgpr3_vgpr4
	s_and_saveexec_b32 s42, s3
	s_cbranch_execz .LBB119_1275
; %bb.386:
	s_mov_b32 s48, -1
	s_mov_b32 s43, s41
	s_mov_b32 s45, s40
	;; [unrolled: 1-line block ×3, first 2 shown]
	s_mov_b32 s46, exec_lo
	v_cmpx_gt_i32_e64 s37, v9
	s_cbranch_execz .LBB119_707
; %bb.387:
	s_and_not1_b32 vcc_lo, exec_lo, s29
	s_cbranch_vccnz .LBB119_393
; %bb.388:
	v_dual_mov_b32 v2, 0 :: v_dual_mov_b32 v3, 0
	s_waitcnt vmcnt(0)
	v_mov_b32_e32 v0, 0
	s_and_not1_b32 vcc_lo, exec_lo, s38
	s_mov_b32 s43, 0
	s_cbranch_vccnz .LBB119_394
; %bb.389:
	s_add_i32 s2, s36, 1
	v_dual_mov_b32 v3, 0 :: v_dual_mov_b32 v0, 0
	v_dual_mov_b32 v2, 0 :: v_dual_mov_b32 v1, v9
	s_and_b32 s44, s2, 30
	s_add_u32 s2, s20, 0xffffffec
	s_addc_u32 s3, s21, -1
	s_set_inst_prefetch_distance 0x1
	.p2align	6
.LBB119_390:                            ; =>This Inner Loop Header: Depth=1
	s_clause 0x2
	s_load_b128 s[48:51], s[2:3], 0x18
	s_load_b64 s[56:57], s[2:3], 0x28
	s_load_b128 s[52:55], s[2:3], 0xd8
	s_waitcnt lgkmcnt(0)
	v_mul_hi_u32 v4, s49, v1
	s_delay_alu instid0(VALU_DEP_1) | instskip(NEXT) | instid1(VALU_DEP_1)
	v_add_nc_u32_e32 v4, v1, v4
	v_lshrrev_b32_e32 v4, s50, v4
	s_delay_alu instid0(VALU_DEP_1)
	v_mul_hi_u32 v5, s56, v4
	v_mul_lo_u32 v6, v4, s48
	s_load_b64 s[48:49], s[2:3], 0xe8
	s_add_u32 s2, s2, 24
	s_addc_u32 s3, s3, 0
	s_add_i32 s44, s44, -2
	s_delay_alu instid0(SALU_CYCLE_1) | instskip(NEXT) | instid1(VALU_DEP_2)
	s_cmp_eq_u32 s44, 0
	v_add_nc_u32_e32 v5, v4, v5
	s_delay_alu instid0(VALU_DEP_2) | instskip(NEXT) | instid1(VALU_DEP_2)
	v_sub_nc_u32_e32 v6, v1, v6
	v_lshrrev_b32_e32 v1, s57, v5
	s_delay_alu instid0(VALU_DEP_2) | instskip(NEXT) | instid1(VALU_DEP_2)
	v_mul_lo_u32 v7, v6, s52
	v_mul_lo_u32 v5, v1, s51
	s_delay_alu instid0(VALU_DEP_1) | instskip(SKIP_2) | instid1(VALU_DEP_3)
	v_sub_nc_u32_e32 v4, v4, v5
	v_mul_lo_u32 v5, v6, s53
	v_mul_lo_u32 v6, v6, s54
	;; [unrolled: 1-line block ×3, first 2 shown]
	s_waitcnt lgkmcnt(0)
	v_mul_lo_u32 v10, v4, s48
	v_mul_lo_u32 v4, v4, s49
	s_delay_alu instid0(VALU_DEP_3) | instskip(NEXT) | instid1(VALU_DEP_3)
	v_add3_u32 v2, v7, v2, v8
	v_add3_u32 v0, v5, v0, v10
	s_delay_alu instid0(VALU_DEP_3)
	v_add3_u32 v3, v6, v3, v4
	s_cbranch_scc0 .LBB119_390
; %bb.391:
	s_set_inst_prefetch_distance 0x2
	s_bitcmp1_b32 s36, 0
	s_cselect_b32 s44, -1, 0
	s_delay_alu instid0(SALU_CYCLE_1)
	s_and_b32 vcc_lo, exec_lo, s44
	s_cbranch_vccnz .LBB119_394
; %bb.392:
	s_clause 0x3
	s_load_b64 s[44:45], s[2:3], 0x18
	s_load_b32 s47, s[2:3], 0x20
	s_load_b64 s[48:49], s[2:3], 0xd8
	s_load_b32 s2, s[2:3], 0xe0
	s_waitcnt lgkmcnt(0)
	v_mul_hi_u32 v4, s45, v1
	s_delay_alu instid0(VALU_DEP_1) | instskip(NEXT) | instid1(VALU_DEP_1)
	v_add_nc_u32_e32 v4, v1, v4
	v_lshrrev_b32_e32 v4, s47, v4
	s_delay_alu instid0(VALU_DEP_1) | instskip(NEXT) | instid1(VALU_DEP_1)
	v_mul_lo_u32 v4, v4, s44
	v_sub_nc_u32_e32 v7, v1, v4
	s_delay_alu instid0(VALU_DEP_1) | instskip(SKIP_1) | instid1(VALU_DEP_2)
	v_mad_u64_u32 v[4:5], null, v7, s48, v[2:3]
	v_mad_u64_u32 v[1:2], null, v7, s49, v[0:1]
	;; [unrolled: 1-line block ×3, first 2 shown]
	v_mov_b32_e32 v2, v4
	s_delay_alu instid0(VALU_DEP_3) | instskip(NEXT) | instid1(VALU_DEP_3)
	v_mov_b32_e32 v0, v1
	v_mov_b32_e32 v3, v5
	s_branch .LBB119_394
.LBB119_393:
	s_mov_b32 s43, -1
                                        ; implicit-def: $vgpr2
                                        ; implicit-def: $vgpr0
                                        ; implicit-def: $vgpr3
.LBB119_394:
	s_delay_alu instid0(SALU_CYCLE_1)
	s_and_not1_b32 vcc_lo, exec_lo, s43
	s_cbranch_vccnz .LBB119_397
; %bb.395:
	s_waitcnt vmcnt(0)
	v_mul_hi_u32 v0, s17, v9
	s_and_not1_b32 vcc_lo, exec_lo, s35
	s_delay_alu instid0(VALU_DEP_1) | instskip(NEXT) | instid1(VALU_DEP_1)
	v_add_nc_u32_e32 v0, v9, v0
	v_lshrrev_b32_e32 v1, s18, v0
	s_delay_alu instid0(VALU_DEP_1) | instskip(NEXT) | instid1(VALU_DEP_1)
	v_mul_lo_u32 v0, v1, s16
	v_sub_nc_u32_e32 v3, v9, v0
	s_delay_alu instid0(VALU_DEP_1)
	v_mul_lo_u32 v2, v3, s12
	v_mul_lo_u32 v0, v3, s13
	;; [unrolled: 1-line block ×3, first 2 shown]
	s_cbranch_vccnz .LBB119_397
; %bb.396:
	v_mul_hi_u32 v4, s24, v1
	s_delay_alu instid0(VALU_DEP_1) | instskip(NEXT) | instid1(VALU_DEP_1)
	v_add_nc_u32_e32 v4, v1, v4
	v_lshrrev_b32_e32 v4, s25, v4
	s_delay_alu instid0(VALU_DEP_1) | instskip(NEXT) | instid1(VALU_DEP_1)
	v_mul_lo_u32 v4, v4, s19
	v_sub_nc_u32_e32 v7, v1, v4
	s_delay_alu instid0(VALU_DEP_1) | instskip(SKIP_1) | instid1(VALU_DEP_2)
	v_mad_u64_u32 v[4:5], null, v7, s15, v[2:3]
	v_mad_u64_u32 v[1:2], null, v7, s22, v[0:1]
	;; [unrolled: 1-line block ×3, first 2 shown]
	v_mov_b32_e32 v2, v4
	s_delay_alu instid0(VALU_DEP_3) | instskip(NEXT) | instid1(VALU_DEP_3)
	v_mov_b32_e32 v0, v1
	v_mov_b32_e32 v3, v5
.LBB119_397:
	v_and_b32_e64 v6, 0xff, s34
	s_waitcnt vmcnt(0)
	s_delay_alu instid0(VALU_DEP_2) | instskip(NEXT) | instid1(VALU_DEP_1)
	v_add_co_u32 v4, s2, s6, v0
	v_add_co_ci_u32_e64 v5, null, s7, 0, s2
	s_delay_alu instid0(VALU_DEP_3)
	v_cmp_gt_i16_e32 vcc_lo, 11, v6
	s_mov_b32 s2, 0
	s_cbranch_vccnz .LBB119_404
; %bb.398:
	v_cmp_lt_i16_e32 vcc_lo, 25, v6
	s_cbranch_vccz .LBB119_413
; %bb.399:
	v_cmp_lt_i16_e32 vcc_lo, 28, v6
	s_cbranch_vccz .LBB119_415
; %bb.400:
	v_cmp_lt_i16_e32 vcc_lo, 43, v6
	s_cbranch_vccz .LBB119_417
; %bb.401:
	v_cmp_lt_i16_e32 vcc_lo, 45, v6
	s_cbranch_vccz .LBB119_419
; %bb.402:
	v_cmp_eq_u16_e32 vcc_lo, 46, v6
	s_mov_b32 s3, 0
	s_cbranch_vccz .LBB119_423
; %bb.403:
	global_load_b32 v0, v[4:5], off
	s_mov_b32 s2, -1
	s_mov_b32 s43, 0
	s_waitcnt vmcnt(0)
	v_lshlrev_b32_e32 v0, 16, v0
	s_delay_alu instid0(VALU_DEP_1)
	v_cvt_f64_f32_e32 v[0:1], v0
	s_branch .LBB119_425
.LBB119_404:
	s_mov_b32 s43, s41
                                        ; implicit-def: $vgpr0_vgpr1
	s_cbranch_execnz .LBB119_491
.LBB119_405:
	s_and_not1_b32 vcc_lo, exec_lo, s2
	s_cbranch_vccnz .LBB119_539
.LBB119_406:
	v_and_b32_e64 v5, 0xff, s33
	v_add_co_u32 v3, s2, s8, v3
	s_delay_alu instid0(VALU_DEP_1) | instskip(NEXT) | instid1(VALU_DEP_3)
	v_add_co_ci_u32_e64 v4, null, s9, 0, s2
	v_cmp_gt_i16_e32 vcc_lo, 11, v5
	s_mov_b32 s2, 0
	s_cbranch_vccnz .LBB119_414
; %bb.407:
	v_cmp_lt_i16_e32 vcc_lo, 25, v5
	s_cbranch_vccz .LBB119_416
; %bb.408:
	v_cmp_lt_i16_e32 vcc_lo, 28, v5
	s_cbranch_vccz .LBB119_418
; %bb.409:
	v_cmp_lt_i16_e32 vcc_lo, 43, v5
	s_cbranch_vccz .LBB119_420
; %bb.410:
	v_cmp_lt_i16_e32 vcc_lo, 45, v5
	s_cbranch_vccz .LBB119_428
; %bb.411:
	v_cmp_eq_u16_e32 vcc_lo, 46, v5
	s_mov_b32 s45, 0
	s_cbranch_vccz .LBB119_542
; %bb.412:
	global_load_b32 v6, v[3:4], off
	s_mov_b32 s3, 0
	s_mov_b32 s2, -1
	s_waitcnt vmcnt(0)
	v_and_b32_e32 v6, 0x7fff7fff, v6
	s_delay_alu instid0(VALU_DEP_1)
	v_cmp_ne_u32_e32 vcc_lo, 0, v6
	s_and_b32 s44, vcc_lo, exec_lo
	s_branch .LBB119_544
.LBB119_413:
	s_mov_b32 s3, -1
	s_mov_b32 s43, s41
                                        ; implicit-def: $vgpr0_vgpr1
	s_branch .LBB119_457
.LBB119_414:
	s_mov_b32 s45, -1
	s_mov_b32 s3, s40
                                        ; implicit-def: $sgpr44
	s_branch .LBB119_607
.LBB119_415:
	s_mov_b32 s3, -1
	s_mov_b32 s43, s41
                                        ; implicit-def: $vgpr0_vgpr1
	s_branch .LBB119_436
.LBB119_416:
	s_mov_b32 s45, -1
	s_mov_b32 s3, s40
                                        ; implicit-def: $sgpr44
	s_branch .LBB119_571
.LBB119_417:
	s_mov_b32 s3, -1
	s_mov_b32 s43, s41
                                        ; implicit-def: $vgpr0_vgpr1
	s_branch .LBB119_431
.LBB119_418:
	s_mov_b32 s45, -1
	s_mov_b32 s3, s40
                                        ; implicit-def: $sgpr44
	s_branch .LBB119_552
.LBB119_419:
	s_mov_b32 s3, -1
	s_mov_b32 s43, s41
	s_branch .LBB119_424
.LBB119_420:
	s_mov_b32 s45, -1
	s_mov_b32 s3, s40
                                        ; implicit-def: $sgpr44
	s_branch .LBB119_547
.LBB119_421:
	s_or_saveexec_b32 s40, s40
                                        ; implicit-def: $sgpr44
	s_delay_alu instid0(SALU_CYCLE_1)
	s_xor_b32 exec_lo, exec_lo, s40
	s_cbranch_execz .LBB119_59
.LBB119_422:
	v_add_f32_e64 v3, 0x46000000, |v2|
	s_and_not1_b32 s39, s39, exec_lo
	s_mov_b32 s44, 0
	s_delay_alu instid0(VALU_DEP_1) | instskip(NEXT) | instid1(VALU_DEP_1)
	v_and_b32_e32 v3, 0xff, v3
	v_cmp_ne_u32_e32 vcc_lo, 0, v3
	s_and_b32 s45, vcc_lo, exec_lo
	s_delay_alu instid0(SALU_CYCLE_1)
	s_or_b32 s39, s39, s45
	s_or_b32 exec_lo, exec_lo, s40
	v_mov_b32_e32 v7, s44
	s_and_saveexec_b32 s40, s39
	s_cbranch_execnz .LBB119_60
	s_branch .LBB119_61
.LBB119_423:
	s_mov_b32 s43, -1
.LBB119_424:
                                        ; implicit-def: $vgpr0_vgpr1
.LBB119_425:
	s_and_b32 vcc_lo, exec_lo, s3
	s_cbranch_vccz .LBB119_430
; %bb.426:
	v_cmp_eq_u16_e32 vcc_lo, 44, v6
	s_cbranch_vccz .LBB119_429
; %bb.427:
	global_load_u8 v7, v[4:5], off
	s_mov_b32 s43, 0
	s_mov_b32 s2, -1
	s_waitcnt vmcnt(0)
	v_cmp_ne_u32_e32 vcc_lo, 0xff, v7
	v_lshlrev_b32_e32 v0, 23, v7
	s_delay_alu instid0(VALU_DEP_1) | instskip(NEXT) | instid1(VALU_DEP_1)
	v_cvt_f64_f32_e32 v[0:1], v0
	v_cndmask_b32_e32 v1, 0x7ff80000, v1, vcc_lo
	s_delay_alu instid0(VALU_DEP_2) | instskip(SKIP_1) | instid1(VALU_DEP_3)
	v_cndmask_b32_e32 v0, 0x20000000, v0, vcc_lo
	v_cmp_ne_u32_e32 vcc_lo, 0, v7
	v_cndmask_b32_e32 v1, 0x38000000, v1, vcc_lo
	s_delay_alu instid0(VALU_DEP_3)
	v_cndmask_b32_e32 v0, 0, v0, vcc_lo
	s_branch .LBB119_430
.LBB119_428:
	s_mov_b32 s45, -1
	s_mov_b32 s3, s40
	s_branch .LBB119_543
.LBB119_429:
	s_mov_b32 s43, -1
                                        ; implicit-def: $vgpr0_vgpr1
.LBB119_430:
	s_mov_b32 s3, 0
.LBB119_431:
	s_delay_alu instid0(SALU_CYCLE_1)
	s_and_b32 vcc_lo, exec_lo, s3
	s_cbranch_vccz .LBB119_435
; %bb.432:
	v_cmp_eq_u16_e32 vcc_lo, 29, v6
	s_cbranch_vccz .LBB119_434
; %bb.433:
	global_load_b64 v[0:1], v[4:5], off
	s_mov_b32 s2, -1
	s_mov_b32 s43, 0
	s_mov_b32 s3, 0
	s_waitcnt vmcnt(0)
	v_cvt_f64_u32_e32 v[7:8], v1
	v_cvt_f64_u32_e32 v[0:1], v0
	s_delay_alu instid0(VALU_DEP_2) | instskip(NEXT) | instid1(VALU_DEP_1)
	v_ldexp_f64 v[7:8], v[7:8], 32
	v_add_f64 v[0:1], v[7:8], v[0:1]
	s_branch .LBB119_436
.LBB119_434:
	s_mov_b32 s43, -1
                                        ; implicit-def: $vgpr0_vgpr1
.LBB119_435:
	s_mov_b32 s3, 0
.LBB119_436:
	s_delay_alu instid0(SALU_CYCLE_1)
	s_and_b32 vcc_lo, exec_lo, s3
	s_cbranch_vccz .LBB119_456
; %bb.437:
	v_cmp_gt_i16_e32 vcc_lo, 27, v6
	s_cbranch_vccnz .LBB119_440
; %bb.438:
	v_cmp_lt_i16_e32 vcc_lo, 27, v6
	s_cbranch_vccz .LBB119_441
; %bb.439:
	global_load_b32 v0, v[4:5], off
	s_mov_b32 s2, 0
	s_waitcnt vmcnt(0)
	v_cvt_f64_u32_e32 v[0:1], v0
	s_branch .LBB119_442
.LBB119_440:
	s_mov_b32 s2, -1
                                        ; implicit-def: $vgpr0_vgpr1
	s_branch .LBB119_445
.LBB119_441:
	s_mov_b32 s2, -1
                                        ; implicit-def: $vgpr0_vgpr1
.LBB119_442:
	s_delay_alu instid0(SALU_CYCLE_1)
	s_and_not1_b32 vcc_lo, exec_lo, s2
	s_cbranch_vccnz .LBB119_444
; %bb.443:
	global_load_u16 v0, v[4:5], off
	s_waitcnt vmcnt(0)
	v_cvt_f64_u32_e32 v[0:1], v0
.LBB119_444:
	s_mov_b32 s2, 0
.LBB119_445:
	s_delay_alu instid0(SALU_CYCLE_1)
	s_and_not1_b32 vcc_lo, exec_lo, s2
	s_cbranch_vccnz .LBB119_455
; %bb.446:
	global_load_u8 v7, v[4:5], off
	s_mov_b32 s44, 0
	s_mov_b32 s45, exec_lo
                                        ; implicit-def: $sgpr2_sgpr3
	s_waitcnt vmcnt(0)
	v_cmpx_lt_i16_e32 0x7f, v7
	s_xor_b32 s45, exec_lo, s45
	s_cbranch_execz .LBB119_450
; %bb.447:
	s_mov_b32 s47, -1
	s_mov_b32 s44, exec_lo
                                        ; implicit-def: $sgpr2_sgpr3
	v_cmpx_eq_u16_e32 0x80, v7
; %bb.448:
	s_mov_b32 s3, 0x7ff80000
	s_brev_b32 s2, 4
	s_xor_b32 s47, exec_lo, -1
; %bb.449:
	s_or_b32 exec_lo, exec_lo, s44
	s_delay_alu instid0(SALU_CYCLE_1)
	s_and_b32 s44, s47, exec_lo
.LBB119_450:
	s_or_saveexec_b32 s45, s45
	v_dual_mov_b32 v0, s2 :: v_dual_mov_b32 v1, s3
	s_xor_b32 exec_lo, exec_lo, s45
; %bb.451:
	v_cmp_ne_u16_e32 vcc_lo, 0, v7
	v_mov_b32_e32 v0, 0
	v_mov_b32_e32 v1, 0
	s_and_not1_b32 s2, s44, exec_lo
	s_and_b32 s3, vcc_lo, exec_lo
	s_delay_alu instid0(SALU_CYCLE_1)
	s_or_b32 s44, s2, s3
; %bb.452:
	s_or_b32 exec_lo, exec_lo, s45
	s_and_saveexec_b32 s2, s44
	s_cbranch_execz .LBB119_454
; %bb.453:
	v_and_b32_e32 v0, 0xffff, v7
	s_delay_alu instid0(VALU_DEP_1) | instskip(NEXT) | instid1(VALU_DEP_1)
	v_and_b32_e32 v1, 7, v0
	v_clz_i32_u32_e32 v8, v1
	s_delay_alu instid0(VALU_DEP_1) | instskip(NEXT) | instid1(VALU_DEP_1)
	v_min_u32_e32 v8, 32, v8
	v_subrev_nc_u32_e32 v10, 28, v8
	v_sub_nc_u32_e32 v8, 29, v8
	s_delay_alu instid0(VALU_DEP_2) | instskip(SKIP_1) | instid1(VALU_DEP_2)
	v_lshlrev_b32_e32 v10, v10, v0
	v_bfe_u32 v0, v0, 3, 4
	v_and_b32_e32 v10, 7, v10
	s_delay_alu instid0(VALU_DEP_2) | instskip(SKIP_1) | instid1(VALU_DEP_3)
	v_cmp_eq_u32_e32 vcc_lo, 0, v0
	v_dual_cndmask_b32 v0, v0, v8 :: v_dual_lshlrev_b32 v7, 24, v7
	v_cndmask_b32_e32 v1, v1, v10, vcc_lo
	s_delay_alu instid0(VALU_DEP_2) | instskip(NEXT) | instid1(VALU_DEP_3)
	v_and_b32_e32 v7, 0x80000000, v7
	v_lshl_add_u32 v0, v0, 23, 0x3b800000
	s_delay_alu instid0(VALU_DEP_3) | instskip(NEXT) | instid1(VALU_DEP_1)
	v_lshlrev_b32_e32 v1, 20, v1
	v_or3_b32 v0, v7, v0, v1
	s_delay_alu instid0(VALU_DEP_1)
	v_cvt_f64_f32_e32 v[0:1], v0
.LBB119_454:
	s_or_b32 exec_lo, exec_lo, s2
.LBB119_455:
	s_mov_b32 s2, -1
.LBB119_456:
	s_mov_b32 s3, 0
.LBB119_457:
	s_delay_alu instid0(SALU_CYCLE_1)
	s_and_b32 vcc_lo, exec_lo, s3
	s_cbranch_vccz .LBB119_490
; %bb.458:
	v_cmp_lt_i16_e32 vcc_lo, 22, v6
	s_cbranch_vccz .LBB119_470
; %bb.459:
	v_cmp_gt_i16_e32 vcc_lo, 24, v6
	s_cbranch_vccnz .LBB119_471
; %bb.460:
	v_cmp_lt_i16_e32 vcc_lo, 24, v6
	s_cbranch_vccz .LBB119_472
; %bb.461:
	global_load_u8 v7, v[4:5], off
	s_mov_b32 s44, 0
	s_mov_b32 s45, exec_lo
                                        ; implicit-def: $sgpr2_sgpr3
	s_waitcnt vmcnt(0)
	v_cmpx_lt_i16_e32 0x7f, v7
	s_xor_b32 s45, exec_lo, s45
	s_cbranch_execz .LBB119_465
; %bb.462:
	s_mov_b32 s47, -1
	s_mov_b32 s44, exec_lo
                                        ; implicit-def: $sgpr2_sgpr3
	v_cmpx_eq_u16_e32 0x80, v7
; %bb.463:
	s_mov_b32 s3, 0x7ff80000
	s_brev_b32 s2, 4
	s_xor_b32 s47, exec_lo, -1
; %bb.464:
	s_or_b32 exec_lo, exec_lo, s44
	s_delay_alu instid0(SALU_CYCLE_1)
	s_and_b32 s44, s47, exec_lo
.LBB119_465:
	s_or_saveexec_b32 s45, s45
	v_dual_mov_b32 v0, s2 :: v_dual_mov_b32 v1, s3
	s_xor_b32 exec_lo, exec_lo, s45
; %bb.466:
	v_cmp_ne_u16_e32 vcc_lo, 0, v7
	v_mov_b32_e32 v0, 0
	v_mov_b32_e32 v1, 0
	s_and_not1_b32 s2, s44, exec_lo
	s_and_b32 s3, vcc_lo, exec_lo
	s_delay_alu instid0(SALU_CYCLE_1)
	s_or_b32 s44, s2, s3
; %bb.467:
	s_or_b32 exec_lo, exec_lo, s45
	s_and_saveexec_b32 s2, s44
	s_cbranch_execz .LBB119_469
; %bb.468:
	v_and_b32_e32 v0, 0xffff, v7
	s_delay_alu instid0(VALU_DEP_1) | instskip(NEXT) | instid1(VALU_DEP_1)
	v_and_b32_e32 v1, 3, v0
	v_clz_i32_u32_e32 v8, v1
	s_delay_alu instid0(VALU_DEP_1) | instskip(NEXT) | instid1(VALU_DEP_1)
	v_min_u32_e32 v8, 32, v8
	v_subrev_nc_u32_e32 v10, 29, v8
	v_sub_nc_u32_e32 v8, 30, v8
	s_delay_alu instid0(VALU_DEP_2) | instskip(SKIP_1) | instid1(VALU_DEP_2)
	v_lshlrev_b32_e32 v10, v10, v0
	v_bfe_u32 v0, v0, 2, 5
	v_and_b32_e32 v10, 3, v10
	s_delay_alu instid0(VALU_DEP_2) | instskip(SKIP_1) | instid1(VALU_DEP_3)
	v_cmp_eq_u32_e32 vcc_lo, 0, v0
	v_dual_cndmask_b32 v0, v0, v8 :: v_dual_lshlrev_b32 v7, 24, v7
	v_cndmask_b32_e32 v1, v1, v10, vcc_lo
	s_delay_alu instid0(VALU_DEP_2) | instskip(NEXT) | instid1(VALU_DEP_3)
	v_and_b32_e32 v7, 0x80000000, v7
	v_lshl_add_u32 v0, v0, 23, 0x37800000
	s_delay_alu instid0(VALU_DEP_3) | instskip(NEXT) | instid1(VALU_DEP_1)
	v_lshlrev_b32_e32 v1, 21, v1
	v_or3_b32 v0, v7, v0, v1
	s_delay_alu instid0(VALU_DEP_1)
	v_cvt_f64_f32_e32 v[0:1], v0
.LBB119_469:
	s_or_b32 exec_lo, exec_lo, s2
	s_mov_b32 s2, 0
	s_branch .LBB119_473
.LBB119_470:
	s_mov_b32 s3, -1
                                        ; implicit-def: $vgpr0_vgpr1
	s_branch .LBB119_479
.LBB119_471:
	s_mov_b32 s2, -1
                                        ; implicit-def: $vgpr0_vgpr1
	s_branch .LBB119_476
.LBB119_472:
	s_mov_b32 s2, -1
                                        ; implicit-def: $vgpr0_vgpr1
.LBB119_473:
	s_delay_alu instid0(SALU_CYCLE_1)
	s_and_b32 vcc_lo, exec_lo, s2
	s_cbranch_vccz .LBB119_475
; %bb.474:
	global_load_u8 v0, v[4:5], off
	s_waitcnt vmcnt(0)
	v_lshlrev_b32_e32 v0, 24, v0
	s_delay_alu instid0(VALU_DEP_1) | instskip(NEXT) | instid1(VALU_DEP_1)
	v_and_b32_e32 v1, 0x7f000000, v0
	v_clz_i32_u32_e32 v7, v1
	v_add_nc_u32_e32 v10, 0x1000000, v1
	v_cmp_ne_u32_e32 vcc_lo, 0, v1
	s_delay_alu instid0(VALU_DEP_3) | instskip(NEXT) | instid1(VALU_DEP_1)
	v_min_u32_e32 v7, 32, v7
	v_sub_nc_u32_e64 v7, v7, 4 clamp
	s_delay_alu instid0(VALU_DEP_1) | instskip(SKIP_1) | instid1(VALU_DEP_2)
	v_lshlrev_b32_e32 v8, v7, v1
	v_lshlrev_b32_e32 v7, 23, v7
	v_lshrrev_b32_e32 v8, 4, v8
	s_delay_alu instid0(VALU_DEP_1) | instskip(SKIP_1) | instid1(VALU_DEP_2)
	v_sub_nc_u32_e32 v7, v8, v7
	v_ashrrev_i32_e32 v8, 8, v10
	v_add_nc_u32_e32 v7, 0x3c000000, v7
	s_delay_alu instid0(VALU_DEP_1) | instskip(NEXT) | instid1(VALU_DEP_1)
	v_and_or_b32 v7, 0x7f800000, v8, v7
	v_cndmask_b32_e32 v1, 0, v7, vcc_lo
	s_delay_alu instid0(VALU_DEP_1) | instskip(NEXT) | instid1(VALU_DEP_1)
	v_and_or_b32 v0, 0x80000000, v0, v1
	v_cvt_f64_f32_e32 v[0:1], v0
.LBB119_475:
	s_mov_b32 s2, 0
.LBB119_476:
	s_delay_alu instid0(SALU_CYCLE_1)
	s_and_not1_b32 vcc_lo, exec_lo, s2
	s_cbranch_vccnz .LBB119_478
; %bb.477:
	global_load_u8 v0, v[4:5], off
	s_waitcnt vmcnt(0)
	v_lshlrev_b32_e32 v1, 25, v0
	v_lshlrev_b16 v0, 8, v0
	s_delay_alu instid0(VALU_DEP_2) | instskip(NEXT) | instid1(VALU_DEP_2)
	v_lshrrev_b32_e32 v7, 4, v1
	v_and_or_b32 v8, 0x7f00, v0, 0.5
	v_cmp_gt_u32_e32 vcc_lo, 0x8000000, v1
	v_bfe_i32 v0, v0, 0, 16
	s_delay_alu instid0(VALU_DEP_4) | instskip(NEXT) | instid1(VALU_DEP_1)
	v_or_b32_e32 v7, 0x70000000, v7
	v_dual_add_f32 v8, -0.5, v8 :: v_dual_mul_f32 v7, 0x7800000, v7
	s_delay_alu instid0(VALU_DEP_1) | instskip(NEXT) | instid1(VALU_DEP_1)
	v_cndmask_b32_e32 v1, v7, v8, vcc_lo
	v_and_or_b32 v0, 0x80000000, v0, v1
	s_delay_alu instid0(VALU_DEP_1)
	v_cvt_f64_f32_e32 v[0:1], v0
.LBB119_478:
	s_mov_b32 s3, 0
	s_mov_b32 s2, -1
.LBB119_479:
	s_and_not1_b32 vcc_lo, exec_lo, s3
	s_cbranch_vccnz .LBB119_490
; %bb.480:
	v_cmp_lt_i16_e32 vcc_lo, 14, v6
	s_cbranch_vccz .LBB119_483
; %bb.481:
	v_cmp_eq_u16_e32 vcc_lo, 15, v6
	s_cbranch_vccz .LBB119_484
; %bb.482:
	global_load_u16 v0, v[4:5], off
	s_mov_b32 s2, -1
	s_mov_b32 s43, 0
	s_waitcnt vmcnt(0)
	v_lshlrev_b32_e32 v0, 16, v0
	s_delay_alu instid0(VALU_DEP_1)
	v_cvt_f64_f32_e32 v[0:1], v0
	s_branch .LBB119_485
.LBB119_483:
	s_mov_b32 s3, -1
                                        ; implicit-def: $vgpr0_vgpr1
	s_branch .LBB119_486
.LBB119_484:
	s_mov_b32 s43, -1
                                        ; implicit-def: $vgpr0_vgpr1
.LBB119_485:
	s_mov_b32 s3, 0
.LBB119_486:
	s_delay_alu instid0(SALU_CYCLE_1)
	s_and_b32 vcc_lo, exec_lo, s3
	s_cbranch_vccz .LBB119_490
; %bb.487:
	v_cmp_eq_u16_e32 vcc_lo, 11, v6
	s_cbranch_vccz .LBB119_489
; %bb.488:
	global_load_u8 v0, v[4:5], off
	s_mov_b32 s43, 0
	s_mov_b32 s2, -1
	s_waitcnt vmcnt(0)
	v_cmp_ne_u16_e32 vcc_lo, 0, v0
	v_mov_b32_e32 v0, 0
	v_cndmask_b32_e64 v1, 0, 0x3ff00000, vcc_lo
	s_branch .LBB119_490
.LBB119_489:
	s_mov_b32 s43, -1
                                        ; implicit-def: $vgpr0_vgpr1
.LBB119_490:
	s_branch .LBB119_405
.LBB119_491:
	v_cmp_gt_i16_e32 vcc_lo, 5, v6
	s_cbranch_vccnz .LBB119_496
; %bb.492:
	v_cmp_gt_i16_e32 vcc_lo, 8, v6
	s_cbranch_vccnz .LBB119_497
; %bb.493:
	;; [unrolled: 3-line block ×3, first 2 shown]
	v_cmp_lt_i16_e32 vcc_lo, 9, v6
	s_cbranch_vccz .LBB119_499
; %bb.495:
	global_load_b64 v[0:1], v[4:5], off
	s_mov_b32 s2, 0
	s_branch .LBB119_500
.LBB119_496:
	s_mov_b32 s2, -1
                                        ; implicit-def: $vgpr0_vgpr1
	s_branch .LBB119_518
.LBB119_497:
	s_mov_b32 s2, -1
                                        ; implicit-def: $vgpr0_vgpr1
	s_branch .LBB119_506
.LBB119_498:
	s_mov_b32 s2, -1
                                        ; implicit-def: $vgpr0_vgpr1
	s_branch .LBB119_503
.LBB119_499:
	s_mov_b32 s2, -1
                                        ; implicit-def: $vgpr0_vgpr1
.LBB119_500:
	s_delay_alu instid0(SALU_CYCLE_1)
	s_and_not1_b32 vcc_lo, exec_lo, s2
	s_cbranch_vccnz .LBB119_502
; %bb.501:
	global_load_b32 v0, v[4:5], off
	s_waitcnt vmcnt(0)
	v_cvt_f64_f32_e32 v[0:1], v0
.LBB119_502:
	s_mov_b32 s2, 0
.LBB119_503:
	s_delay_alu instid0(SALU_CYCLE_1)
	s_and_not1_b32 vcc_lo, exec_lo, s2
	s_cbranch_vccnz .LBB119_505
; %bb.504:
	global_load_b32 v0, v[4:5], off
	s_waitcnt vmcnt(0)
	v_cvt_f32_f16_e32 v0, v0
	s_delay_alu instid0(VALU_DEP_1)
	v_cvt_f64_f32_e32 v[0:1], v0
.LBB119_505:
	s_mov_b32 s2, 0
.LBB119_506:
	s_delay_alu instid0(SALU_CYCLE_1)
	s_and_not1_b32 vcc_lo, exec_lo, s2
	s_cbranch_vccnz .LBB119_517
; %bb.507:
	v_cmp_gt_i16_e32 vcc_lo, 6, v6
	s_cbranch_vccnz .LBB119_510
; %bb.508:
	v_cmp_lt_i16_e32 vcc_lo, 6, v6
	s_cbranch_vccz .LBB119_511
; %bb.509:
	global_load_b64 v[0:1], v[4:5], off
	s_mov_b32 s2, 0
	s_branch .LBB119_512
.LBB119_510:
	s_mov_b32 s2, -1
                                        ; implicit-def: $vgpr0_vgpr1
	s_branch .LBB119_515
.LBB119_511:
	s_mov_b32 s2, -1
                                        ; implicit-def: $vgpr0_vgpr1
.LBB119_512:
	s_delay_alu instid0(SALU_CYCLE_1)
	s_and_not1_b32 vcc_lo, exec_lo, s2
	s_cbranch_vccnz .LBB119_514
; %bb.513:
	global_load_b32 v0, v[4:5], off
	s_waitcnt vmcnt(0)
	v_cvt_f64_f32_e32 v[0:1], v0
.LBB119_514:
	s_mov_b32 s2, 0
.LBB119_515:
	s_delay_alu instid0(SALU_CYCLE_1)
	s_and_not1_b32 vcc_lo, exec_lo, s2
	s_cbranch_vccnz .LBB119_517
; %bb.516:
	global_load_u16 v0, v[4:5], off
	s_waitcnt vmcnt(0)
	v_cvt_f32_f16_e32 v0, v0
	s_delay_alu instid0(VALU_DEP_1)
	v_cvt_f64_f32_e32 v[0:1], v0
.LBB119_517:
	s_mov_b32 s2, 0
.LBB119_518:
	s_delay_alu instid0(SALU_CYCLE_1)
	s_and_not1_b32 vcc_lo, exec_lo, s2
	s_cbranch_vccnz .LBB119_538
; %bb.519:
	v_cmp_gt_i16_e32 vcc_lo, 2, v6
	s_cbranch_vccnz .LBB119_523
; %bb.520:
	v_cmp_gt_i16_e32 vcc_lo, 3, v6
	s_cbranch_vccnz .LBB119_524
; %bb.521:
	v_cmp_lt_i16_e32 vcc_lo, 3, v6
	s_cbranch_vccz .LBB119_525
; %bb.522:
	global_load_b64 v[0:1], v[4:5], off
	s_mov_b32 s2, 0
	s_waitcnt vmcnt(0)
	v_cvt_f64_i32_e32 v[7:8], v1
	v_cvt_f64_u32_e32 v[0:1], v0
	s_delay_alu instid0(VALU_DEP_2) | instskip(NEXT) | instid1(VALU_DEP_1)
	v_ldexp_f64 v[7:8], v[7:8], 32
	v_add_f64 v[0:1], v[7:8], v[0:1]
	s_branch .LBB119_526
.LBB119_523:
	s_mov_b32 s2, -1
                                        ; implicit-def: $vgpr0_vgpr1
	s_branch .LBB119_532
.LBB119_524:
	s_mov_b32 s2, -1
                                        ; implicit-def: $vgpr0_vgpr1
	s_branch .LBB119_529
.LBB119_525:
	s_mov_b32 s2, -1
                                        ; implicit-def: $vgpr0_vgpr1
.LBB119_526:
	s_delay_alu instid0(SALU_CYCLE_1)
	s_and_not1_b32 vcc_lo, exec_lo, s2
	s_cbranch_vccnz .LBB119_528
; %bb.527:
	global_load_b32 v0, v[4:5], off
	s_waitcnt vmcnt(0)
	v_cvt_f64_i32_e32 v[0:1], v0
.LBB119_528:
	s_mov_b32 s2, 0
.LBB119_529:
	s_delay_alu instid0(SALU_CYCLE_1)
	s_and_not1_b32 vcc_lo, exec_lo, s2
	s_cbranch_vccnz .LBB119_531
; %bb.530:
	global_load_i16 v0, v[4:5], off
	s_waitcnt vmcnt(0)
	v_cvt_f64_i32_e32 v[0:1], v0
.LBB119_531:
	s_mov_b32 s2, 0
.LBB119_532:
	s_delay_alu instid0(SALU_CYCLE_1)
	s_and_not1_b32 vcc_lo, exec_lo, s2
	s_cbranch_vccnz .LBB119_538
; %bb.533:
	v_cmp_lt_i16_e32 vcc_lo, 0, v6
	s_mov_b32 s2, 0
	s_cbranch_vccz .LBB119_535
; %bb.534:
	global_load_i8 v0, v[4:5], off
	s_waitcnt vmcnt(0)
	v_cvt_f64_i32_e32 v[0:1], v0
	s_branch .LBB119_536
.LBB119_535:
	s_mov_b32 s2, -1
                                        ; implicit-def: $vgpr0_vgpr1
.LBB119_536:
	s_delay_alu instid0(SALU_CYCLE_1)
	s_and_not1_b32 vcc_lo, exec_lo, s2
	s_cbranch_vccnz .LBB119_538
; %bb.537:
	global_load_u8 v0, v[4:5], off
	s_waitcnt vmcnt(0)
	v_cvt_f64_u32_e32 v[0:1], v0
.LBB119_538:
	s_branch .LBB119_406
.LBB119_539:
	s_mov_b32 s47, 0
	s_mov_b32 s2, s39
	;; [unrolled: 1-line block ×3, first 2 shown]
	s_branch .LBB119_705
.LBB119_540:
	s_or_saveexec_b32 s40, s40
                                        ; implicit-def: $sgpr44
	s_delay_alu instid0(SALU_CYCLE_1)
	s_xor_b32 exec_lo, exec_lo, s40
	s_cbranch_execz .LBB119_72
.LBB119_541:
	v_add_f32_e64 v3, 0x42800000, |v2|
	s_and_not1_b32 s39, s39, exec_lo
	s_mov_b32 s44, 0
	s_delay_alu instid0(VALU_DEP_1) | instskip(NEXT) | instid1(VALU_DEP_1)
	v_and_b32_e32 v3, 0xff, v3
	v_cmp_ne_u32_e32 vcc_lo, 0, v3
	s_and_b32 s45, vcc_lo, exec_lo
	s_delay_alu instid0(SALU_CYCLE_1)
	s_or_b32 s39, s39, s45
	s_or_b32 exec_lo, exec_lo, s40
	v_mov_b32_e32 v7, s44
	s_and_saveexec_b32 s40, s39
	s_cbranch_execnz .LBB119_73
	s_branch .LBB119_74
.LBB119_542:
	s_mov_b32 s3, -1
.LBB119_543:
                                        ; implicit-def: $sgpr44
.LBB119_544:
	s_and_b32 vcc_lo, exec_lo, s45
	s_cbranch_vccz .LBB119_546
; %bb.545:
	v_cmp_eq_u16_e64 s2, 44, v5
	s_or_b32 s44, s44, exec_lo
	s_or_b32 s3, s3, exec_lo
.LBB119_546:
	s_mov_b32 s45, 0
.LBB119_547:
	s_delay_alu instid0(SALU_CYCLE_1)
	s_and_b32 vcc_lo, exec_lo, s45
	s_cbranch_vccz .LBB119_551
; %bb.548:
	v_cmp_eq_u16_e32 vcc_lo, 29, v5
	s_cbranch_vccz .LBB119_550
; %bb.549:
	global_load_b64 v[6:7], v[3:4], off
	s_mov_b32 s2, -1
	s_mov_b32 s3, 0
	s_mov_b32 s45, 0
	s_waitcnt vmcnt(0)
	v_cmp_ne_u64_e32 vcc_lo, 0, v[6:7]
	s_and_b32 s44, vcc_lo, exec_lo
	s_branch .LBB119_552
.LBB119_550:
	s_mov_b32 s3, -1
                                        ; implicit-def: $sgpr44
.LBB119_551:
	s_mov_b32 s45, 0
.LBB119_552:
	s_delay_alu instid0(SALU_CYCLE_1)
	s_and_b32 vcc_lo, exec_lo, s45
	s_cbranch_vccz .LBB119_570
; %bb.553:
	v_cmp_gt_i16_e32 vcc_lo, 27, v5
	s_cbranch_vccnz .LBB119_556
; %bb.554:
	v_cmp_lt_i16_e32 vcc_lo, 27, v5
	s_cbranch_vccz .LBB119_557
; %bb.555:
	global_load_b32 v6, v[3:4], off
	s_mov_b32 s2, 0
	s_waitcnt vmcnt(0)
	v_cmp_ne_u32_e32 vcc_lo, 0, v6
	s_and_b32 s44, vcc_lo, exec_lo
	s_branch .LBB119_558
.LBB119_556:
	s_mov_b32 s2, -1
                                        ; implicit-def: $sgpr44
	s_branch .LBB119_561
.LBB119_557:
	s_mov_b32 s2, -1
                                        ; implicit-def: $sgpr44
.LBB119_558:
	s_delay_alu instid0(SALU_CYCLE_1)
	s_and_not1_b32 vcc_lo, exec_lo, s2
	s_cbranch_vccnz .LBB119_560
; %bb.559:
	global_load_u16 v6, v[3:4], off
	s_and_not1_b32 s2, s44, exec_lo
	s_waitcnt vmcnt(0)
	v_cmp_ne_u16_e32 vcc_lo, 0, v6
	s_and_b32 s44, vcc_lo, exec_lo
	s_delay_alu instid0(SALU_CYCLE_1)
	s_or_b32 s44, s2, s44
.LBB119_560:
	s_mov_b32 s2, 0
.LBB119_561:
	s_delay_alu instid0(SALU_CYCLE_1)
	s_and_not1_b32 vcc_lo, exec_lo, s2
	s_cbranch_vccnz .LBB119_569
; %bb.562:
	global_load_u8 v6, v[3:4], off
	s_mov_b32 s2, 0
	s_mov_b32 s45, exec_lo
                                        ; implicit-def: $sgpr44
	s_waitcnt vmcnt(0)
	v_cmpx_lt_i16_e32 0x7f, v6
	s_xor_b32 s45, exec_lo, s45
	s_cbranch_execz .LBB119_583
; %bb.563:
	s_mov_b32 s2, -1
	s_mov_b32 s47, exec_lo
                                        ; implicit-def: $sgpr44
	v_cmpx_eq_u16_e32 0x80, v6
; %bb.564:
	s_mov_b32 s44, -1
	s_xor_b32 s2, exec_lo, -1
; %bb.565:
	s_or_b32 exec_lo, exec_lo, s47
	s_delay_alu instid0(SALU_CYCLE_1)
	s_and_b32 s2, s2, exec_lo
	s_and_not1_saveexec_b32 s45, s45
	s_cbranch_execnz .LBB119_584
.LBB119_566:
	s_or_b32 exec_lo, exec_lo, s45
	s_and_saveexec_b32 s45, s2
	s_cbranch_execz .LBB119_568
.LBB119_567:
	v_and_b32_e32 v6, 0xffff, v6
	s_and_not1_b32 s2, s44, exec_lo
	s_delay_alu instid0(VALU_DEP_1) | instskip(NEXT) | instid1(VALU_DEP_1)
	v_and_b32_e32 v7, 7, v6
	v_clz_i32_u32_e32 v8, v7
	s_delay_alu instid0(VALU_DEP_1) | instskip(NEXT) | instid1(VALU_DEP_1)
	v_min_u32_e32 v8, 32, v8
	v_subrev_nc_u32_e32 v10, 28, v8
	v_sub_nc_u32_e32 v8, 29, v8
	s_delay_alu instid0(VALU_DEP_2) | instskip(SKIP_1) | instid1(VALU_DEP_2)
	v_lshlrev_b32_e32 v10, v10, v6
	v_bfe_u32 v6, v6, 3, 4
	v_and_b32_e32 v10, 7, v10
	s_delay_alu instid0(VALU_DEP_2) | instskip(NEXT) | instid1(VALU_DEP_2)
	v_cmp_eq_u32_e32 vcc_lo, 0, v6
	v_dual_cndmask_b32 v6, v6, v8 :: v_dual_cndmask_b32 v7, v7, v10
	s_delay_alu instid0(VALU_DEP_1) | instskip(NEXT) | instid1(VALU_DEP_2)
	v_lshl_add_u32 v6, v6, 23, 0x3b800000
	v_lshlrev_b32_e32 v7, 20, v7
	s_delay_alu instid0(VALU_DEP_1) | instskip(NEXT) | instid1(VALU_DEP_1)
	v_and_or_b32 v6, 0x7f800000, v6, v7
	v_cmp_ne_u32_e32 vcc_lo, 0, v6
	s_and_b32 s44, vcc_lo, exec_lo
	s_delay_alu instid0(SALU_CYCLE_1)
	s_or_b32 s44, s2, s44
.LBB119_568:
	s_or_b32 exec_lo, exec_lo, s45
.LBB119_569:
	s_mov_b32 s2, -1
.LBB119_570:
	s_mov_b32 s45, 0
.LBB119_571:
	s_delay_alu instid0(SALU_CYCLE_1)
	s_and_b32 vcc_lo, exec_lo, s45
	s_cbranch_vccz .LBB119_606
; %bb.572:
	v_cmp_lt_i16_e32 vcc_lo, 22, v5
	s_cbranch_vccz .LBB119_582
; %bb.573:
	v_cmp_gt_i16_e32 vcc_lo, 24, v5
	s_cbranch_vccnz .LBB119_585
; %bb.574:
	v_cmp_lt_i16_e32 vcc_lo, 24, v5
	s_cbranch_vccz .LBB119_586
; %bb.575:
	global_load_u8 v6, v[3:4], off
	s_mov_b32 s2, 0
	s_mov_b32 s45, exec_lo
                                        ; implicit-def: $sgpr44
	s_waitcnt vmcnt(0)
	v_cmpx_lt_i16_e32 0x7f, v6
	s_xor_b32 s45, exec_lo, s45
	s_cbranch_execz .LBB119_598
; %bb.576:
	s_mov_b32 s2, -1
	s_mov_b32 s47, exec_lo
                                        ; implicit-def: $sgpr44
	v_cmpx_eq_u16_e32 0x80, v6
; %bb.577:
	s_mov_b32 s44, -1
	s_xor_b32 s2, exec_lo, -1
; %bb.578:
	s_or_b32 exec_lo, exec_lo, s47
	s_delay_alu instid0(SALU_CYCLE_1)
	s_and_b32 s2, s2, exec_lo
	s_and_not1_saveexec_b32 s45, s45
	s_cbranch_execnz .LBB119_599
.LBB119_579:
	s_or_b32 exec_lo, exec_lo, s45
	s_and_saveexec_b32 s45, s2
	s_cbranch_execz .LBB119_581
.LBB119_580:
	v_and_b32_e32 v6, 0xffff, v6
	s_and_not1_b32 s2, s44, exec_lo
	s_delay_alu instid0(VALU_DEP_1) | instskip(NEXT) | instid1(VALU_DEP_1)
	v_and_b32_e32 v7, 3, v6
	v_clz_i32_u32_e32 v8, v7
	s_delay_alu instid0(VALU_DEP_1) | instskip(NEXT) | instid1(VALU_DEP_1)
	v_min_u32_e32 v8, 32, v8
	v_subrev_nc_u32_e32 v10, 29, v8
	v_sub_nc_u32_e32 v8, 30, v8
	s_delay_alu instid0(VALU_DEP_2) | instskip(SKIP_1) | instid1(VALU_DEP_2)
	v_lshlrev_b32_e32 v10, v10, v6
	v_bfe_u32 v6, v6, 2, 5
	v_and_b32_e32 v10, 3, v10
	s_delay_alu instid0(VALU_DEP_2) | instskip(NEXT) | instid1(VALU_DEP_2)
	v_cmp_eq_u32_e32 vcc_lo, 0, v6
	v_dual_cndmask_b32 v6, v6, v8 :: v_dual_cndmask_b32 v7, v7, v10
	s_delay_alu instid0(VALU_DEP_1) | instskip(NEXT) | instid1(VALU_DEP_2)
	v_lshl_add_u32 v6, v6, 23, 0x37800000
	v_lshlrev_b32_e32 v7, 21, v7
	s_delay_alu instid0(VALU_DEP_1) | instskip(NEXT) | instid1(VALU_DEP_1)
	v_and_or_b32 v6, 0x7f800000, v6, v7
	v_cmp_ne_u32_e32 vcc_lo, 0, v6
	s_and_b32 s44, vcc_lo, exec_lo
	s_delay_alu instid0(SALU_CYCLE_1)
	s_or_b32 s44, s2, s44
.LBB119_581:
	s_or_b32 exec_lo, exec_lo, s45
	s_mov_b32 s2, 0
	s_branch .LBB119_587
.LBB119_582:
	s_mov_b32 s45, -1
                                        ; implicit-def: $sgpr44
	s_branch .LBB119_593
.LBB119_583:
	s_and_not1_saveexec_b32 s45, s45
	s_cbranch_execz .LBB119_566
.LBB119_584:
	v_cmp_ne_u16_e32 vcc_lo, 0, v6
	s_and_not1_b32 s2, s2, exec_lo
	s_and_not1_b32 s44, s44, exec_lo
	s_and_b32 s47, vcc_lo, exec_lo
	s_delay_alu instid0(SALU_CYCLE_1)
	s_or_b32 s2, s2, s47
	s_or_b32 exec_lo, exec_lo, s45
	s_and_saveexec_b32 s45, s2
	s_cbranch_execnz .LBB119_567
	s_branch .LBB119_568
.LBB119_585:
	s_mov_b32 s2, -1
                                        ; implicit-def: $sgpr44
	s_branch .LBB119_590
.LBB119_586:
	s_mov_b32 s2, -1
                                        ; implicit-def: $sgpr44
.LBB119_587:
	s_delay_alu instid0(SALU_CYCLE_1)
	s_and_b32 vcc_lo, exec_lo, s2
	s_cbranch_vccz .LBB119_589
; %bb.588:
	global_load_u8 v6, v[3:4], off
	s_and_not1_b32 s44, s44, exec_lo
	s_waitcnt vmcnt(0)
	v_lshlrev_b32_e32 v6, 24, v6
	s_delay_alu instid0(VALU_DEP_1) | instskip(NEXT) | instid1(VALU_DEP_1)
	v_and_b32_e32 v6, 0x7f000000, v6
	v_clz_i32_u32_e32 v7, v6
	v_add_nc_u32_e32 v10, 0x1000000, v6
	v_cmp_ne_u32_e32 vcc_lo, 0, v6
	s_delay_alu instid0(VALU_DEP_3) | instskip(NEXT) | instid1(VALU_DEP_3)
	v_min_u32_e32 v7, 32, v7
	v_ashrrev_i32_e32 v10, 8, v10
	s_delay_alu instid0(VALU_DEP_2) | instskip(NEXT) | instid1(VALU_DEP_1)
	v_sub_nc_u32_e64 v7, v7, 4 clamp
	v_lshlrev_b32_e32 v8, v7, v6
	v_lshlrev_b32_e32 v7, 23, v7
	s_delay_alu instid0(VALU_DEP_2) | instskip(NEXT) | instid1(VALU_DEP_1)
	v_lshrrev_b32_e32 v8, 4, v8
	v_sub_nc_u32_e32 v7, v8, v7
	v_and_b32_e32 v8, 0x7f800000, v10
	s_delay_alu instid0(VALU_DEP_2) | instskip(NEXT) | instid1(VALU_DEP_1)
	v_add_nc_u32_e32 v7, 0x3c000000, v7
	v_and_or_b32 v7, 0x7ff00000, v7, v8
	s_delay_alu instid0(VALU_DEP_1) | instskip(NEXT) | instid1(VALU_DEP_1)
	v_cmp_ne_u32_e64 s2, 0, v7
	s_and_b32 s2, vcc_lo, s2
	s_delay_alu instid0(SALU_CYCLE_1) | instskip(NEXT) | instid1(SALU_CYCLE_1)
	s_and_b32 s2, s2, exec_lo
	s_or_b32 s44, s44, s2
.LBB119_589:
	s_mov_b32 s2, 0
.LBB119_590:
	s_delay_alu instid0(SALU_CYCLE_1)
	s_and_not1_b32 vcc_lo, exec_lo, s2
	s_cbranch_vccnz .LBB119_592
; %bb.591:
	global_load_u8 v6, v[3:4], off
	s_and_not1_b32 s2, s44, exec_lo
	s_waitcnt vmcnt(0)
	v_lshlrev_b32_e32 v7, 25, v6
	v_lshlrev_b32_e32 v6, 8, v6
	s_delay_alu instid0(VALU_DEP_2) | instskip(NEXT) | instid1(VALU_DEP_2)
	v_lshrrev_b32_e32 v8, 4, v7
	v_and_or_b32 v6, 0x7f00, v6, 0.5
	s_delay_alu instid0(VALU_DEP_2) | instskip(NEXT) | instid1(VALU_DEP_2)
	v_or_b32_e32 v8, 0x70000000, v8
	v_add_f32_e32 v6, -0.5, v6
	s_delay_alu instid0(VALU_DEP_2) | instskip(SKIP_1) | instid1(VALU_DEP_2)
	v_mul_f32_e32 v8, 0x7800000, v8
	v_cmp_gt_u32_e32 vcc_lo, 0x8000000, v7
	v_cndmask_b32_e32 v6, v8, v6, vcc_lo
	s_delay_alu instid0(VALU_DEP_1) | instskip(SKIP_1) | instid1(SALU_CYCLE_1)
	v_cmp_neq_f32_e32 vcc_lo, 0, v6
	s_and_b32 s44, vcc_lo, exec_lo
	s_or_b32 s44, s2, s44
.LBB119_592:
	s_mov_b32 s45, 0
	s_mov_b32 s2, -1
.LBB119_593:
	s_and_not1_b32 vcc_lo, exec_lo, s45
	s_cbranch_vccnz .LBB119_606
; %bb.594:
	v_cmp_lt_i16_e32 vcc_lo, 14, v5
	s_cbranch_vccz .LBB119_597
; %bb.595:
	v_cmp_eq_u16_e32 vcc_lo, 15, v5
	s_cbranch_vccz .LBB119_600
; %bb.596:
	global_load_u16 v6, v[3:4], off
	s_mov_b32 s3, 0
	s_mov_b32 s2, -1
	s_waitcnt vmcnt(0)
	v_and_b32_e32 v6, 0x7fff, v6
	s_delay_alu instid0(VALU_DEP_1)
	v_cmp_ne_u16_e32 vcc_lo, 0, v6
	s_and_b32 s44, vcc_lo, exec_lo
	s_branch .LBB119_601
.LBB119_597:
	s_mov_b32 s45, -1
                                        ; implicit-def: $sgpr44
	s_branch .LBB119_602
.LBB119_598:
	s_and_not1_saveexec_b32 s45, s45
	s_cbranch_execz .LBB119_579
.LBB119_599:
	v_cmp_ne_u16_e32 vcc_lo, 0, v6
	s_and_not1_b32 s2, s2, exec_lo
	s_and_not1_b32 s44, s44, exec_lo
	s_and_b32 s47, vcc_lo, exec_lo
	s_delay_alu instid0(SALU_CYCLE_1)
	s_or_b32 s2, s2, s47
	s_or_b32 exec_lo, exec_lo, s45
	s_and_saveexec_b32 s45, s2
	s_cbranch_execnz .LBB119_580
	s_branch .LBB119_581
.LBB119_600:
	s_mov_b32 s3, -1
                                        ; implicit-def: $sgpr44
.LBB119_601:
	s_mov_b32 s45, 0
.LBB119_602:
	s_delay_alu instid0(SALU_CYCLE_1)
	s_and_b32 vcc_lo, exec_lo, s45
	s_cbranch_vccz .LBB119_606
; %bb.603:
	v_cmp_eq_u16_e32 vcc_lo, 11, v5
	s_cbranch_vccz .LBB119_605
; %bb.604:
	global_load_u8 v6, v[3:4], off
	s_mov_b32 s3, 0
	s_mov_b32 s2, -1
	s_waitcnt vmcnt(0)
	v_cmp_ne_u16_e32 vcc_lo, 0, v6
	s_and_b32 s44, vcc_lo, exec_lo
	s_branch .LBB119_606
.LBB119_605:
	s_mov_b32 s3, -1
                                        ; implicit-def: $sgpr44
.LBB119_606:
	s_mov_b32 s45, 0
.LBB119_607:
	s_delay_alu instid0(SALU_CYCLE_1)
	s_and_b32 vcc_lo, exec_lo, s45
	s_cbranch_vccz .LBB119_656
; %bb.608:
	v_cmp_gt_i16_e32 vcc_lo, 5, v5
	s_cbranch_vccnz .LBB119_613
; %bb.609:
	v_cmp_gt_i16_e32 vcc_lo, 8, v5
	s_cbranch_vccnz .LBB119_614
	;; [unrolled: 3-line block ×3, first 2 shown]
; %bb.611:
	v_cmp_lt_i16_e32 vcc_lo, 9, v5
	s_cbranch_vccz .LBB119_616
; %bb.612:
	global_load_b128 v[10:13], v[3:4], off
	s_waitcnt vmcnt(0)
	v_cmp_neq_f64_e32 vcc_lo, 0, v[10:11]
	v_cmp_neq_f64_e64 s2, 0, v[12:13]
	s_delay_alu instid0(VALU_DEP_1)
	s_or_b32 s44, vcc_lo, s2
	s_mov_b32 s2, 0
	s_and_b32 s44, s44, exec_lo
	s_branch .LBB119_617
.LBB119_613:
	s_mov_b32 s2, -1
                                        ; implicit-def: $sgpr44
	s_branch .LBB119_635
.LBB119_614:
	s_mov_b32 s2, -1
                                        ; implicit-def: $sgpr44
	s_branch .LBB119_623
.LBB119_615:
	s_mov_b32 s2, -1
                                        ; implicit-def: $sgpr44
	s_branch .LBB119_620
.LBB119_616:
	s_mov_b32 s2, -1
                                        ; implicit-def: $sgpr44
.LBB119_617:
	s_delay_alu instid0(SALU_CYCLE_1)
	s_and_not1_b32 vcc_lo, exec_lo, s2
	s_cbranch_vccnz .LBB119_619
; %bb.618:
	global_load_b64 v[6:7], v[3:4], off
	s_and_not1_b32 s2, s44, exec_lo
	s_waitcnt vmcnt(0)
	v_or_b32_e32 v6, v6, v7
	s_delay_alu instid0(VALU_DEP_1) | instskip(NEXT) | instid1(VALU_DEP_1)
	v_and_b32_e32 v6, 0x7fffffff, v6
	v_cmp_ne_u32_e32 vcc_lo, 0, v6
	s_and_b32 s44, vcc_lo, exec_lo
	s_delay_alu instid0(SALU_CYCLE_1)
	s_or_b32 s44, s2, s44
.LBB119_619:
	s_mov_b32 s2, 0
.LBB119_620:
	s_delay_alu instid0(SALU_CYCLE_1)
	s_and_not1_b32 vcc_lo, exec_lo, s2
	s_cbranch_vccnz .LBB119_622
; %bb.621:
	global_load_b32 v6, v[3:4], off
	s_and_not1_b32 s2, s44, exec_lo
	s_waitcnt vmcnt(0)
	v_and_b32_e32 v6, 0x7fff7fff, v6
	s_delay_alu instid0(VALU_DEP_1) | instskip(SKIP_1) | instid1(SALU_CYCLE_1)
	v_cmp_ne_u32_e32 vcc_lo, 0, v6
	s_and_b32 s44, vcc_lo, exec_lo
	s_or_b32 s44, s2, s44
.LBB119_622:
	s_mov_b32 s2, 0
.LBB119_623:
	s_delay_alu instid0(SALU_CYCLE_1)
	s_and_not1_b32 vcc_lo, exec_lo, s2
	s_cbranch_vccnz .LBB119_634
; %bb.624:
	v_cmp_gt_i16_e32 vcc_lo, 6, v5
	s_cbranch_vccnz .LBB119_627
; %bb.625:
	v_cmp_lt_i16_e32 vcc_lo, 6, v5
	s_cbranch_vccz .LBB119_628
; %bb.626:
	global_load_b64 v[6:7], v[3:4], off
	s_mov_b32 s2, 0
	s_waitcnt vmcnt(0)
	v_cmp_neq_f64_e32 vcc_lo, 0, v[6:7]
	s_and_b32 s44, vcc_lo, exec_lo
	s_branch .LBB119_629
.LBB119_627:
	s_mov_b32 s2, -1
                                        ; implicit-def: $sgpr44
	s_branch .LBB119_632
.LBB119_628:
	s_mov_b32 s2, -1
                                        ; implicit-def: $sgpr44
.LBB119_629:
	s_delay_alu instid0(SALU_CYCLE_1)
	s_and_not1_b32 vcc_lo, exec_lo, s2
	s_cbranch_vccnz .LBB119_631
; %bb.630:
	global_load_b32 v6, v[3:4], off
	s_and_not1_b32 s2, s44, exec_lo
	s_waitcnt vmcnt(0)
	v_cmp_neq_f32_e32 vcc_lo, 0, v6
	s_and_b32 s44, vcc_lo, exec_lo
	s_delay_alu instid0(SALU_CYCLE_1)
	s_or_b32 s44, s2, s44
.LBB119_631:
	s_mov_b32 s2, 0
.LBB119_632:
	s_delay_alu instid0(SALU_CYCLE_1)
	s_and_not1_b32 vcc_lo, exec_lo, s2
	s_cbranch_vccnz .LBB119_634
; %bb.633:
	global_load_u16 v6, v[3:4], off
	s_and_not1_b32 s2, s44, exec_lo
	s_waitcnt vmcnt(0)
	v_and_b32_e32 v6, 0x7fff, v6
	s_delay_alu instid0(VALU_DEP_1) | instskip(SKIP_1) | instid1(SALU_CYCLE_1)
	v_cmp_ne_u16_e32 vcc_lo, 0, v6
	s_and_b32 s44, vcc_lo, exec_lo
	s_or_b32 s44, s2, s44
.LBB119_634:
	s_mov_b32 s2, 0
.LBB119_635:
	s_delay_alu instid0(SALU_CYCLE_1)
	s_and_not1_b32 vcc_lo, exec_lo, s2
	s_cbranch_vccnz .LBB119_655
; %bb.636:
	v_cmp_gt_i16_e32 vcc_lo, 2, v5
	s_cbranch_vccnz .LBB119_640
; %bb.637:
	v_cmp_gt_i16_e32 vcc_lo, 3, v5
	s_cbranch_vccnz .LBB119_641
; %bb.638:
	v_cmp_lt_i16_e32 vcc_lo, 3, v5
	s_cbranch_vccz .LBB119_642
; %bb.639:
	global_load_b64 v[6:7], v[3:4], off
	s_mov_b32 s2, 0
	s_waitcnt vmcnt(0)
	v_cmp_ne_u64_e32 vcc_lo, 0, v[6:7]
	s_and_b32 s44, vcc_lo, exec_lo
	s_branch .LBB119_643
.LBB119_640:
	s_mov_b32 s2, -1
                                        ; implicit-def: $sgpr44
	s_branch .LBB119_649
.LBB119_641:
	s_mov_b32 s2, -1
                                        ; implicit-def: $sgpr44
	s_branch .LBB119_646
.LBB119_642:
	s_mov_b32 s2, -1
                                        ; implicit-def: $sgpr44
.LBB119_643:
	s_delay_alu instid0(SALU_CYCLE_1)
	s_and_not1_b32 vcc_lo, exec_lo, s2
	s_cbranch_vccnz .LBB119_645
; %bb.644:
	global_load_b32 v6, v[3:4], off
	s_and_not1_b32 s2, s44, exec_lo
	s_waitcnt vmcnt(0)
	v_cmp_ne_u32_e32 vcc_lo, 0, v6
	s_and_b32 s44, vcc_lo, exec_lo
	s_delay_alu instid0(SALU_CYCLE_1)
	s_or_b32 s44, s2, s44
.LBB119_645:
	s_mov_b32 s2, 0
.LBB119_646:
	s_delay_alu instid0(SALU_CYCLE_1)
	s_and_not1_b32 vcc_lo, exec_lo, s2
	s_cbranch_vccnz .LBB119_648
; %bb.647:
	global_load_u16 v6, v[3:4], off
	s_and_not1_b32 s2, s44, exec_lo
	s_waitcnt vmcnt(0)
	v_cmp_ne_u16_e32 vcc_lo, 0, v6
	s_and_b32 s44, vcc_lo, exec_lo
	s_delay_alu instid0(SALU_CYCLE_1)
	s_or_b32 s44, s2, s44
.LBB119_648:
	s_mov_b32 s2, 0
.LBB119_649:
	s_delay_alu instid0(SALU_CYCLE_1)
	s_and_not1_b32 vcc_lo, exec_lo, s2
	s_cbranch_vccnz .LBB119_655
; %bb.650:
	v_cmp_lt_i16_e32 vcc_lo, 0, v5
	s_mov_b32 s2, 0
	s_cbranch_vccz .LBB119_652
; %bb.651:
	global_load_u8 v5, v[3:4], off
	s_waitcnt vmcnt(0)
	v_cmp_ne_u16_e32 vcc_lo, 0, v5
	s_and_b32 s44, vcc_lo, exec_lo
	s_branch .LBB119_653
.LBB119_652:
	s_mov_b32 s2, -1
                                        ; implicit-def: $sgpr44
.LBB119_653:
	s_delay_alu instid0(SALU_CYCLE_1)
	s_and_not1_b32 vcc_lo, exec_lo, s2
	s_cbranch_vccnz .LBB119_655
; %bb.654:
	global_load_u8 v3, v[3:4], off
	s_and_not1_b32 s2, s44, exec_lo
	s_waitcnt vmcnt(0)
	v_cmp_ne_u16_e32 vcc_lo, 0, v3
	s_and_b32 s44, vcc_lo, exec_lo
	s_delay_alu instid0(SALU_CYCLE_1)
	s_or_b32 s44, s2, s44
.LBB119_655:
	s_mov_b32 s2, -1
.LBB119_656:
	s_delay_alu instid0(SALU_CYCLE_1)
	s_and_not1_b32 vcc_lo, exec_lo, s2
	s_cbranch_vccnz .LBB119_664
; %bb.657:
	v_cndmask_b32_e64 v3, 0, 1, s44
	v_and_b32_e64 v6, 0xff, s31
	s_mov_b32 s3, 0
	s_mov_b32 s44, -1
	s_delay_alu instid0(VALU_DEP_2) | instskip(NEXT) | instid1(VALU_DEP_2)
	v_cvt_f64_u32_e32 v[3:4], v3
	v_cmp_gt_i16_e32 vcc_lo, 11, v6
	s_and_b32 vcc_lo, exec_lo, vcc_lo
	s_waitcnt vmcnt(0)
	s_delay_alu instid0(VALU_DEP_2) | instskip(SKIP_1) | instid1(VALU_DEP_1)
	v_mul_f64 v[0:1], v[0:1], v[3:4]
	v_add_co_u32 v4, s2, s4, v2
	v_add_co_ci_u32_e64 v5, null, s5, 0, s2
	s_mov_b32 s2, s39
	s_delay_alu instid0(VALU_DEP_3)
	v_mul_f64 v[0:1], s[10:11], v[0:1]
	s_cbranch_vccnz .LBB119_665
; %bb.658:
	v_cmp_lt_i16_e32 vcc_lo, 25, v6
	s_cbranch_vccz .LBB119_728
; %bb.659:
	v_cmp_lt_i16_e32 vcc_lo, 28, v6
	s_cbranch_vccz .LBB119_730
	;; [unrolled: 3-line block ×4, first 2 shown]
; %bb.662:
	v_cmp_eq_u16_e32 vcc_lo, 46, v6
	s_mov_b32 s44, 0
	s_mov_b32 s2, -1
	s_cbranch_vccz .LBB119_735
; %bb.663:
	v_cvt_f32_f64_e32 v2, v[0:1]
	s_mov_b32 s3, -1
	s_mov_b32 s2, 0
	s_delay_alu instid0(VALU_DEP_1) | instskip(SKIP_1) | instid1(VALU_DEP_2)
	v_bfe_u32 v3, v2, 16, 1
	v_cmp_o_f32_e32 vcc_lo, v2, v2
	v_add3_u32 v3, v2, v3, 0x7fff
	s_delay_alu instid0(VALU_DEP_1) | instskip(NEXT) | instid1(VALU_DEP_1)
	v_lshrrev_b32_e32 v3, 16, v3
	v_cndmask_b32_e32 v2, 0x7fc0, v3, vcc_lo
	global_store_b32 v[4:5], v2, off
	s_branch .LBB119_735
.LBB119_664:
	s_mov_b32 s47, 0
	s_mov_b32 s2, s39
	s_branch .LBB119_705
.LBB119_665:
	s_and_b32 vcc_lo, exec_lo, s44
	s_cbranch_vccz .LBB119_804
; %bb.666:
	v_cmp_gt_i16_e32 vcc_lo, 5, v6
	s_mov_b32 s3, -1
	s_cbranch_vccnz .LBB119_687
; %bb.667:
	v_cmp_gt_i16_e32 vcc_lo, 8, v6
	s_cbranch_vccnz .LBB119_677
; %bb.668:
	v_cmp_gt_i16_e32 vcc_lo, 9, v6
	s_cbranch_vccnz .LBB119_674
; %bb.669:
	v_cmp_lt_i16_e32 vcc_lo, 9, v6
	s_cbranch_vccz .LBB119_671
; %bb.670:
	v_mov_b32_e32 v2, 0
	s_mov_b32 s3, 0
	s_delay_alu instid0(VALU_DEP_1)
	v_mov_b32_e32 v3, v2
	global_store_b128 v[4:5], v[0:3], off
.LBB119_671:
	s_and_not1_b32 vcc_lo, exec_lo, s3
	s_cbranch_vccnz .LBB119_673
; %bb.672:
	v_cvt_f32_f64_e32 v2, v[0:1]
	v_mov_b32_e32 v3, 0
	global_store_b64 v[4:5], v[2:3], off
.LBB119_673:
	s_mov_b32 s3, 0
.LBB119_674:
	s_delay_alu instid0(SALU_CYCLE_1)
	s_and_not1_b32 vcc_lo, exec_lo, s3
	s_cbranch_vccnz .LBB119_676
; %bb.675:
	s_delay_alu instid0(VALU_DEP_4) | instskip(NEXT) | instid1(VALU_DEP_1)
	v_cvt_f32_f64_e32 v2, v[0:1]
	v_cvt_f16_f32_e32 v2, v2
	s_delay_alu instid0(VALU_DEP_1)
	v_and_b32_e32 v2, 0xffff, v2
	global_store_b32 v[4:5], v2, off
.LBB119_676:
	s_mov_b32 s3, 0
.LBB119_677:
	s_delay_alu instid0(SALU_CYCLE_1)
	s_and_not1_b32 vcc_lo, exec_lo, s3
	s_cbranch_vccnz .LBB119_686
; %bb.678:
	v_cmp_gt_i16_e32 vcc_lo, 6, v6
	s_mov_b32 s3, -1
	s_cbranch_vccnz .LBB119_684
; %bb.679:
	v_cmp_lt_i16_e32 vcc_lo, 6, v6
	s_cbranch_vccz .LBB119_681
; %bb.680:
	s_mov_b32 s3, 0
	global_store_b64 v[4:5], v[0:1], off
.LBB119_681:
	s_and_not1_b32 vcc_lo, exec_lo, s3
	s_cbranch_vccnz .LBB119_683
; %bb.682:
	v_cvt_f32_f64_e32 v2, v[0:1]
	global_store_b32 v[4:5], v2, off
.LBB119_683:
	s_mov_b32 s3, 0
.LBB119_684:
	s_delay_alu instid0(SALU_CYCLE_1)
	s_and_not1_b32 vcc_lo, exec_lo, s3
	s_cbranch_vccnz .LBB119_686
; %bb.685:
	s_delay_alu instid0(VALU_DEP_4) | instskip(NEXT) | instid1(VALU_DEP_1)
	v_cvt_f32_f64_e32 v2, v[0:1]
	v_cvt_f16_f32_e32 v2, v2
	global_store_b16 v[4:5], v2, off
.LBB119_686:
	s_mov_b32 s3, 0
.LBB119_687:
	s_delay_alu instid0(SALU_CYCLE_1)
	s_and_not1_b32 vcc_lo, exec_lo, s3
	s_cbranch_vccnz .LBB119_703
; %bb.688:
	v_cmp_gt_i16_e32 vcc_lo, 2, v6
	s_mov_b32 s3, -1
	s_cbranch_vccnz .LBB119_698
; %bb.689:
	v_cmp_gt_i16_e32 vcc_lo, 3, v6
	s_cbranch_vccnz .LBB119_695
; %bb.690:
	v_cmp_lt_i16_e32 vcc_lo, 3, v6
	s_cbranch_vccz .LBB119_692
; %bb.691:
	v_trunc_f64_e32 v[2:3], v[0:1]
	s_mov_b32 s3, 0
	s_delay_alu instid0(VALU_DEP_1) | instskip(NEXT) | instid1(VALU_DEP_1)
	v_ldexp_f64 v[7:8], v[2:3], 0xffffffe0
	v_floor_f64_e32 v[7:8], v[7:8]
	s_delay_alu instid0(VALU_DEP_1) | instskip(SKIP_1) | instid1(VALU_DEP_2)
	v_fma_f64 v[2:3], 0xc1f00000, v[7:8], v[2:3]
	v_cvt_i32_f64_e32 v8, v[7:8]
	v_cvt_u32_f64_e32 v7, v[2:3]
	global_store_b64 v[4:5], v[7:8], off
.LBB119_692:
	s_and_not1_b32 vcc_lo, exec_lo, s3
	s_cbranch_vccnz .LBB119_694
; %bb.693:
	v_cvt_i32_f64_e32 v2, v[0:1]
	global_store_b32 v[4:5], v2, off
.LBB119_694:
	s_mov_b32 s3, 0
.LBB119_695:
	s_delay_alu instid0(SALU_CYCLE_1)
	s_and_not1_b32 vcc_lo, exec_lo, s3
	s_cbranch_vccnz .LBB119_697
; %bb.696:
	s_delay_alu instid0(VALU_DEP_4)
	v_cvt_i32_f64_e32 v2, v[0:1]
	global_store_b16 v[4:5], v2, off
.LBB119_697:
	s_mov_b32 s3, 0
.LBB119_698:
	s_delay_alu instid0(SALU_CYCLE_1)
	s_and_not1_b32 vcc_lo, exec_lo, s3
	s_cbranch_vccnz .LBB119_703
; %bb.699:
	v_cmp_lt_i16_e32 vcc_lo, 0, v6
	s_mov_b32 s3, -1
	s_cbranch_vccz .LBB119_701
; %bb.700:
	s_delay_alu instid0(VALU_DEP_4)
	v_cvt_i32_f64_e32 v2, v[0:1]
	s_mov_b32 s3, 0
	global_store_b8 v[4:5], v2, off
.LBB119_701:
	s_and_not1_b32 vcc_lo, exec_lo, s3
	s_cbranch_vccnz .LBB119_703
; %bb.702:
	s_delay_alu instid0(VALU_DEP_4) | instskip(NEXT) | instid1(VALU_DEP_1)
	v_trunc_f64_e32 v[0:1], v[0:1]
	v_ldexp_f64 v[2:3], v[0:1], 0xffffffe0
	s_delay_alu instid0(VALU_DEP_1) | instskip(NEXT) | instid1(VALU_DEP_1)
	v_floor_f64_e32 v[2:3], v[2:3]
	v_fma_f64 v[0:1], 0xc1f00000, v[2:3], v[0:1]
	s_delay_alu instid0(VALU_DEP_1)
	v_cvt_u32_f64_e32 v0, v[0:1]
	global_store_b8 v[4:5], v0, off
.LBB119_703:
	s_mov_b32 s3, 0
	s_branch .LBB119_805
.LBB119_704:
	s_mov_b32 s47, 0
.LBB119_705:
                                        ; implicit-def: $vgpr9
.LBB119_706:
	s_and_not1_b32 s44, s39, exec_lo
	s_and_b32 s2, s2, exec_lo
	s_and_b32 s3, s3, exec_lo
	s_or_b32 s44, s44, s2
	s_and_not1_b32 s2, s40, exec_lo
	s_and_not1_b32 s48, s41, exec_lo
	s_and_b32 s43, s43, exec_lo
	s_or_b32 s45, s2, s3
	s_or_b32 s43, s48, s43
	s_or_not1_b32 s48, s47, exec_lo
.LBB119_707:
	s_or_b32 exec_lo, exec_lo, s46
	s_mov_b32 s3, 0
	s_mov_b32 s47, 0
	;; [unrolled: 1-line block ×3, first 2 shown]
                                        ; implicit-def: $vgpr7
                                        ; implicit-def: $vgpr5_vgpr6
                                        ; implicit-def: $vgpr2
                                        ; implicit-def: $vgpr0
                                        ; implicit-def: $vgpr3_vgpr4
	s_and_saveexec_b32 s46, s48
	s_cbranch_execz .LBB119_1274
; %bb.708:
	s_mov_b32 s52, -1
	s_mov_b32 s48, s43
	s_mov_b32 s50, s45
	;; [unrolled: 1-line block ×3, first 2 shown]
	s_mov_b32 s47, exec_lo
	v_cmpx_gt_i32_e64 s37, v9
	s_cbranch_execz .LBB119_1105
; %bb.709:
	s_and_not1_b32 vcc_lo, exec_lo, s29
	s_cbranch_vccnz .LBB119_715
; %bb.710:
	v_dual_mov_b32 v2, 0 :: v_dual_mov_b32 v3, 0
	s_waitcnt vmcnt(0)
	v_mov_b32_e32 v0, 0
	s_and_not1_b32 vcc_lo, exec_lo, s38
	s_mov_b32 s48, 0
	s_cbranch_vccnz .LBB119_716
; %bb.711:
	s_add_i32 s2, s36, 1
	v_dual_mov_b32 v3, 0 :: v_dual_mov_b32 v0, 0
	v_dual_mov_b32 v2, 0 :: v_dual_mov_b32 v1, v9
	s_and_b32 s49, s2, 30
	s_add_u32 s2, s20, 0xffffffec
	s_addc_u32 s3, s21, -1
	s_set_inst_prefetch_distance 0x1
	.p2align	6
.LBB119_712:                            ; =>This Inner Loop Header: Depth=1
	s_clause 0x2
	s_load_b128 s[52:55], s[2:3], 0x18
	s_load_b64 s[50:51], s[2:3], 0x28
	s_load_b128 s[56:59], s[2:3], 0xd8
	s_waitcnt lgkmcnt(0)
	v_mul_hi_u32 v4, s53, v1
	s_delay_alu instid0(VALU_DEP_1) | instskip(NEXT) | instid1(VALU_DEP_1)
	v_add_nc_u32_e32 v4, v1, v4
	v_lshrrev_b32_e32 v4, s54, v4
	s_delay_alu instid0(VALU_DEP_1)
	v_mul_hi_u32 v5, s50, v4
	v_mul_lo_u32 v6, v4, s52
	s_load_b64 s[52:53], s[2:3], 0xe8
	s_add_u32 s2, s2, 24
	s_addc_u32 s3, s3, 0
	s_add_i32 s49, s49, -2
	s_delay_alu instid0(SALU_CYCLE_1) | instskip(NEXT) | instid1(VALU_DEP_2)
	s_cmp_eq_u32 s49, 0
	v_add_nc_u32_e32 v5, v4, v5
	s_delay_alu instid0(VALU_DEP_2) | instskip(NEXT) | instid1(VALU_DEP_2)
	v_sub_nc_u32_e32 v6, v1, v6
	v_lshrrev_b32_e32 v1, s51, v5
	s_delay_alu instid0(VALU_DEP_2) | instskip(NEXT) | instid1(VALU_DEP_2)
	v_mul_lo_u32 v7, v6, s56
	v_mul_lo_u32 v5, v1, s55
	s_delay_alu instid0(VALU_DEP_1) | instskip(SKIP_2) | instid1(VALU_DEP_3)
	v_sub_nc_u32_e32 v4, v4, v5
	v_mul_lo_u32 v5, v6, s57
	v_mul_lo_u32 v6, v6, s58
	;; [unrolled: 1-line block ×3, first 2 shown]
	s_waitcnt lgkmcnt(0)
	v_mul_lo_u32 v10, v4, s52
	v_mul_lo_u32 v4, v4, s53
	s_delay_alu instid0(VALU_DEP_3) | instskip(NEXT) | instid1(VALU_DEP_3)
	v_add3_u32 v2, v7, v2, v8
	v_add3_u32 v0, v5, v0, v10
	s_delay_alu instid0(VALU_DEP_3)
	v_add3_u32 v3, v6, v3, v4
	s_cbranch_scc0 .LBB119_712
; %bb.713:
	s_set_inst_prefetch_distance 0x2
	s_bitcmp1_b32 s36, 0
	s_cselect_b32 s49, -1, 0
	s_delay_alu instid0(SALU_CYCLE_1)
	s_and_b32 vcc_lo, exec_lo, s49
	s_cbranch_vccnz .LBB119_716
; %bb.714:
	s_clause 0x3
	s_load_b64 s[50:51], s[2:3], 0x18
	s_load_b32 s49, s[2:3], 0x20
	s_load_b64 s[52:53], s[2:3], 0xd8
	s_load_b32 s2, s[2:3], 0xe0
	s_waitcnt lgkmcnt(0)
	v_mul_hi_u32 v4, s51, v1
	s_delay_alu instid0(VALU_DEP_1) | instskip(NEXT) | instid1(VALU_DEP_1)
	v_add_nc_u32_e32 v4, v1, v4
	v_lshrrev_b32_e32 v4, s49, v4
	s_delay_alu instid0(VALU_DEP_1) | instskip(NEXT) | instid1(VALU_DEP_1)
	v_mul_lo_u32 v4, v4, s50
	v_sub_nc_u32_e32 v7, v1, v4
	s_delay_alu instid0(VALU_DEP_1) | instskip(SKIP_1) | instid1(VALU_DEP_2)
	v_mad_u64_u32 v[4:5], null, v7, s52, v[2:3]
	v_mad_u64_u32 v[1:2], null, v7, s53, v[0:1]
	v_mad_u64_u32 v[5:6], null, v7, s2, v[3:4]
	v_mov_b32_e32 v2, v4
	s_delay_alu instid0(VALU_DEP_3) | instskip(NEXT) | instid1(VALU_DEP_3)
	v_mov_b32_e32 v0, v1
	v_mov_b32_e32 v3, v5
	s_branch .LBB119_716
.LBB119_715:
	s_mov_b32 s48, -1
                                        ; implicit-def: $vgpr2
                                        ; implicit-def: $vgpr0
                                        ; implicit-def: $vgpr3
.LBB119_716:
	s_delay_alu instid0(SALU_CYCLE_1)
	s_and_not1_b32 vcc_lo, exec_lo, s48
	s_cbranch_vccnz .LBB119_719
; %bb.717:
	s_waitcnt vmcnt(0)
	v_mul_hi_u32 v0, s17, v9
	s_and_not1_b32 vcc_lo, exec_lo, s35
	s_delay_alu instid0(VALU_DEP_1) | instskip(NEXT) | instid1(VALU_DEP_1)
	v_add_nc_u32_e32 v0, v9, v0
	v_lshrrev_b32_e32 v1, s18, v0
	s_delay_alu instid0(VALU_DEP_1) | instskip(NEXT) | instid1(VALU_DEP_1)
	v_mul_lo_u32 v0, v1, s16
	v_sub_nc_u32_e32 v3, v9, v0
	s_delay_alu instid0(VALU_DEP_1)
	v_mul_lo_u32 v2, v3, s12
	v_mul_lo_u32 v0, v3, s13
	;; [unrolled: 1-line block ×3, first 2 shown]
	s_cbranch_vccnz .LBB119_719
; %bb.718:
	v_mul_hi_u32 v4, s24, v1
	s_delay_alu instid0(VALU_DEP_1) | instskip(NEXT) | instid1(VALU_DEP_1)
	v_add_nc_u32_e32 v4, v1, v4
	v_lshrrev_b32_e32 v4, s25, v4
	s_delay_alu instid0(VALU_DEP_1) | instskip(NEXT) | instid1(VALU_DEP_1)
	v_mul_lo_u32 v4, v4, s19
	v_sub_nc_u32_e32 v7, v1, v4
	s_delay_alu instid0(VALU_DEP_1) | instskip(SKIP_1) | instid1(VALU_DEP_2)
	v_mad_u64_u32 v[4:5], null, v7, s15, v[2:3]
	v_mad_u64_u32 v[1:2], null, v7, s22, v[0:1]
	;; [unrolled: 1-line block ×3, first 2 shown]
	v_mov_b32_e32 v2, v4
	s_delay_alu instid0(VALU_DEP_3) | instskip(NEXT) | instid1(VALU_DEP_3)
	v_mov_b32_e32 v0, v1
	v_mov_b32_e32 v3, v5
.LBB119_719:
	v_and_b32_e64 v6, 0xff, s34
	s_waitcnt vmcnt(0)
	s_delay_alu instid0(VALU_DEP_2) | instskip(NEXT) | instid1(VALU_DEP_1)
	v_add_co_u32 v4, s2, s6, v0
	v_add_co_ci_u32_e64 v5, null, s7, 0, s2
	s_delay_alu instid0(VALU_DEP_3)
	v_cmp_gt_i16_e32 vcc_lo, 11, v6
	s_mov_b32 s2, 0
	s_cbranch_vccnz .LBB119_726
; %bb.720:
	v_cmp_lt_i16_e32 vcc_lo, 25, v6
	s_cbranch_vccz .LBB119_727
; %bb.721:
	v_cmp_lt_i16_e32 vcc_lo, 28, v6
	s_cbranch_vccz .LBB119_729
	;; [unrolled: 3-line block ×4, first 2 shown]
; %bb.724:
	v_cmp_eq_u16_e32 vcc_lo, 46, v6
	s_mov_b32 s3, 0
	s_cbranch_vccz .LBB119_806
; %bb.725:
	global_load_b32 v0, v[4:5], off
	s_mov_b32 s2, -1
	s_mov_b32 s48, 0
	s_waitcnt vmcnt(0)
	v_lshlrev_b32_e32 v0, 16, v0
	s_delay_alu instid0(VALU_DEP_1)
	v_cvt_f64_f32_e32 v[0:1], v0
	s_branch .LBB119_808
.LBB119_726:
	s_mov_b32 s3, -1
	s_mov_b32 s48, s43
                                        ; implicit-def: $vgpr0_vgpr1
	s_branch .LBB119_875
.LBB119_727:
	s_mov_b32 s3, -1
	s_mov_b32 s48, s43
                                        ; implicit-def: $vgpr0_vgpr1
	s_branch .LBB119_841
.LBB119_728:
	s_mov_b32 s2, s39
	s_branch .LBB119_762
.LBB119_729:
	s_mov_b32 s3, -1
	s_mov_b32 s48, s43
                                        ; implicit-def: $vgpr0_vgpr1
	s_branch .LBB119_820
.LBB119_730:
	s_mov_b32 s2, s39
	s_branch .LBB119_745
.LBB119_731:
	s_mov_b32 s3, -1
	s_mov_b32 s48, s43
                                        ; implicit-def: $vgpr0_vgpr1
	s_branch .LBB119_815
.LBB119_732:
	s_mov_b32 s2, s39
	s_branch .LBB119_741
.LBB119_733:
	s_mov_b32 s3, -1
	s_mov_b32 s48, s43
	s_branch .LBB119_807
.LBB119_734:
	s_mov_b32 s2, s39
.LBB119_735:
	s_and_b32 vcc_lo, exec_lo, s44
	s_cbranch_vccz .LBB119_740
; %bb.736:
	v_cmp_eq_u16_e32 vcc_lo, 44, v6
	s_mov_b32 s2, -1
	s_cbranch_vccz .LBB119_740
; %bb.737:
	v_cvt_f32_f64_e32 v2, v[0:1]
	v_mov_b32_e32 v3, 0xff
	s_mov_b32 s3, exec_lo
	s_delay_alu instid0(VALU_DEP_2) | instskip(NEXT) | instid1(VALU_DEP_1)
	v_bfe_u32 v7, v2, 23, 8
	v_cmpx_ne_u32_e32 0xff, v7
; %bb.738:
	v_and_b32_e32 v3, 0x400000, v2
	v_and_or_b32 v7, 0x3fffff, v2, v7
	v_lshrrev_b32_e32 v2, 23, v2
	s_delay_alu instid0(VALU_DEP_3) | instskip(NEXT) | instid1(VALU_DEP_3)
	v_cmp_ne_u32_e32 vcc_lo, 0, v3
	v_cmp_ne_u32_e64 s2, 0, v7
	s_delay_alu instid0(VALU_DEP_1) | instskip(NEXT) | instid1(SALU_CYCLE_1)
	s_and_b32 s2, vcc_lo, s2
	v_cndmask_b32_e64 v3, 0, 1, s2
	s_delay_alu instid0(VALU_DEP_1)
	v_add_nc_u32_e32 v3, v2, v3
; %bb.739:
	s_or_b32 exec_lo, exec_lo, s3
	s_mov_b32 s3, -1
	s_mov_b32 s2, 0
	global_store_b8 v[4:5], v3, off
.LBB119_740:
	s_mov_b32 s44, 0
.LBB119_741:
	s_delay_alu instid0(SALU_CYCLE_1)
	s_and_b32 vcc_lo, exec_lo, s44
	s_cbranch_vccz .LBB119_744
; %bb.742:
	v_cmp_eq_u16_e32 vcc_lo, 29, v6
	s_mov_b32 s2, -1
	s_cbranch_vccz .LBB119_744
; %bb.743:
	v_trunc_f64_e32 v[2:3], v[0:1]
	s_mov_b32 s3, -1
	s_mov_b32 s2, 0
	s_mov_b32 s44, 0
	s_delay_alu instid0(VALU_DEP_1) | instskip(NEXT) | instid1(VALU_DEP_1)
	v_ldexp_f64 v[7:8], v[2:3], 0xffffffe0
	v_floor_f64_e32 v[7:8], v[7:8]
	s_delay_alu instid0(VALU_DEP_1) | instskip(SKIP_1) | instid1(VALU_DEP_2)
	v_fma_f64 v[2:3], 0xc1f00000, v[7:8], v[2:3]
	v_cvt_u32_f64_e32 v8, v[7:8]
	v_cvt_u32_f64_e32 v7, v[2:3]
	global_store_b64 v[4:5], v[7:8], off
	s_branch .LBB119_745
.LBB119_744:
	s_mov_b32 s44, 0
.LBB119_745:
	s_delay_alu instid0(SALU_CYCLE_1)
	s_and_b32 vcc_lo, exec_lo, s44
	s_cbranch_vccz .LBB119_761
; %bb.746:
	v_cmp_gt_i16_e32 vcc_lo, 27, v6
	s_mov_b32 s3, -1
	s_cbranch_vccnz .LBB119_752
; %bb.747:
	v_cmp_lt_i16_e32 vcc_lo, 27, v6
	s_cbranch_vccz .LBB119_749
; %bb.748:
	v_cvt_u32_f64_e32 v2, v[0:1]
	s_mov_b32 s3, 0
	global_store_b32 v[4:5], v2, off
.LBB119_749:
	s_and_not1_b32 vcc_lo, exec_lo, s3
	s_cbranch_vccnz .LBB119_751
; %bb.750:
	v_cvt_u32_f64_e32 v2, v[0:1]
	global_store_b16 v[4:5], v2, off
.LBB119_751:
	s_mov_b32 s3, 0
.LBB119_752:
	s_delay_alu instid0(SALU_CYCLE_1)
	s_and_not1_b32 vcc_lo, exec_lo, s3
	s_cbranch_vccnz .LBB119_760
; %bb.753:
	s_delay_alu instid0(VALU_DEP_4) | instskip(SKIP_2) | instid1(VALU_DEP_2)
	v_cvt_f32_f64_e32 v2, v[0:1]
	v_mov_b32_e32 v7, 0x80
	s_mov_b32 s3, exec_lo
	v_and_b32_e32 v3, 0x7fffffff, v2
	s_delay_alu instid0(VALU_DEP_1)
	v_cmpx_gt_u32_e32 0x43800000, v3
	s_cbranch_execz .LBB119_759
; %bb.754:
	v_cmp_lt_u32_e32 vcc_lo, 0x3bffffff, v3
	s_mov_b32 s44, 0
                                        ; implicit-def: $vgpr3
	s_and_saveexec_b32 s45, vcc_lo
	s_delay_alu instid0(SALU_CYCLE_1)
	s_xor_b32 s45, exec_lo, s45
	s_cbranch_execz .LBB119_811
; %bb.755:
	v_bfe_u32 v3, v2, 20, 1
	s_mov_b32 s44, exec_lo
	s_delay_alu instid0(VALU_DEP_1) | instskip(NEXT) | instid1(VALU_DEP_1)
	v_add3_u32 v3, v2, v3, 0x487ffff
	v_lshrrev_b32_e32 v3, 20, v3
	s_or_saveexec_b32 s45, s45
                                        ; implicit-def: $sgpr47
	s_delay_alu instid0(SALU_CYCLE_1)
	s_xor_b32 exec_lo, exec_lo, s45
	s_cbranch_execnz .LBB119_812
.LBB119_756:
	s_or_b32 exec_lo, exec_lo, s45
	v_mov_b32_e32 v7, s47
	s_and_saveexec_b32 s45, s44
.LBB119_757:
	v_lshrrev_b32_e32 v2, 24, v2
	s_delay_alu instid0(VALU_DEP_1)
	v_and_or_b32 v7, 0x80, v2, v3
.LBB119_758:
	s_or_b32 exec_lo, exec_lo, s45
.LBB119_759:
	s_delay_alu instid0(SALU_CYCLE_1)
	s_or_b32 exec_lo, exec_lo, s3
	global_store_b8 v[4:5], v7, off
.LBB119_760:
	s_mov_b32 s3, -1
.LBB119_761:
	s_mov_b32 s44, 0
.LBB119_762:
	s_delay_alu instid0(SALU_CYCLE_1)
	s_and_b32 vcc_lo, exec_lo, s44
	s_cbranch_vccz .LBB119_803
; %bb.763:
	v_cmp_lt_i16_e32 vcc_lo, 22, v6
	s_mov_b32 s44, -1
	s_cbranch_vccz .LBB119_795
; %bb.764:
	v_cmp_gt_i16_e32 vcc_lo, 24, v6
	s_mov_b32 s3, -1
	s_cbranch_vccnz .LBB119_784
; %bb.765:
	v_cmp_lt_i16_e32 vcc_lo, 24, v6
	s_cbranch_vccz .LBB119_773
; %bb.766:
	v_cvt_f32_f64_e32 v2, v[0:1]
	v_mov_b32_e32 v7, 0x80
	s_mov_b32 s3, exec_lo
	s_delay_alu instid0(VALU_DEP_2) | instskip(NEXT) | instid1(VALU_DEP_1)
	v_and_b32_e32 v3, 0x7fffffff, v2
	v_cmpx_gt_u32_e32 0x47800000, v3
	s_cbranch_execz .LBB119_772
; %bb.767:
	v_cmp_lt_u32_e32 vcc_lo, 0x37ffffff, v3
	s_mov_b32 s44, 0
                                        ; implicit-def: $vgpr3
	s_and_saveexec_b32 s45, vcc_lo
	s_delay_alu instid0(SALU_CYCLE_1)
	s_xor_b32 s45, exec_lo, s45
	s_cbranch_execz .LBB119_938
; %bb.768:
	v_bfe_u32 v3, v2, 21, 1
	s_mov_b32 s44, exec_lo
	s_delay_alu instid0(VALU_DEP_1) | instskip(NEXT) | instid1(VALU_DEP_1)
	v_add3_u32 v3, v2, v3, 0x88fffff
	v_lshrrev_b32_e32 v3, 21, v3
	s_or_saveexec_b32 s45, s45
                                        ; implicit-def: $sgpr47
	s_delay_alu instid0(SALU_CYCLE_1)
	s_xor_b32 exec_lo, exec_lo, s45
	s_cbranch_execnz .LBB119_939
.LBB119_769:
	s_or_b32 exec_lo, exec_lo, s45
	v_mov_b32_e32 v7, s47
	s_and_saveexec_b32 s45, s44
.LBB119_770:
	v_lshrrev_b32_e32 v2, 24, v2
	s_delay_alu instid0(VALU_DEP_1)
	v_and_or_b32 v7, 0x80, v2, v3
.LBB119_771:
	s_or_b32 exec_lo, exec_lo, s45
.LBB119_772:
	s_delay_alu instid0(SALU_CYCLE_1)
	s_or_b32 exec_lo, exec_lo, s3
	s_mov_b32 s3, 0
	global_store_b8 v[4:5], v7, off
.LBB119_773:
	s_and_b32 vcc_lo, exec_lo, s3
	s_cbranch_vccz .LBB119_783
; %bb.774:
	v_cvt_f32_f64_e32 v2, v[0:1]
	s_mov_b32 s3, exec_lo
                                        ; implicit-def: $vgpr3
	s_delay_alu instid0(VALU_DEP_1) | instskip(NEXT) | instid1(VALU_DEP_1)
	v_and_b32_e32 v7, 0x7fffffff, v2
	v_cmpx_gt_u32_e32 0x43f00000, v7
	s_xor_b32 s3, exec_lo, s3
	s_cbranch_execz .LBB119_780
; %bb.775:
	s_mov_b32 s44, exec_lo
                                        ; implicit-def: $vgpr3
	v_cmpx_lt_u32_e32 0x3c7fffff, v7
	s_xor_b32 s44, exec_lo, s44
; %bb.776:
	v_bfe_u32 v3, v2, 20, 1
	s_delay_alu instid0(VALU_DEP_1) | instskip(NEXT) | instid1(VALU_DEP_1)
	v_add3_u32 v3, v2, v3, 0x407ffff
	v_and_b32_e32 v7, 0xff00000, v3
	v_lshrrev_b32_e32 v3, 20, v3
	s_delay_alu instid0(VALU_DEP_2) | instskip(NEXT) | instid1(VALU_DEP_2)
	v_cmp_ne_u32_e32 vcc_lo, 0x7f00000, v7
	v_cndmask_b32_e32 v3, 0x7e, v3, vcc_lo
; %bb.777:
	s_and_not1_saveexec_b32 s44, s44
; %bb.778:
	v_add_f32_e64 v3, 0x46800000, |v2|
; %bb.779:
	s_or_b32 exec_lo, exec_lo, s44
                                        ; implicit-def: $vgpr7
.LBB119_780:
	s_and_not1_saveexec_b32 s3, s3
; %bb.781:
	v_mov_b32_e32 v3, 0x7f
	v_cmp_lt_u32_e32 vcc_lo, 0x7f800000, v7
	s_delay_alu instid0(VALU_DEP_2)
	v_cndmask_b32_e32 v3, 0x7e, v3, vcc_lo
; %bb.782:
	s_or_b32 exec_lo, exec_lo, s3
	v_lshrrev_b32_e32 v2, 24, v2
	s_delay_alu instid0(VALU_DEP_1)
	v_and_or_b32 v2, 0x80, v2, v3
	global_store_b8 v[4:5], v2, off
.LBB119_783:
	s_mov_b32 s3, 0
.LBB119_784:
	s_delay_alu instid0(SALU_CYCLE_1)
	s_and_not1_b32 vcc_lo, exec_lo, s3
	s_cbranch_vccnz .LBB119_794
; %bb.785:
	s_delay_alu instid0(VALU_DEP_4) | instskip(SKIP_1) | instid1(VALU_DEP_1)
	v_cvt_f32_f64_e32 v2, v[0:1]
	s_mov_b32 s3, exec_lo
                                        ; implicit-def: $vgpr3
	v_and_b32_e32 v7, 0x7fffffff, v2
	s_delay_alu instid0(VALU_DEP_1)
	v_cmpx_gt_u32_e32 0x47800000, v7
	s_xor_b32 s3, exec_lo, s3
	s_cbranch_execz .LBB119_791
; %bb.786:
	s_mov_b32 s44, exec_lo
                                        ; implicit-def: $vgpr3
	v_cmpx_lt_u32_e32 0x387fffff, v7
	s_xor_b32 s44, exec_lo, s44
; %bb.787:
	v_bfe_u32 v3, v2, 21, 1
	s_delay_alu instid0(VALU_DEP_1) | instskip(NEXT) | instid1(VALU_DEP_1)
	v_add3_u32 v3, v2, v3, 0x80fffff
	v_lshrrev_b32_e32 v3, 21, v3
; %bb.788:
	s_and_not1_saveexec_b32 s44, s44
; %bb.789:
	v_add_f32_e64 v3, 0x43000000, |v2|
; %bb.790:
	s_or_b32 exec_lo, exec_lo, s44
                                        ; implicit-def: $vgpr7
.LBB119_791:
	s_and_not1_saveexec_b32 s3, s3
; %bb.792:
	v_mov_b32_e32 v3, 0x7f
	v_cmp_lt_u32_e32 vcc_lo, 0x7f800000, v7
	s_delay_alu instid0(VALU_DEP_2)
	v_cndmask_b32_e32 v3, 0x7c, v3, vcc_lo
; %bb.793:
	s_or_b32 exec_lo, exec_lo, s3
	v_lshrrev_b32_e32 v2, 24, v2
	s_delay_alu instid0(VALU_DEP_1)
	v_and_or_b32 v2, 0x80, v2, v3
	global_store_b8 v[4:5], v2, off
.LBB119_794:
	s_mov_b32 s44, 0
	s_mov_b32 s3, -1
.LBB119_795:
	s_and_not1_b32 vcc_lo, exec_lo, s44
	s_cbranch_vccnz .LBB119_803
; %bb.796:
	v_cmp_lt_i16_e32 vcc_lo, 14, v6
	s_mov_b32 s44, -1
	s_cbranch_vccz .LBB119_800
; %bb.797:
	v_cmp_eq_u16_e32 vcc_lo, 15, v6
	s_mov_b32 s2, -1
	s_cbranch_vccz .LBB119_799
; %bb.798:
	v_cvt_f32_f64_e32 v2, v[0:1]
	s_mov_b32 s3, -1
	s_mov_b32 s2, 0
	s_delay_alu instid0(VALU_DEP_1) | instskip(SKIP_1) | instid1(VALU_DEP_2)
	v_bfe_u32 v3, v2, 16, 1
	v_cmp_o_f32_e32 vcc_lo, v2, v2
	v_add3_u32 v3, v2, v3, 0x7fff
	s_delay_alu instid0(VALU_DEP_1) | instskip(NEXT) | instid1(VALU_DEP_1)
	v_lshrrev_b32_e32 v3, 16, v3
	v_cndmask_b32_e32 v2, 0x7fc0, v3, vcc_lo
	global_store_b16 v[4:5], v2, off
.LBB119_799:
	s_mov_b32 s44, 0
.LBB119_800:
	s_delay_alu instid0(SALU_CYCLE_1)
	s_and_b32 vcc_lo, exec_lo, s44
	s_cbranch_vccz .LBB119_803
; %bb.801:
	v_cmp_eq_u16_e32 vcc_lo, 11, v6
	s_mov_b32 s2, -1
	s_cbranch_vccz .LBB119_803
; %bb.802:
	v_cmp_neq_f64_e32 vcc_lo, 0, v[0:1]
	s_mov_b32 s3, -1
	s_mov_b32 s2, 0
	v_cndmask_b32_e64 v2, 0, 1, vcc_lo
	global_store_b8 v[4:5], v2, off
.LBB119_803:
.LBB119_804:
	s_and_not1_b32 vcc_lo, exec_lo, s3
	s_mov_b32 s3, 0
	s_cbranch_vccnz .LBB119_704
.LBB119_805:
	v_add_nc_u32_e32 v9, 0x80, v9
	s_mov_b32 s47, -1
	s_branch .LBB119_706
.LBB119_806:
	s_mov_b32 s48, -1
.LBB119_807:
                                        ; implicit-def: $vgpr0_vgpr1
.LBB119_808:
	s_and_b32 vcc_lo, exec_lo, s3
	s_cbranch_vccz .LBB119_814
; %bb.809:
	v_cmp_eq_u16_e32 vcc_lo, 44, v6
	s_cbranch_vccz .LBB119_813
; %bb.810:
	global_load_u8 v7, v[4:5], off
	s_mov_b32 s48, 0
	s_mov_b32 s2, -1
	s_waitcnt vmcnt(0)
	v_cmp_ne_u32_e32 vcc_lo, 0xff, v7
	v_lshlrev_b32_e32 v0, 23, v7
	s_delay_alu instid0(VALU_DEP_1) | instskip(NEXT) | instid1(VALU_DEP_1)
	v_cvt_f64_f32_e32 v[0:1], v0
	v_cndmask_b32_e32 v1, 0x7ff80000, v1, vcc_lo
	s_delay_alu instid0(VALU_DEP_2) | instskip(SKIP_1) | instid1(VALU_DEP_3)
	v_cndmask_b32_e32 v0, 0x20000000, v0, vcc_lo
	v_cmp_ne_u32_e32 vcc_lo, 0, v7
	v_cndmask_b32_e32 v1, 0x38000000, v1, vcc_lo
	s_delay_alu instid0(VALU_DEP_3)
	v_cndmask_b32_e32 v0, 0, v0, vcc_lo
	s_branch .LBB119_814
.LBB119_811:
	s_or_saveexec_b32 s45, s45
                                        ; implicit-def: $sgpr47
	s_delay_alu instid0(SALU_CYCLE_1)
	s_xor_b32 exec_lo, exec_lo, s45
	s_cbranch_execz .LBB119_756
.LBB119_812:
	v_add_f32_e64 v3, 0x46000000, |v2|
	s_and_not1_b32 s44, s44, exec_lo
	s_mov_b32 s47, 0
	s_delay_alu instid0(VALU_DEP_1) | instskip(NEXT) | instid1(VALU_DEP_1)
	v_and_b32_e32 v3, 0xff, v3
	v_cmp_ne_u32_e32 vcc_lo, 0, v3
	s_and_b32 s48, vcc_lo, exec_lo
	s_delay_alu instid0(SALU_CYCLE_1)
	s_or_b32 s44, s44, s48
	s_or_b32 exec_lo, exec_lo, s45
	v_mov_b32_e32 v7, s47
	s_and_saveexec_b32 s45, s44
	s_cbranch_execnz .LBB119_757
	s_branch .LBB119_758
.LBB119_813:
	s_mov_b32 s48, -1
                                        ; implicit-def: $vgpr0_vgpr1
.LBB119_814:
	s_mov_b32 s3, 0
.LBB119_815:
	s_delay_alu instid0(SALU_CYCLE_1)
	s_and_b32 vcc_lo, exec_lo, s3
	s_cbranch_vccz .LBB119_819
; %bb.816:
	v_cmp_eq_u16_e32 vcc_lo, 29, v6
	s_cbranch_vccz .LBB119_818
; %bb.817:
	global_load_b64 v[0:1], v[4:5], off
	s_mov_b32 s2, -1
	s_mov_b32 s48, 0
	s_mov_b32 s3, 0
	s_waitcnt vmcnt(0)
	v_cvt_f64_u32_e32 v[7:8], v1
	v_cvt_f64_u32_e32 v[0:1], v0
	s_delay_alu instid0(VALU_DEP_2) | instskip(NEXT) | instid1(VALU_DEP_1)
	v_ldexp_f64 v[7:8], v[7:8], 32
	v_add_f64 v[0:1], v[7:8], v[0:1]
	s_branch .LBB119_820
.LBB119_818:
	s_mov_b32 s48, -1
                                        ; implicit-def: $vgpr0_vgpr1
.LBB119_819:
	s_mov_b32 s3, 0
.LBB119_820:
	s_delay_alu instid0(SALU_CYCLE_1)
	s_and_b32 vcc_lo, exec_lo, s3
	s_cbranch_vccz .LBB119_840
; %bb.821:
	v_cmp_gt_i16_e32 vcc_lo, 27, v6
	s_cbranch_vccnz .LBB119_824
; %bb.822:
	v_cmp_lt_i16_e32 vcc_lo, 27, v6
	s_cbranch_vccz .LBB119_825
; %bb.823:
	global_load_b32 v0, v[4:5], off
	s_mov_b32 s2, 0
	s_waitcnt vmcnt(0)
	v_cvt_f64_u32_e32 v[0:1], v0
	s_branch .LBB119_826
.LBB119_824:
	s_mov_b32 s2, -1
                                        ; implicit-def: $vgpr0_vgpr1
	s_branch .LBB119_829
.LBB119_825:
	s_mov_b32 s2, -1
                                        ; implicit-def: $vgpr0_vgpr1
.LBB119_826:
	s_delay_alu instid0(SALU_CYCLE_1)
	s_and_not1_b32 vcc_lo, exec_lo, s2
	s_cbranch_vccnz .LBB119_828
; %bb.827:
	global_load_u16 v0, v[4:5], off
	s_waitcnt vmcnt(0)
	v_cvt_f64_u32_e32 v[0:1], v0
.LBB119_828:
	s_mov_b32 s2, 0
.LBB119_829:
	s_delay_alu instid0(SALU_CYCLE_1)
	s_and_not1_b32 vcc_lo, exec_lo, s2
	s_cbranch_vccnz .LBB119_839
; %bb.830:
	global_load_u8 v7, v[4:5], off
	s_mov_b32 s49, 0
	s_mov_b32 s50, exec_lo
                                        ; implicit-def: $sgpr2_sgpr3
	s_waitcnt vmcnt(0)
	v_cmpx_lt_i16_e32 0x7f, v7
	s_xor_b32 s50, exec_lo, s50
	s_cbranch_execz .LBB119_834
; %bb.831:
	s_mov_b32 s51, -1
	s_mov_b32 s49, exec_lo
                                        ; implicit-def: $sgpr2_sgpr3
	v_cmpx_eq_u16_e32 0x80, v7
; %bb.832:
	s_mov_b32 s3, 0x7ff80000
	s_brev_b32 s2, 4
	s_xor_b32 s51, exec_lo, -1
; %bb.833:
	s_or_b32 exec_lo, exec_lo, s49
	s_delay_alu instid0(SALU_CYCLE_1)
	s_and_b32 s49, s51, exec_lo
.LBB119_834:
	s_or_saveexec_b32 s50, s50
	v_dual_mov_b32 v0, s2 :: v_dual_mov_b32 v1, s3
	s_xor_b32 exec_lo, exec_lo, s50
; %bb.835:
	v_cmp_ne_u16_e32 vcc_lo, 0, v7
	v_mov_b32_e32 v0, 0
	v_mov_b32_e32 v1, 0
	s_and_not1_b32 s2, s49, exec_lo
	s_and_b32 s3, vcc_lo, exec_lo
	s_delay_alu instid0(SALU_CYCLE_1)
	s_or_b32 s49, s2, s3
; %bb.836:
	s_or_b32 exec_lo, exec_lo, s50
	s_and_saveexec_b32 s2, s49
	s_cbranch_execz .LBB119_838
; %bb.837:
	v_and_b32_e32 v0, 0xffff, v7
	s_delay_alu instid0(VALU_DEP_1) | instskip(NEXT) | instid1(VALU_DEP_1)
	v_and_b32_e32 v1, 7, v0
	v_clz_i32_u32_e32 v8, v1
	s_delay_alu instid0(VALU_DEP_1) | instskip(NEXT) | instid1(VALU_DEP_1)
	v_min_u32_e32 v8, 32, v8
	v_subrev_nc_u32_e32 v10, 28, v8
	v_sub_nc_u32_e32 v8, 29, v8
	s_delay_alu instid0(VALU_DEP_2) | instskip(SKIP_1) | instid1(VALU_DEP_2)
	v_lshlrev_b32_e32 v10, v10, v0
	v_bfe_u32 v0, v0, 3, 4
	v_and_b32_e32 v10, 7, v10
	s_delay_alu instid0(VALU_DEP_2) | instskip(SKIP_1) | instid1(VALU_DEP_3)
	v_cmp_eq_u32_e32 vcc_lo, 0, v0
	v_dual_cndmask_b32 v0, v0, v8 :: v_dual_lshlrev_b32 v7, 24, v7
	v_cndmask_b32_e32 v1, v1, v10, vcc_lo
	s_delay_alu instid0(VALU_DEP_2) | instskip(NEXT) | instid1(VALU_DEP_3)
	v_and_b32_e32 v7, 0x80000000, v7
	v_lshl_add_u32 v0, v0, 23, 0x3b800000
	s_delay_alu instid0(VALU_DEP_3) | instskip(NEXT) | instid1(VALU_DEP_1)
	v_lshlrev_b32_e32 v1, 20, v1
	v_or3_b32 v0, v7, v0, v1
	s_delay_alu instid0(VALU_DEP_1)
	v_cvt_f64_f32_e32 v[0:1], v0
.LBB119_838:
	s_or_b32 exec_lo, exec_lo, s2
.LBB119_839:
	s_mov_b32 s2, -1
.LBB119_840:
	s_mov_b32 s3, 0
.LBB119_841:
	s_delay_alu instid0(SALU_CYCLE_1)
	s_and_b32 vcc_lo, exec_lo, s3
	s_cbranch_vccz .LBB119_874
; %bb.842:
	v_cmp_lt_i16_e32 vcc_lo, 22, v6
	s_cbranch_vccz .LBB119_854
; %bb.843:
	v_cmp_gt_i16_e32 vcc_lo, 24, v6
	s_cbranch_vccnz .LBB119_855
; %bb.844:
	v_cmp_lt_i16_e32 vcc_lo, 24, v6
	s_cbranch_vccz .LBB119_856
; %bb.845:
	global_load_u8 v7, v[4:5], off
	s_mov_b32 s49, 0
	s_mov_b32 s50, exec_lo
                                        ; implicit-def: $sgpr2_sgpr3
	s_waitcnt vmcnt(0)
	v_cmpx_lt_i16_e32 0x7f, v7
	s_xor_b32 s50, exec_lo, s50
	s_cbranch_execz .LBB119_849
; %bb.846:
	s_mov_b32 s51, -1
	s_mov_b32 s49, exec_lo
                                        ; implicit-def: $sgpr2_sgpr3
	v_cmpx_eq_u16_e32 0x80, v7
; %bb.847:
	s_mov_b32 s3, 0x7ff80000
	s_brev_b32 s2, 4
	s_xor_b32 s51, exec_lo, -1
; %bb.848:
	s_or_b32 exec_lo, exec_lo, s49
	s_delay_alu instid0(SALU_CYCLE_1)
	s_and_b32 s49, s51, exec_lo
.LBB119_849:
	s_or_saveexec_b32 s50, s50
	v_dual_mov_b32 v0, s2 :: v_dual_mov_b32 v1, s3
	s_xor_b32 exec_lo, exec_lo, s50
; %bb.850:
	v_cmp_ne_u16_e32 vcc_lo, 0, v7
	v_mov_b32_e32 v0, 0
	v_mov_b32_e32 v1, 0
	s_and_not1_b32 s2, s49, exec_lo
	s_and_b32 s3, vcc_lo, exec_lo
	s_delay_alu instid0(SALU_CYCLE_1)
	s_or_b32 s49, s2, s3
; %bb.851:
	s_or_b32 exec_lo, exec_lo, s50
	s_and_saveexec_b32 s2, s49
	s_cbranch_execz .LBB119_853
; %bb.852:
	v_and_b32_e32 v0, 0xffff, v7
	s_delay_alu instid0(VALU_DEP_1) | instskip(NEXT) | instid1(VALU_DEP_1)
	v_and_b32_e32 v1, 3, v0
	v_clz_i32_u32_e32 v8, v1
	s_delay_alu instid0(VALU_DEP_1) | instskip(NEXT) | instid1(VALU_DEP_1)
	v_min_u32_e32 v8, 32, v8
	v_subrev_nc_u32_e32 v10, 29, v8
	v_sub_nc_u32_e32 v8, 30, v8
	s_delay_alu instid0(VALU_DEP_2) | instskip(SKIP_1) | instid1(VALU_DEP_2)
	v_lshlrev_b32_e32 v10, v10, v0
	v_bfe_u32 v0, v0, 2, 5
	v_and_b32_e32 v10, 3, v10
	s_delay_alu instid0(VALU_DEP_2) | instskip(SKIP_1) | instid1(VALU_DEP_3)
	v_cmp_eq_u32_e32 vcc_lo, 0, v0
	v_dual_cndmask_b32 v0, v0, v8 :: v_dual_lshlrev_b32 v7, 24, v7
	v_cndmask_b32_e32 v1, v1, v10, vcc_lo
	s_delay_alu instid0(VALU_DEP_2) | instskip(NEXT) | instid1(VALU_DEP_3)
	v_and_b32_e32 v7, 0x80000000, v7
	v_lshl_add_u32 v0, v0, 23, 0x37800000
	s_delay_alu instid0(VALU_DEP_3) | instskip(NEXT) | instid1(VALU_DEP_1)
	v_lshlrev_b32_e32 v1, 21, v1
	v_or3_b32 v0, v7, v0, v1
	s_delay_alu instid0(VALU_DEP_1)
	v_cvt_f64_f32_e32 v[0:1], v0
.LBB119_853:
	s_or_b32 exec_lo, exec_lo, s2
	s_mov_b32 s2, 0
	s_branch .LBB119_857
.LBB119_854:
	s_mov_b32 s3, -1
                                        ; implicit-def: $vgpr0_vgpr1
	s_branch .LBB119_863
.LBB119_855:
	s_mov_b32 s2, -1
                                        ; implicit-def: $vgpr0_vgpr1
	s_branch .LBB119_860
.LBB119_856:
	s_mov_b32 s2, -1
                                        ; implicit-def: $vgpr0_vgpr1
.LBB119_857:
	s_delay_alu instid0(SALU_CYCLE_1)
	s_and_b32 vcc_lo, exec_lo, s2
	s_cbranch_vccz .LBB119_859
; %bb.858:
	global_load_u8 v0, v[4:5], off
	s_waitcnt vmcnt(0)
	v_lshlrev_b32_e32 v0, 24, v0
	s_delay_alu instid0(VALU_DEP_1) | instskip(NEXT) | instid1(VALU_DEP_1)
	v_and_b32_e32 v1, 0x7f000000, v0
	v_clz_i32_u32_e32 v7, v1
	v_add_nc_u32_e32 v10, 0x1000000, v1
	v_cmp_ne_u32_e32 vcc_lo, 0, v1
	s_delay_alu instid0(VALU_DEP_3) | instskip(NEXT) | instid1(VALU_DEP_1)
	v_min_u32_e32 v7, 32, v7
	v_sub_nc_u32_e64 v7, v7, 4 clamp
	s_delay_alu instid0(VALU_DEP_1) | instskip(SKIP_1) | instid1(VALU_DEP_2)
	v_lshlrev_b32_e32 v8, v7, v1
	v_lshlrev_b32_e32 v7, 23, v7
	v_lshrrev_b32_e32 v8, 4, v8
	s_delay_alu instid0(VALU_DEP_1) | instskip(SKIP_1) | instid1(VALU_DEP_2)
	v_sub_nc_u32_e32 v7, v8, v7
	v_ashrrev_i32_e32 v8, 8, v10
	v_add_nc_u32_e32 v7, 0x3c000000, v7
	s_delay_alu instid0(VALU_DEP_1) | instskip(NEXT) | instid1(VALU_DEP_1)
	v_and_or_b32 v7, 0x7f800000, v8, v7
	v_cndmask_b32_e32 v1, 0, v7, vcc_lo
	s_delay_alu instid0(VALU_DEP_1) | instskip(NEXT) | instid1(VALU_DEP_1)
	v_and_or_b32 v0, 0x80000000, v0, v1
	v_cvt_f64_f32_e32 v[0:1], v0
.LBB119_859:
	s_mov_b32 s2, 0
.LBB119_860:
	s_delay_alu instid0(SALU_CYCLE_1)
	s_and_not1_b32 vcc_lo, exec_lo, s2
	s_cbranch_vccnz .LBB119_862
; %bb.861:
	global_load_u8 v0, v[4:5], off
	s_waitcnt vmcnt(0)
	v_lshlrev_b32_e32 v1, 25, v0
	v_lshlrev_b16 v0, 8, v0
	s_delay_alu instid0(VALU_DEP_2) | instskip(NEXT) | instid1(VALU_DEP_2)
	v_lshrrev_b32_e32 v7, 4, v1
	v_and_or_b32 v8, 0x7f00, v0, 0.5
	v_cmp_gt_u32_e32 vcc_lo, 0x8000000, v1
	v_bfe_i32 v0, v0, 0, 16
	s_delay_alu instid0(VALU_DEP_4) | instskip(NEXT) | instid1(VALU_DEP_1)
	v_or_b32_e32 v7, 0x70000000, v7
	v_dual_add_f32 v8, -0.5, v8 :: v_dual_mul_f32 v7, 0x7800000, v7
	s_delay_alu instid0(VALU_DEP_1) | instskip(NEXT) | instid1(VALU_DEP_1)
	v_cndmask_b32_e32 v1, v7, v8, vcc_lo
	v_and_or_b32 v0, 0x80000000, v0, v1
	s_delay_alu instid0(VALU_DEP_1)
	v_cvt_f64_f32_e32 v[0:1], v0
.LBB119_862:
	s_mov_b32 s3, 0
	s_mov_b32 s2, -1
.LBB119_863:
	s_and_not1_b32 vcc_lo, exec_lo, s3
	s_cbranch_vccnz .LBB119_874
; %bb.864:
	v_cmp_lt_i16_e32 vcc_lo, 14, v6
	s_cbranch_vccz .LBB119_867
; %bb.865:
	v_cmp_eq_u16_e32 vcc_lo, 15, v6
	s_cbranch_vccz .LBB119_868
; %bb.866:
	global_load_u16 v0, v[4:5], off
	s_mov_b32 s2, -1
	s_mov_b32 s48, 0
	s_waitcnt vmcnt(0)
	v_lshlrev_b32_e32 v0, 16, v0
	s_delay_alu instid0(VALU_DEP_1)
	v_cvt_f64_f32_e32 v[0:1], v0
	s_branch .LBB119_869
.LBB119_867:
	s_mov_b32 s3, -1
                                        ; implicit-def: $vgpr0_vgpr1
	s_branch .LBB119_870
.LBB119_868:
	s_mov_b32 s48, -1
                                        ; implicit-def: $vgpr0_vgpr1
.LBB119_869:
	s_mov_b32 s3, 0
.LBB119_870:
	s_delay_alu instid0(SALU_CYCLE_1)
	s_and_b32 vcc_lo, exec_lo, s3
	s_cbranch_vccz .LBB119_874
; %bb.871:
	v_cmp_eq_u16_e32 vcc_lo, 11, v6
	s_cbranch_vccz .LBB119_873
; %bb.872:
	global_load_u8 v0, v[4:5], off
	s_mov_b32 s48, 0
	s_mov_b32 s2, -1
	s_waitcnt vmcnt(0)
	v_cmp_ne_u16_e32 vcc_lo, 0, v0
	v_mov_b32_e32 v0, 0
	v_cndmask_b32_e64 v1, 0, 0x3ff00000, vcc_lo
	s_branch .LBB119_874
.LBB119_873:
	s_mov_b32 s48, -1
                                        ; implicit-def: $vgpr0_vgpr1
.LBB119_874:
	s_mov_b32 s3, 0
.LBB119_875:
	s_delay_alu instid0(SALU_CYCLE_1)
	s_and_b32 vcc_lo, exec_lo, s3
	s_cbranch_vccz .LBB119_924
; %bb.876:
	v_cmp_gt_i16_e32 vcc_lo, 5, v6
	s_cbranch_vccnz .LBB119_881
; %bb.877:
	v_cmp_gt_i16_e32 vcc_lo, 8, v6
	s_cbranch_vccnz .LBB119_882
	;; [unrolled: 3-line block ×3, first 2 shown]
; %bb.879:
	v_cmp_lt_i16_e32 vcc_lo, 9, v6
	s_cbranch_vccz .LBB119_884
; %bb.880:
	global_load_b64 v[0:1], v[4:5], off
	s_mov_b32 s2, 0
	s_branch .LBB119_885
.LBB119_881:
	s_mov_b32 s2, -1
                                        ; implicit-def: $vgpr0_vgpr1
	s_branch .LBB119_903
.LBB119_882:
	s_mov_b32 s2, -1
                                        ; implicit-def: $vgpr0_vgpr1
	s_branch .LBB119_891
.LBB119_883:
	s_mov_b32 s2, -1
                                        ; implicit-def: $vgpr0_vgpr1
	s_branch .LBB119_888
.LBB119_884:
	s_mov_b32 s2, -1
                                        ; implicit-def: $vgpr0_vgpr1
.LBB119_885:
	s_delay_alu instid0(SALU_CYCLE_1)
	s_and_not1_b32 vcc_lo, exec_lo, s2
	s_cbranch_vccnz .LBB119_887
; %bb.886:
	global_load_b32 v0, v[4:5], off
	s_waitcnt vmcnt(0)
	v_cvt_f64_f32_e32 v[0:1], v0
.LBB119_887:
	s_mov_b32 s2, 0
.LBB119_888:
	s_delay_alu instid0(SALU_CYCLE_1)
	s_and_not1_b32 vcc_lo, exec_lo, s2
	s_cbranch_vccnz .LBB119_890
; %bb.889:
	global_load_b32 v0, v[4:5], off
	s_waitcnt vmcnt(0)
	v_cvt_f32_f16_e32 v0, v0
	s_delay_alu instid0(VALU_DEP_1)
	v_cvt_f64_f32_e32 v[0:1], v0
.LBB119_890:
	s_mov_b32 s2, 0
.LBB119_891:
	s_delay_alu instid0(SALU_CYCLE_1)
	s_and_not1_b32 vcc_lo, exec_lo, s2
	s_cbranch_vccnz .LBB119_902
; %bb.892:
	v_cmp_gt_i16_e32 vcc_lo, 6, v6
	s_cbranch_vccnz .LBB119_895
; %bb.893:
	v_cmp_lt_i16_e32 vcc_lo, 6, v6
	s_cbranch_vccz .LBB119_896
; %bb.894:
	global_load_b64 v[0:1], v[4:5], off
	s_mov_b32 s2, 0
	s_branch .LBB119_897
.LBB119_895:
	s_mov_b32 s2, -1
                                        ; implicit-def: $vgpr0_vgpr1
	s_branch .LBB119_900
.LBB119_896:
	s_mov_b32 s2, -1
                                        ; implicit-def: $vgpr0_vgpr1
.LBB119_897:
	s_delay_alu instid0(SALU_CYCLE_1)
	s_and_not1_b32 vcc_lo, exec_lo, s2
	s_cbranch_vccnz .LBB119_899
; %bb.898:
	global_load_b32 v0, v[4:5], off
	s_waitcnt vmcnt(0)
	v_cvt_f64_f32_e32 v[0:1], v0
.LBB119_899:
	s_mov_b32 s2, 0
.LBB119_900:
	s_delay_alu instid0(SALU_CYCLE_1)
	s_and_not1_b32 vcc_lo, exec_lo, s2
	s_cbranch_vccnz .LBB119_902
; %bb.901:
	global_load_u16 v0, v[4:5], off
	s_waitcnt vmcnt(0)
	v_cvt_f32_f16_e32 v0, v0
	s_delay_alu instid0(VALU_DEP_1)
	v_cvt_f64_f32_e32 v[0:1], v0
.LBB119_902:
	s_mov_b32 s2, 0
.LBB119_903:
	s_delay_alu instid0(SALU_CYCLE_1)
	s_and_not1_b32 vcc_lo, exec_lo, s2
	s_cbranch_vccnz .LBB119_923
; %bb.904:
	v_cmp_gt_i16_e32 vcc_lo, 2, v6
	s_cbranch_vccnz .LBB119_908
; %bb.905:
	v_cmp_gt_i16_e32 vcc_lo, 3, v6
	s_cbranch_vccnz .LBB119_909
; %bb.906:
	v_cmp_lt_i16_e32 vcc_lo, 3, v6
	s_cbranch_vccz .LBB119_910
; %bb.907:
	global_load_b64 v[0:1], v[4:5], off
	s_mov_b32 s2, 0
	s_waitcnt vmcnt(0)
	v_cvt_f64_i32_e32 v[7:8], v1
	v_cvt_f64_u32_e32 v[0:1], v0
	s_delay_alu instid0(VALU_DEP_2) | instskip(NEXT) | instid1(VALU_DEP_1)
	v_ldexp_f64 v[7:8], v[7:8], 32
	v_add_f64 v[0:1], v[7:8], v[0:1]
	s_branch .LBB119_911
.LBB119_908:
	s_mov_b32 s2, -1
                                        ; implicit-def: $vgpr0_vgpr1
	s_branch .LBB119_917
.LBB119_909:
	s_mov_b32 s2, -1
                                        ; implicit-def: $vgpr0_vgpr1
	s_branch .LBB119_914
.LBB119_910:
	s_mov_b32 s2, -1
                                        ; implicit-def: $vgpr0_vgpr1
.LBB119_911:
	s_delay_alu instid0(SALU_CYCLE_1)
	s_and_not1_b32 vcc_lo, exec_lo, s2
	s_cbranch_vccnz .LBB119_913
; %bb.912:
	global_load_b32 v0, v[4:5], off
	s_waitcnt vmcnt(0)
	v_cvt_f64_i32_e32 v[0:1], v0
.LBB119_913:
	s_mov_b32 s2, 0
.LBB119_914:
	s_delay_alu instid0(SALU_CYCLE_1)
	s_and_not1_b32 vcc_lo, exec_lo, s2
	s_cbranch_vccnz .LBB119_916
; %bb.915:
	global_load_i16 v0, v[4:5], off
	s_waitcnt vmcnt(0)
	v_cvt_f64_i32_e32 v[0:1], v0
.LBB119_916:
	s_mov_b32 s2, 0
.LBB119_917:
	s_delay_alu instid0(SALU_CYCLE_1)
	s_and_not1_b32 vcc_lo, exec_lo, s2
	s_cbranch_vccnz .LBB119_923
; %bb.918:
	v_cmp_lt_i16_e32 vcc_lo, 0, v6
	s_mov_b32 s2, 0
	s_cbranch_vccz .LBB119_920
; %bb.919:
	global_load_i8 v0, v[4:5], off
	s_waitcnt vmcnt(0)
	v_cvt_f64_i32_e32 v[0:1], v0
	s_branch .LBB119_921
.LBB119_920:
	s_mov_b32 s2, -1
                                        ; implicit-def: $vgpr0_vgpr1
.LBB119_921:
	s_delay_alu instid0(SALU_CYCLE_1)
	s_and_not1_b32 vcc_lo, exec_lo, s2
	s_cbranch_vccnz .LBB119_923
; %bb.922:
	global_load_u8 v0, v[4:5], off
	s_waitcnt vmcnt(0)
	v_cvt_f64_u32_e32 v[0:1], v0
.LBB119_923:
	s_mov_b32 s2, -1
.LBB119_924:
	s_delay_alu instid0(SALU_CYCLE_1)
	s_and_not1_b32 vcc_lo, exec_lo, s2
	s_cbranch_vccnz .LBB119_932
; %bb.925:
	v_and_b32_e64 v5, 0xff, s33
	v_add_co_u32 v3, s2, s8, v3
	s_delay_alu instid0(VALU_DEP_1) | instskip(NEXT) | instid1(VALU_DEP_3)
	v_add_co_ci_u32_e64 v4, null, s9, 0, s2
	v_cmp_gt_i16_e32 vcc_lo, 11, v5
	s_mov_b32 s2, 0
	s_cbranch_vccnz .LBB119_933
; %bb.926:
	v_cmp_lt_i16_e32 vcc_lo, 25, v5
	s_cbranch_vccz .LBB119_934
; %bb.927:
	v_cmp_lt_i16_e32 vcc_lo, 28, v5
	s_cbranch_vccz .LBB119_935
	;; [unrolled: 3-line block ×4, first 2 shown]
; %bb.930:
	v_cmp_eq_u16_e32 vcc_lo, 46, v5
	s_mov_b32 s50, 0
	s_cbranch_vccz .LBB119_940
; %bb.931:
	global_load_b32 v6, v[3:4], off
	s_mov_b32 s3, 0
	s_mov_b32 s2, -1
	s_waitcnt vmcnt(0)
	v_and_b32_e32 v6, 0x7fff7fff, v6
	s_delay_alu instid0(VALU_DEP_1)
	v_cmp_ne_u32_e32 vcc_lo, 0, v6
	s_and_b32 s49, vcc_lo, exec_lo
	s_branch .LBB119_942
.LBB119_932:
	s_mov_b32 s51, 0
	s_mov_b32 s2, s44
	;; [unrolled: 1-line block ×3, first 2 shown]
	s_branch .LBB119_1103
.LBB119_933:
	s_mov_b32 s50, -1
	s_mov_b32 s3, s45
                                        ; implicit-def: $sgpr49
	s_branch .LBB119_1005
.LBB119_934:
	s_mov_b32 s50, -1
	s_mov_b32 s3, s45
                                        ; implicit-def: $sgpr49
	s_branch .LBB119_969
.LBB119_935:
	s_mov_b32 s50, -1
	s_mov_b32 s3, s45
                                        ; implicit-def: $sgpr49
	s_branch .LBB119_950
.LBB119_936:
	s_mov_b32 s50, -1
	s_mov_b32 s3, s45
                                        ; implicit-def: $sgpr49
	s_branch .LBB119_945
.LBB119_937:
	s_mov_b32 s50, -1
	s_mov_b32 s3, s45
	s_branch .LBB119_941
.LBB119_938:
	s_or_saveexec_b32 s45, s45
                                        ; implicit-def: $sgpr47
	s_delay_alu instid0(SALU_CYCLE_1)
	s_xor_b32 exec_lo, exec_lo, s45
	s_cbranch_execz .LBB119_769
.LBB119_939:
	v_add_f32_e64 v3, 0x42800000, |v2|
	s_and_not1_b32 s44, s44, exec_lo
	s_mov_b32 s47, 0
	s_delay_alu instid0(VALU_DEP_1) | instskip(NEXT) | instid1(VALU_DEP_1)
	v_and_b32_e32 v3, 0xff, v3
	v_cmp_ne_u32_e32 vcc_lo, 0, v3
	s_and_b32 s48, vcc_lo, exec_lo
	s_delay_alu instid0(SALU_CYCLE_1)
	s_or_b32 s44, s44, s48
	s_or_b32 exec_lo, exec_lo, s45
	v_mov_b32_e32 v7, s47
	s_and_saveexec_b32 s45, s44
	s_cbranch_execnz .LBB119_770
	s_branch .LBB119_771
.LBB119_940:
	s_mov_b32 s3, -1
.LBB119_941:
                                        ; implicit-def: $sgpr49
.LBB119_942:
	s_and_b32 vcc_lo, exec_lo, s50
	s_cbranch_vccz .LBB119_944
; %bb.943:
	v_cmp_eq_u16_e64 s2, 44, v5
	s_or_b32 s49, s49, exec_lo
	s_or_b32 s3, s3, exec_lo
.LBB119_944:
	s_mov_b32 s50, 0
.LBB119_945:
	s_delay_alu instid0(SALU_CYCLE_1)
	s_and_b32 vcc_lo, exec_lo, s50
	s_cbranch_vccz .LBB119_949
; %bb.946:
	v_cmp_eq_u16_e32 vcc_lo, 29, v5
	s_cbranch_vccz .LBB119_948
; %bb.947:
	global_load_b64 v[6:7], v[3:4], off
	s_mov_b32 s2, -1
	s_mov_b32 s3, 0
	s_mov_b32 s50, 0
	s_waitcnt vmcnt(0)
	v_cmp_ne_u64_e32 vcc_lo, 0, v[6:7]
	s_and_b32 s49, vcc_lo, exec_lo
	s_branch .LBB119_950
.LBB119_948:
	s_mov_b32 s3, -1
                                        ; implicit-def: $sgpr49
.LBB119_949:
	s_mov_b32 s50, 0
.LBB119_950:
	s_delay_alu instid0(SALU_CYCLE_1)
	s_and_b32 vcc_lo, exec_lo, s50
	s_cbranch_vccz .LBB119_968
; %bb.951:
	v_cmp_gt_i16_e32 vcc_lo, 27, v5
	s_cbranch_vccnz .LBB119_954
; %bb.952:
	v_cmp_lt_i16_e32 vcc_lo, 27, v5
	s_cbranch_vccz .LBB119_955
; %bb.953:
	global_load_b32 v6, v[3:4], off
	s_mov_b32 s2, 0
	s_waitcnt vmcnt(0)
	v_cmp_ne_u32_e32 vcc_lo, 0, v6
	s_and_b32 s49, vcc_lo, exec_lo
	s_branch .LBB119_956
.LBB119_954:
	s_mov_b32 s2, -1
                                        ; implicit-def: $sgpr49
	s_branch .LBB119_959
.LBB119_955:
	s_mov_b32 s2, -1
                                        ; implicit-def: $sgpr49
.LBB119_956:
	s_delay_alu instid0(SALU_CYCLE_1)
	s_and_not1_b32 vcc_lo, exec_lo, s2
	s_cbranch_vccnz .LBB119_958
; %bb.957:
	global_load_u16 v6, v[3:4], off
	s_and_not1_b32 s2, s49, exec_lo
	s_waitcnt vmcnt(0)
	v_cmp_ne_u16_e32 vcc_lo, 0, v6
	s_and_b32 s49, vcc_lo, exec_lo
	s_delay_alu instid0(SALU_CYCLE_1)
	s_or_b32 s49, s2, s49
.LBB119_958:
	s_mov_b32 s2, 0
.LBB119_959:
	s_delay_alu instid0(SALU_CYCLE_1)
	s_and_not1_b32 vcc_lo, exec_lo, s2
	s_cbranch_vccnz .LBB119_967
; %bb.960:
	global_load_u8 v6, v[3:4], off
	s_mov_b32 s2, 0
	s_mov_b32 s50, exec_lo
                                        ; implicit-def: $sgpr49
	s_waitcnt vmcnt(0)
	v_cmpx_lt_i16_e32 0x7f, v6
	s_xor_b32 s50, exec_lo, s50
	s_cbranch_execz .LBB119_981
; %bb.961:
	s_mov_b32 s2, -1
	s_mov_b32 s51, exec_lo
                                        ; implicit-def: $sgpr49
	v_cmpx_eq_u16_e32 0x80, v6
; %bb.962:
	s_mov_b32 s49, -1
	s_xor_b32 s2, exec_lo, -1
; %bb.963:
	s_or_b32 exec_lo, exec_lo, s51
	s_delay_alu instid0(SALU_CYCLE_1)
	s_and_b32 s2, s2, exec_lo
	s_and_not1_saveexec_b32 s50, s50
	s_cbranch_execnz .LBB119_982
.LBB119_964:
	s_or_b32 exec_lo, exec_lo, s50
	s_and_saveexec_b32 s50, s2
	s_cbranch_execz .LBB119_966
.LBB119_965:
	v_and_b32_e32 v6, 0xffff, v6
	s_and_not1_b32 s2, s49, exec_lo
	s_delay_alu instid0(VALU_DEP_1) | instskip(NEXT) | instid1(VALU_DEP_1)
	v_and_b32_e32 v7, 7, v6
	v_clz_i32_u32_e32 v8, v7
	s_delay_alu instid0(VALU_DEP_1) | instskip(NEXT) | instid1(VALU_DEP_1)
	v_min_u32_e32 v8, 32, v8
	v_subrev_nc_u32_e32 v10, 28, v8
	v_sub_nc_u32_e32 v8, 29, v8
	s_delay_alu instid0(VALU_DEP_2) | instskip(SKIP_1) | instid1(VALU_DEP_2)
	v_lshlrev_b32_e32 v10, v10, v6
	v_bfe_u32 v6, v6, 3, 4
	v_and_b32_e32 v10, 7, v10
	s_delay_alu instid0(VALU_DEP_2) | instskip(NEXT) | instid1(VALU_DEP_2)
	v_cmp_eq_u32_e32 vcc_lo, 0, v6
	v_dual_cndmask_b32 v6, v6, v8 :: v_dual_cndmask_b32 v7, v7, v10
	s_delay_alu instid0(VALU_DEP_1) | instskip(NEXT) | instid1(VALU_DEP_2)
	v_lshl_add_u32 v6, v6, 23, 0x3b800000
	v_lshlrev_b32_e32 v7, 20, v7
	s_delay_alu instid0(VALU_DEP_1) | instskip(NEXT) | instid1(VALU_DEP_1)
	v_and_or_b32 v6, 0x7f800000, v6, v7
	v_cmp_ne_u32_e32 vcc_lo, 0, v6
	s_and_b32 s49, vcc_lo, exec_lo
	s_delay_alu instid0(SALU_CYCLE_1)
	s_or_b32 s49, s2, s49
.LBB119_966:
	s_or_b32 exec_lo, exec_lo, s50
.LBB119_967:
	s_mov_b32 s2, -1
.LBB119_968:
	s_mov_b32 s50, 0
.LBB119_969:
	s_delay_alu instid0(SALU_CYCLE_1)
	s_and_b32 vcc_lo, exec_lo, s50
	s_cbranch_vccz .LBB119_1004
; %bb.970:
	v_cmp_lt_i16_e32 vcc_lo, 22, v5
	s_cbranch_vccz .LBB119_980
; %bb.971:
	v_cmp_gt_i16_e32 vcc_lo, 24, v5
	s_cbranch_vccnz .LBB119_983
; %bb.972:
	v_cmp_lt_i16_e32 vcc_lo, 24, v5
	s_cbranch_vccz .LBB119_984
; %bb.973:
	global_load_u8 v6, v[3:4], off
	s_mov_b32 s2, 0
	s_mov_b32 s50, exec_lo
                                        ; implicit-def: $sgpr49
	s_waitcnt vmcnt(0)
	v_cmpx_lt_i16_e32 0x7f, v6
	s_xor_b32 s50, exec_lo, s50
	s_cbranch_execz .LBB119_996
; %bb.974:
	s_mov_b32 s2, -1
	s_mov_b32 s51, exec_lo
                                        ; implicit-def: $sgpr49
	v_cmpx_eq_u16_e32 0x80, v6
; %bb.975:
	s_mov_b32 s49, -1
	s_xor_b32 s2, exec_lo, -1
; %bb.976:
	s_or_b32 exec_lo, exec_lo, s51
	s_delay_alu instid0(SALU_CYCLE_1)
	s_and_b32 s2, s2, exec_lo
	s_and_not1_saveexec_b32 s50, s50
	s_cbranch_execnz .LBB119_997
.LBB119_977:
	s_or_b32 exec_lo, exec_lo, s50
	s_and_saveexec_b32 s50, s2
	s_cbranch_execz .LBB119_979
.LBB119_978:
	v_and_b32_e32 v6, 0xffff, v6
	s_and_not1_b32 s2, s49, exec_lo
	s_delay_alu instid0(VALU_DEP_1) | instskip(NEXT) | instid1(VALU_DEP_1)
	v_and_b32_e32 v7, 3, v6
	v_clz_i32_u32_e32 v8, v7
	s_delay_alu instid0(VALU_DEP_1) | instskip(NEXT) | instid1(VALU_DEP_1)
	v_min_u32_e32 v8, 32, v8
	v_subrev_nc_u32_e32 v10, 29, v8
	v_sub_nc_u32_e32 v8, 30, v8
	s_delay_alu instid0(VALU_DEP_2) | instskip(SKIP_1) | instid1(VALU_DEP_2)
	v_lshlrev_b32_e32 v10, v10, v6
	v_bfe_u32 v6, v6, 2, 5
	v_and_b32_e32 v10, 3, v10
	s_delay_alu instid0(VALU_DEP_2) | instskip(NEXT) | instid1(VALU_DEP_2)
	v_cmp_eq_u32_e32 vcc_lo, 0, v6
	v_dual_cndmask_b32 v6, v6, v8 :: v_dual_cndmask_b32 v7, v7, v10
	s_delay_alu instid0(VALU_DEP_1) | instskip(NEXT) | instid1(VALU_DEP_2)
	v_lshl_add_u32 v6, v6, 23, 0x37800000
	v_lshlrev_b32_e32 v7, 21, v7
	s_delay_alu instid0(VALU_DEP_1) | instskip(NEXT) | instid1(VALU_DEP_1)
	v_and_or_b32 v6, 0x7f800000, v6, v7
	v_cmp_ne_u32_e32 vcc_lo, 0, v6
	s_and_b32 s49, vcc_lo, exec_lo
	s_delay_alu instid0(SALU_CYCLE_1)
	s_or_b32 s49, s2, s49
.LBB119_979:
	s_or_b32 exec_lo, exec_lo, s50
	s_mov_b32 s2, 0
	s_branch .LBB119_985
.LBB119_980:
	s_mov_b32 s50, -1
                                        ; implicit-def: $sgpr49
	s_branch .LBB119_991
.LBB119_981:
	s_and_not1_saveexec_b32 s50, s50
	s_cbranch_execz .LBB119_964
.LBB119_982:
	v_cmp_ne_u16_e32 vcc_lo, 0, v6
	s_and_not1_b32 s2, s2, exec_lo
	s_and_not1_b32 s49, s49, exec_lo
	s_and_b32 s51, vcc_lo, exec_lo
	s_delay_alu instid0(SALU_CYCLE_1)
	s_or_b32 s2, s2, s51
	s_or_b32 exec_lo, exec_lo, s50
	s_and_saveexec_b32 s50, s2
	s_cbranch_execnz .LBB119_965
	s_branch .LBB119_966
.LBB119_983:
	s_mov_b32 s2, -1
                                        ; implicit-def: $sgpr49
	s_branch .LBB119_988
.LBB119_984:
	s_mov_b32 s2, -1
                                        ; implicit-def: $sgpr49
.LBB119_985:
	s_delay_alu instid0(SALU_CYCLE_1)
	s_and_b32 vcc_lo, exec_lo, s2
	s_cbranch_vccz .LBB119_987
; %bb.986:
	global_load_u8 v6, v[3:4], off
	s_and_not1_b32 s49, s49, exec_lo
	s_waitcnt vmcnt(0)
	v_lshlrev_b32_e32 v6, 24, v6
	s_delay_alu instid0(VALU_DEP_1) | instskip(NEXT) | instid1(VALU_DEP_1)
	v_and_b32_e32 v6, 0x7f000000, v6
	v_clz_i32_u32_e32 v7, v6
	v_add_nc_u32_e32 v10, 0x1000000, v6
	v_cmp_ne_u32_e32 vcc_lo, 0, v6
	s_delay_alu instid0(VALU_DEP_3) | instskip(NEXT) | instid1(VALU_DEP_3)
	v_min_u32_e32 v7, 32, v7
	v_ashrrev_i32_e32 v10, 8, v10
	s_delay_alu instid0(VALU_DEP_2) | instskip(NEXT) | instid1(VALU_DEP_1)
	v_sub_nc_u32_e64 v7, v7, 4 clamp
	v_lshlrev_b32_e32 v8, v7, v6
	v_lshlrev_b32_e32 v7, 23, v7
	s_delay_alu instid0(VALU_DEP_2) | instskip(NEXT) | instid1(VALU_DEP_1)
	v_lshrrev_b32_e32 v8, 4, v8
	v_sub_nc_u32_e32 v7, v8, v7
	v_and_b32_e32 v8, 0x7f800000, v10
	s_delay_alu instid0(VALU_DEP_2) | instskip(NEXT) | instid1(VALU_DEP_1)
	v_add_nc_u32_e32 v7, 0x3c000000, v7
	v_and_or_b32 v7, 0x7ff00000, v7, v8
	s_delay_alu instid0(VALU_DEP_1) | instskip(NEXT) | instid1(VALU_DEP_1)
	v_cmp_ne_u32_e64 s2, 0, v7
	s_and_b32 s2, vcc_lo, s2
	s_delay_alu instid0(SALU_CYCLE_1) | instskip(NEXT) | instid1(SALU_CYCLE_1)
	s_and_b32 s2, s2, exec_lo
	s_or_b32 s49, s49, s2
.LBB119_987:
	s_mov_b32 s2, 0
.LBB119_988:
	s_delay_alu instid0(SALU_CYCLE_1)
	s_and_not1_b32 vcc_lo, exec_lo, s2
	s_cbranch_vccnz .LBB119_990
; %bb.989:
	global_load_u8 v6, v[3:4], off
	s_and_not1_b32 s2, s49, exec_lo
	s_waitcnt vmcnt(0)
	v_lshlrev_b32_e32 v7, 25, v6
	v_lshlrev_b32_e32 v6, 8, v6
	s_delay_alu instid0(VALU_DEP_2) | instskip(NEXT) | instid1(VALU_DEP_2)
	v_lshrrev_b32_e32 v8, 4, v7
	v_and_or_b32 v6, 0x7f00, v6, 0.5
	s_delay_alu instid0(VALU_DEP_2) | instskip(NEXT) | instid1(VALU_DEP_2)
	v_or_b32_e32 v8, 0x70000000, v8
	v_add_f32_e32 v6, -0.5, v6
	s_delay_alu instid0(VALU_DEP_2) | instskip(SKIP_1) | instid1(VALU_DEP_2)
	v_mul_f32_e32 v8, 0x7800000, v8
	v_cmp_gt_u32_e32 vcc_lo, 0x8000000, v7
	v_cndmask_b32_e32 v6, v8, v6, vcc_lo
	s_delay_alu instid0(VALU_DEP_1) | instskip(SKIP_1) | instid1(SALU_CYCLE_1)
	v_cmp_neq_f32_e32 vcc_lo, 0, v6
	s_and_b32 s49, vcc_lo, exec_lo
	s_or_b32 s49, s2, s49
.LBB119_990:
	s_mov_b32 s50, 0
	s_mov_b32 s2, -1
.LBB119_991:
	s_and_not1_b32 vcc_lo, exec_lo, s50
	s_cbranch_vccnz .LBB119_1004
; %bb.992:
	v_cmp_lt_i16_e32 vcc_lo, 14, v5
	s_cbranch_vccz .LBB119_995
; %bb.993:
	v_cmp_eq_u16_e32 vcc_lo, 15, v5
	s_cbranch_vccz .LBB119_998
; %bb.994:
	global_load_u16 v6, v[3:4], off
	s_mov_b32 s3, 0
	s_mov_b32 s2, -1
	s_waitcnt vmcnt(0)
	v_and_b32_e32 v6, 0x7fff, v6
	s_delay_alu instid0(VALU_DEP_1)
	v_cmp_ne_u16_e32 vcc_lo, 0, v6
	s_and_b32 s49, vcc_lo, exec_lo
	s_branch .LBB119_999
.LBB119_995:
	s_mov_b32 s50, -1
                                        ; implicit-def: $sgpr49
	s_branch .LBB119_1000
.LBB119_996:
	s_and_not1_saveexec_b32 s50, s50
	s_cbranch_execz .LBB119_977
.LBB119_997:
	v_cmp_ne_u16_e32 vcc_lo, 0, v6
	s_and_not1_b32 s2, s2, exec_lo
	s_and_not1_b32 s49, s49, exec_lo
	s_and_b32 s51, vcc_lo, exec_lo
	s_delay_alu instid0(SALU_CYCLE_1)
	s_or_b32 s2, s2, s51
	s_or_b32 exec_lo, exec_lo, s50
	s_and_saveexec_b32 s50, s2
	s_cbranch_execnz .LBB119_978
	s_branch .LBB119_979
.LBB119_998:
	s_mov_b32 s3, -1
                                        ; implicit-def: $sgpr49
.LBB119_999:
	s_mov_b32 s50, 0
.LBB119_1000:
	s_delay_alu instid0(SALU_CYCLE_1)
	s_and_b32 vcc_lo, exec_lo, s50
	s_cbranch_vccz .LBB119_1004
; %bb.1001:
	v_cmp_eq_u16_e32 vcc_lo, 11, v5
	s_cbranch_vccz .LBB119_1003
; %bb.1002:
	global_load_u8 v6, v[3:4], off
	s_mov_b32 s3, 0
	s_mov_b32 s2, -1
	s_waitcnt vmcnt(0)
	v_cmp_ne_u16_e32 vcc_lo, 0, v6
	s_and_b32 s49, vcc_lo, exec_lo
	s_branch .LBB119_1004
.LBB119_1003:
	s_mov_b32 s3, -1
                                        ; implicit-def: $sgpr49
.LBB119_1004:
	s_mov_b32 s50, 0
.LBB119_1005:
	s_delay_alu instid0(SALU_CYCLE_1)
	s_and_b32 vcc_lo, exec_lo, s50
	s_cbranch_vccz .LBB119_1054
; %bb.1006:
	v_cmp_gt_i16_e32 vcc_lo, 5, v5
	s_cbranch_vccnz .LBB119_1011
; %bb.1007:
	v_cmp_gt_i16_e32 vcc_lo, 8, v5
	s_cbranch_vccnz .LBB119_1012
	;; [unrolled: 3-line block ×3, first 2 shown]
; %bb.1009:
	v_cmp_lt_i16_e32 vcc_lo, 9, v5
	s_cbranch_vccz .LBB119_1014
; %bb.1010:
	global_load_b128 v[10:13], v[3:4], off
	s_waitcnt vmcnt(0)
	v_cmp_neq_f64_e32 vcc_lo, 0, v[10:11]
	v_cmp_neq_f64_e64 s2, 0, v[12:13]
	s_delay_alu instid0(VALU_DEP_1)
	s_or_b32 s49, vcc_lo, s2
	s_mov_b32 s2, 0
	s_and_b32 s49, s49, exec_lo
	s_branch .LBB119_1015
.LBB119_1011:
	s_mov_b32 s2, -1
                                        ; implicit-def: $sgpr49
	s_branch .LBB119_1033
.LBB119_1012:
	s_mov_b32 s2, -1
                                        ; implicit-def: $sgpr49
	s_branch .LBB119_1021
.LBB119_1013:
	s_mov_b32 s2, -1
                                        ; implicit-def: $sgpr49
	s_branch .LBB119_1018
.LBB119_1014:
	s_mov_b32 s2, -1
                                        ; implicit-def: $sgpr49
.LBB119_1015:
	s_delay_alu instid0(SALU_CYCLE_1)
	s_and_not1_b32 vcc_lo, exec_lo, s2
	s_cbranch_vccnz .LBB119_1017
; %bb.1016:
	global_load_b64 v[6:7], v[3:4], off
	s_and_not1_b32 s2, s49, exec_lo
	s_waitcnt vmcnt(0)
	v_or_b32_e32 v6, v6, v7
	s_delay_alu instid0(VALU_DEP_1) | instskip(NEXT) | instid1(VALU_DEP_1)
	v_and_b32_e32 v6, 0x7fffffff, v6
	v_cmp_ne_u32_e32 vcc_lo, 0, v6
	s_and_b32 s49, vcc_lo, exec_lo
	s_delay_alu instid0(SALU_CYCLE_1)
	s_or_b32 s49, s2, s49
.LBB119_1017:
	s_mov_b32 s2, 0
.LBB119_1018:
	s_delay_alu instid0(SALU_CYCLE_1)
	s_and_not1_b32 vcc_lo, exec_lo, s2
	s_cbranch_vccnz .LBB119_1020
; %bb.1019:
	global_load_b32 v6, v[3:4], off
	s_and_not1_b32 s2, s49, exec_lo
	s_waitcnt vmcnt(0)
	v_and_b32_e32 v6, 0x7fff7fff, v6
	s_delay_alu instid0(VALU_DEP_1) | instskip(SKIP_1) | instid1(SALU_CYCLE_1)
	v_cmp_ne_u32_e32 vcc_lo, 0, v6
	s_and_b32 s49, vcc_lo, exec_lo
	s_or_b32 s49, s2, s49
.LBB119_1020:
	s_mov_b32 s2, 0
.LBB119_1021:
	s_delay_alu instid0(SALU_CYCLE_1)
	s_and_not1_b32 vcc_lo, exec_lo, s2
	s_cbranch_vccnz .LBB119_1032
; %bb.1022:
	v_cmp_gt_i16_e32 vcc_lo, 6, v5
	s_cbranch_vccnz .LBB119_1025
; %bb.1023:
	v_cmp_lt_i16_e32 vcc_lo, 6, v5
	s_cbranch_vccz .LBB119_1026
; %bb.1024:
	global_load_b64 v[6:7], v[3:4], off
	s_mov_b32 s2, 0
	s_waitcnt vmcnt(0)
	v_cmp_neq_f64_e32 vcc_lo, 0, v[6:7]
	s_and_b32 s49, vcc_lo, exec_lo
	s_branch .LBB119_1027
.LBB119_1025:
	s_mov_b32 s2, -1
                                        ; implicit-def: $sgpr49
	s_branch .LBB119_1030
.LBB119_1026:
	s_mov_b32 s2, -1
                                        ; implicit-def: $sgpr49
.LBB119_1027:
	s_delay_alu instid0(SALU_CYCLE_1)
	s_and_not1_b32 vcc_lo, exec_lo, s2
	s_cbranch_vccnz .LBB119_1029
; %bb.1028:
	global_load_b32 v6, v[3:4], off
	s_and_not1_b32 s2, s49, exec_lo
	s_waitcnt vmcnt(0)
	v_cmp_neq_f32_e32 vcc_lo, 0, v6
	s_and_b32 s49, vcc_lo, exec_lo
	s_delay_alu instid0(SALU_CYCLE_1)
	s_or_b32 s49, s2, s49
.LBB119_1029:
	s_mov_b32 s2, 0
.LBB119_1030:
	s_delay_alu instid0(SALU_CYCLE_1)
	s_and_not1_b32 vcc_lo, exec_lo, s2
	s_cbranch_vccnz .LBB119_1032
; %bb.1031:
	global_load_u16 v6, v[3:4], off
	s_and_not1_b32 s2, s49, exec_lo
	s_waitcnt vmcnt(0)
	v_and_b32_e32 v6, 0x7fff, v6
	s_delay_alu instid0(VALU_DEP_1) | instskip(SKIP_1) | instid1(SALU_CYCLE_1)
	v_cmp_ne_u16_e32 vcc_lo, 0, v6
	s_and_b32 s49, vcc_lo, exec_lo
	s_or_b32 s49, s2, s49
.LBB119_1032:
	s_mov_b32 s2, 0
.LBB119_1033:
	s_delay_alu instid0(SALU_CYCLE_1)
	s_and_not1_b32 vcc_lo, exec_lo, s2
	s_cbranch_vccnz .LBB119_1053
; %bb.1034:
	v_cmp_gt_i16_e32 vcc_lo, 2, v5
	s_cbranch_vccnz .LBB119_1038
; %bb.1035:
	v_cmp_gt_i16_e32 vcc_lo, 3, v5
	s_cbranch_vccnz .LBB119_1039
; %bb.1036:
	v_cmp_lt_i16_e32 vcc_lo, 3, v5
	s_cbranch_vccz .LBB119_1040
; %bb.1037:
	global_load_b64 v[6:7], v[3:4], off
	s_mov_b32 s2, 0
	s_waitcnt vmcnt(0)
	v_cmp_ne_u64_e32 vcc_lo, 0, v[6:7]
	s_and_b32 s49, vcc_lo, exec_lo
	s_branch .LBB119_1041
.LBB119_1038:
	s_mov_b32 s2, -1
                                        ; implicit-def: $sgpr49
	s_branch .LBB119_1047
.LBB119_1039:
	s_mov_b32 s2, -1
                                        ; implicit-def: $sgpr49
	s_branch .LBB119_1044
.LBB119_1040:
	s_mov_b32 s2, -1
                                        ; implicit-def: $sgpr49
.LBB119_1041:
	s_delay_alu instid0(SALU_CYCLE_1)
	s_and_not1_b32 vcc_lo, exec_lo, s2
	s_cbranch_vccnz .LBB119_1043
; %bb.1042:
	global_load_b32 v6, v[3:4], off
	s_and_not1_b32 s2, s49, exec_lo
	s_waitcnt vmcnt(0)
	v_cmp_ne_u32_e32 vcc_lo, 0, v6
	s_and_b32 s49, vcc_lo, exec_lo
	s_delay_alu instid0(SALU_CYCLE_1)
	s_or_b32 s49, s2, s49
.LBB119_1043:
	s_mov_b32 s2, 0
.LBB119_1044:
	s_delay_alu instid0(SALU_CYCLE_1)
	s_and_not1_b32 vcc_lo, exec_lo, s2
	s_cbranch_vccnz .LBB119_1046
; %bb.1045:
	global_load_u16 v6, v[3:4], off
	s_and_not1_b32 s2, s49, exec_lo
	s_waitcnt vmcnt(0)
	v_cmp_ne_u16_e32 vcc_lo, 0, v6
	s_and_b32 s49, vcc_lo, exec_lo
	s_delay_alu instid0(SALU_CYCLE_1)
	s_or_b32 s49, s2, s49
.LBB119_1046:
	s_mov_b32 s2, 0
.LBB119_1047:
	s_delay_alu instid0(SALU_CYCLE_1)
	s_and_not1_b32 vcc_lo, exec_lo, s2
	s_cbranch_vccnz .LBB119_1053
; %bb.1048:
	v_cmp_lt_i16_e32 vcc_lo, 0, v5
	s_mov_b32 s2, 0
	s_cbranch_vccz .LBB119_1050
; %bb.1049:
	global_load_u8 v5, v[3:4], off
	s_waitcnt vmcnt(0)
	v_cmp_ne_u16_e32 vcc_lo, 0, v5
	s_and_b32 s49, vcc_lo, exec_lo
	s_branch .LBB119_1051
.LBB119_1050:
	s_mov_b32 s2, -1
                                        ; implicit-def: $sgpr49
.LBB119_1051:
	s_delay_alu instid0(SALU_CYCLE_1)
	s_and_not1_b32 vcc_lo, exec_lo, s2
	s_cbranch_vccnz .LBB119_1053
; %bb.1052:
	global_load_u8 v3, v[3:4], off
	s_and_not1_b32 s2, s49, exec_lo
	s_waitcnt vmcnt(0)
	v_cmp_ne_u16_e32 vcc_lo, 0, v3
	s_and_b32 s49, vcc_lo, exec_lo
	s_delay_alu instid0(SALU_CYCLE_1)
	s_or_b32 s49, s2, s49
.LBB119_1053:
	s_mov_b32 s2, -1
.LBB119_1054:
	s_delay_alu instid0(SALU_CYCLE_1)
	s_and_not1_b32 vcc_lo, exec_lo, s2
	s_cbranch_vccnz .LBB119_1062
; %bb.1055:
	v_cndmask_b32_e64 v3, 0, 1, s49
	v_and_b32_e64 v6, 0xff, s31
	s_mov_b32 s3, 0
	s_mov_b32 s49, -1
	s_delay_alu instid0(VALU_DEP_2) | instskip(NEXT) | instid1(VALU_DEP_2)
	v_cvt_f64_u32_e32 v[3:4], v3
	v_cmp_gt_i16_e32 vcc_lo, 11, v6
	s_and_b32 vcc_lo, exec_lo, vcc_lo
	s_waitcnt vmcnt(0)
	s_delay_alu instid0(VALU_DEP_2) | instskip(SKIP_1) | instid1(VALU_DEP_1)
	v_mul_f64 v[0:1], v[0:1], v[3:4]
	v_add_co_u32 v4, s2, s4, v2
	v_add_co_ci_u32_e64 v5, null, s5, 0, s2
	s_mov_b32 s2, s44
	s_delay_alu instid0(VALU_DEP_3)
	v_mul_f64 v[0:1], s[10:11], v[0:1]
	s_cbranch_vccnz .LBB119_1063
; %bb.1056:
	v_cmp_lt_i16_e32 vcc_lo, 25, v6
	s_cbranch_vccz .LBB119_1126
; %bb.1057:
	v_cmp_lt_i16_e32 vcc_lo, 28, v6
	s_cbranch_vccz .LBB119_1128
	;; [unrolled: 3-line block ×4, first 2 shown]
; %bb.1060:
	v_cmp_eq_u16_e32 vcc_lo, 46, v6
	s_mov_b32 s49, 0
	s_mov_b32 s2, -1
	s_cbranch_vccz .LBB119_1133
; %bb.1061:
	v_cvt_f32_f64_e32 v2, v[0:1]
	s_mov_b32 s3, -1
	s_mov_b32 s2, 0
	s_delay_alu instid0(VALU_DEP_1) | instskip(SKIP_1) | instid1(VALU_DEP_2)
	v_bfe_u32 v3, v2, 16, 1
	v_cmp_o_f32_e32 vcc_lo, v2, v2
	v_add3_u32 v3, v2, v3, 0x7fff
	s_delay_alu instid0(VALU_DEP_1) | instskip(NEXT) | instid1(VALU_DEP_1)
	v_lshrrev_b32_e32 v3, 16, v3
	v_cndmask_b32_e32 v2, 0x7fc0, v3, vcc_lo
	global_store_b32 v[4:5], v2, off
	s_branch .LBB119_1133
.LBB119_1062:
	s_mov_b32 s51, 0
	s_mov_b32 s2, s44
	s_branch .LBB119_1103
.LBB119_1063:
	s_and_b32 vcc_lo, exec_lo, s49
	s_cbranch_vccz .LBB119_1202
; %bb.1064:
	v_cmp_gt_i16_e32 vcc_lo, 5, v6
	s_mov_b32 s3, -1
	s_cbranch_vccnz .LBB119_1085
; %bb.1065:
	v_cmp_gt_i16_e32 vcc_lo, 8, v6
	s_cbranch_vccnz .LBB119_1075
; %bb.1066:
	v_cmp_gt_i16_e32 vcc_lo, 9, v6
	s_cbranch_vccnz .LBB119_1072
; %bb.1067:
	v_cmp_lt_i16_e32 vcc_lo, 9, v6
	s_cbranch_vccz .LBB119_1069
; %bb.1068:
	v_mov_b32_e32 v2, 0
	s_mov_b32 s3, 0
	s_delay_alu instid0(VALU_DEP_1)
	v_mov_b32_e32 v3, v2
	global_store_b128 v[4:5], v[0:3], off
.LBB119_1069:
	s_and_not1_b32 vcc_lo, exec_lo, s3
	s_cbranch_vccnz .LBB119_1071
; %bb.1070:
	v_cvt_f32_f64_e32 v2, v[0:1]
	v_mov_b32_e32 v3, 0
	global_store_b64 v[4:5], v[2:3], off
.LBB119_1071:
	s_mov_b32 s3, 0
.LBB119_1072:
	s_delay_alu instid0(SALU_CYCLE_1)
	s_and_not1_b32 vcc_lo, exec_lo, s3
	s_cbranch_vccnz .LBB119_1074
; %bb.1073:
	s_delay_alu instid0(VALU_DEP_4) | instskip(NEXT) | instid1(VALU_DEP_1)
	v_cvt_f32_f64_e32 v2, v[0:1]
	v_cvt_f16_f32_e32 v2, v2
	s_delay_alu instid0(VALU_DEP_1)
	v_and_b32_e32 v2, 0xffff, v2
	global_store_b32 v[4:5], v2, off
.LBB119_1074:
	s_mov_b32 s3, 0
.LBB119_1075:
	s_delay_alu instid0(SALU_CYCLE_1)
	s_and_not1_b32 vcc_lo, exec_lo, s3
	s_cbranch_vccnz .LBB119_1084
; %bb.1076:
	v_cmp_gt_i16_e32 vcc_lo, 6, v6
	s_mov_b32 s3, -1
	s_cbranch_vccnz .LBB119_1082
; %bb.1077:
	v_cmp_lt_i16_e32 vcc_lo, 6, v6
	s_cbranch_vccz .LBB119_1079
; %bb.1078:
	s_mov_b32 s3, 0
	global_store_b64 v[4:5], v[0:1], off
.LBB119_1079:
	s_and_not1_b32 vcc_lo, exec_lo, s3
	s_cbranch_vccnz .LBB119_1081
; %bb.1080:
	v_cvt_f32_f64_e32 v2, v[0:1]
	global_store_b32 v[4:5], v2, off
.LBB119_1081:
	s_mov_b32 s3, 0
.LBB119_1082:
	s_delay_alu instid0(SALU_CYCLE_1)
	s_and_not1_b32 vcc_lo, exec_lo, s3
	s_cbranch_vccnz .LBB119_1084
; %bb.1083:
	s_delay_alu instid0(VALU_DEP_4) | instskip(NEXT) | instid1(VALU_DEP_1)
	v_cvt_f32_f64_e32 v2, v[0:1]
	v_cvt_f16_f32_e32 v2, v2
	global_store_b16 v[4:5], v2, off
.LBB119_1084:
	s_mov_b32 s3, 0
.LBB119_1085:
	s_delay_alu instid0(SALU_CYCLE_1)
	s_and_not1_b32 vcc_lo, exec_lo, s3
	s_cbranch_vccnz .LBB119_1101
; %bb.1086:
	v_cmp_gt_i16_e32 vcc_lo, 2, v6
	s_mov_b32 s3, -1
	s_cbranch_vccnz .LBB119_1096
; %bb.1087:
	v_cmp_gt_i16_e32 vcc_lo, 3, v6
	s_cbranch_vccnz .LBB119_1093
; %bb.1088:
	v_cmp_lt_i16_e32 vcc_lo, 3, v6
	s_cbranch_vccz .LBB119_1090
; %bb.1089:
	v_trunc_f64_e32 v[2:3], v[0:1]
	s_mov_b32 s3, 0
	s_delay_alu instid0(VALU_DEP_1) | instskip(NEXT) | instid1(VALU_DEP_1)
	v_ldexp_f64 v[7:8], v[2:3], 0xffffffe0
	v_floor_f64_e32 v[7:8], v[7:8]
	s_delay_alu instid0(VALU_DEP_1) | instskip(SKIP_1) | instid1(VALU_DEP_2)
	v_fma_f64 v[2:3], 0xc1f00000, v[7:8], v[2:3]
	v_cvt_i32_f64_e32 v8, v[7:8]
	v_cvt_u32_f64_e32 v7, v[2:3]
	global_store_b64 v[4:5], v[7:8], off
.LBB119_1090:
	s_and_not1_b32 vcc_lo, exec_lo, s3
	s_cbranch_vccnz .LBB119_1092
; %bb.1091:
	v_cvt_i32_f64_e32 v2, v[0:1]
	global_store_b32 v[4:5], v2, off
.LBB119_1092:
	s_mov_b32 s3, 0
.LBB119_1093:
	s_delay_alu instid0(SALU_CYCLE_1)
	s_and_not1_b32 vcc_lo, exec_lo, s3
	s_cbranch_vccnz .LBB119_1095
; %bb.1094:
	s_delay_alu instid0(VALU_DEP_4)
	v_cvt_i32_f64_e32 v2, v[0:1]
	global_store_b16 v[4:5], v2, off
.LBB119_1095:
	s_mov_b32 s3, 0
.LBB119_1096:
	s_delay_alu instid0(SALU_CYCLE_1)
	s_and_not1_b32 vcc_lo, exec_lo, s3
	s_cbranch_vccnz .LBB119_1101
; %bb.1097:
	v_cmp_lt_i16_e32 vcc_lo, 0, v6
	s_mov_b32 s3, -1
	s_cbranch_vccz .LBB119_1099
; %bb.1098:
	s_delay_alu instid0(VALU_DEP_4)
	v_cvt_i32_f64_e32 v2, v[0:1]
	s_mov_b32 s3, 0
	global_store_b8 v[4:5], v2, off
.LBB119_1099:
	s_and_not1_b32 vcc_lo, exec_lo, s3
	s_cbranch_vccnz .LBB119_1101
; %bb.1100:
	s_delay_alu instid0(VALU_DEP_4) | instskip(NEXT) | instid1(VALU_DEP_1)
	v_trunc_f64_e32 v[0:1], v[0:1]
	v_ldexp_f64 v[2:3], v[0:1], 0xffffffe0
	s_delay_alu instid0(VALU_DEP_1) | instskip(NEXT) | instid1(VALU_DEP_1)
	v_floor_f64_e32 v[2:3], v[2:3]
	v_fma_f64 v[0:1], 0xc1f00000, v[2:3], v[0:1]
	s_delay_alu instid0(VALU_DEP_1)
	v_cvt_u32_f64_e32 v0, v[0:1]
	global_store_b8 v[4:5], v0, off
.LBB119_1101:
	s_mov_b32 s3, 0
	s_branch .LBB119_1203
.LBB119_1102:
	s_mov_b32 s51, 0
.LBB119_1103:
                                        ; implicit-def: $vgpr9
.LBB119_1104:
	s_and_not1_b32 s49, s44, exec_lo
	s_and_b32 s2, s2, exec_lo
	s_and_b32 s3, s3, exec_lo
	s_or_b32 s49, s49, s2
	s_and_not1_b32 s2, s45, exec_lo
	s_and_not1_b32 s52, s43, exec_lo
	s_and_b32 s48, s48, exec_lo
	s_or_b32 s50, s2, s3
	s_or_b32 s48, s52, s48
	s_or_not1_b32 s52, s51, exec_lo
.LBB119_1105:
	s_or_b32 exec_lo, exec_lo, s47
	s_mov_b32 s3, 0
	s_mov_b32 s51, 0
	;; [unrolled: 1-line block ×3, first 2 shown]
                                        ; implicit-def: $vgpr7
                                        ; implicit-def: $vgpr5_vgpr6
                                        ; implicit-def: $vgpr2
                                        ; implicit-def: $vgpr0
                                        ; implicit-def: $vgpr3_vgpr4
	s_and_saveexec_b32 s47, s52
	s_cbranch_execz .LBB119_1273
; %bb.1106:
	v_cmp_gt_i32_e32 vcc_lo, s37, v9
	s_mov_b32 s52, s48
                                        ; implicit-def: $vgpr7
                                        ; implicit-def: $vgpr5_vgpr6
                                        ; implicit-def: $vgpr2
                                        ; implicit-def: $vgpr0
                                        ; implicit-def: $vgpr3_vgpr4
	s_and_saveexec_b32 s37, vcc_lo
	s_cbranch_execz .LBB119_1272
; %bb.1107:
	s_and_not1_b32 vcc_lo, exec_lo, s29
	s_cbranch_vccnz .LBB119_1113
; %bb.1108:
	s_waitcnt vmcnt(0)
	v_dual_mov_b32 v2, 0 :: v_dual_mov_b32 v1, 0
	v_mov_b32_e32 v0, 0
	s_and_not1_b32 vcc_lo, exec_lo, s38
	s_mov_b32 s38, 0
	s_cbranch_vccnz .LBB119_1114
; %bb.1109:
	s_add_i32 s2, s36, 1
	v_dual_mov_b32 v0, 0 :: v_dual_mov_b32 v1, 0
	v_dual_mov_b32 v2, 0 :: v_dual_mov_b32 v3, v9
	s_and_b32 s51, s2, 30
	s_add_u32 s2, s20, 0xffffffec
	s_addc_u32 s3, s21, -1
	s_set_inst_prefetch_distance 0x1
	.p2align	6
.LBB119_1110:                           ; =>This Inner Loop Header: Depth=1
	s_clause 0x2
	s_load_b128 s[52:55], s[2:3], 0x18
	s_load_b64 s[60:61], s[2:3], 0x28
	s_load_b128 s[56:59], s[2:3], 0xd8
	s_waitcnt lgkmcnt(0)
	v_mul_hi_u32 v4, s53, v3
	s_delay_alu instid0(VALU_DEP_1) | instskip(NEXT) | instid1(VALU_DEP_1)
	v_add_nc_u32_e32 v4, v3, v4
	v_lshrrev_b32_e32 v4, s54, v4
	s_delay_alu instid0(VALU_DEP_1)
	v_mul_hi_u32 v5, s60, v4
	v_mul_lo_u32 v6, v4, s52
	s_load_b64 s[52:53], s[2:3], 0xe8
	s_add_u32 s2, s2, 24
	s_addc_u32 s3, s3, 0
	s_add_i32 s51, s51, -2
	s_delay_alu instid0(SALU_CYCLE_1) | instskip(NEXT) | instid1(VALU_DEP_2)
	s_cmp_eq_u32 s51, 0
	v_add_nc_u32_e32 v5, v4, v5
	s_delay_alu instid0(VALU_DEP_2) | instskip(NEXT) | instid1(VALU_DEP_2)
	v_sub_nc_u32_e32 v6, v3, v6
	v_lshrrev_b32_e32 v3, s61, v5
	s_delay_alu instid0(VALU_DEP_2) | instskip(NEXT) | instid1(VALU_DEP_2)
	v_mul_lo_u32 v7, v6, s56
	v_mul_lo_u32 v5, v3, s55
	s_delay_alu instid0(VALU_DEP_1) | instskip(SKIP_2) | instid1(VALU_DEP_3)
	v_sub_nc_u32_e32 v4, v4, v5
	v_mul_lo_u32 v5, v6, s57
	v_mul_lo_u32 v6, v6, s58
	v_mul_lo_u32 v8, v4, s59
	s_waitcnt lgkmcnt(0)
	v_mul_lo_u32 v10, v4, s52
	v_mul_lo_u32 v4, v4, s53
	s_delay_alu instid0(VALU_DEP_3) | instskip(NEXT) | instid1(VALU_DEP_3)
	v_add3_u32 v2, v7, v2, v8
	v_add3_u32 v1, v5, v1, v10
	s_delay_alu instid0(VALU_DEP_3)
	v_add3_u32 v0, v6, v0, v4
	s_cbranch_scc0 .LBB119_1110
; %bb.1111:
	s_set_inst_prefetch_distance 0x2
	s_bitcmp1_b32 s36, 0
	s_cselect_b32 s36, -1, 0
	s_delay_alu instid0(SALU_CYCLE_1)
	s_and_b32 vcc_lo, exec_lo, s36
	s_cbranch_vccnz .LBB119_1114
; %bb.1112:
	s_clause 0x3
	s_load_b64 s[52:53], s[2:3], 0x18
	s_load_b32 s36, s[2:3], 0x20
	s_load_b64 s[54:55], s[2:3], 0xd8
	s_load_b32 s2, s[2:3], 0xe0
	s_waitcnt lgkmcnt(0)
	v_mul_hi_u32 v4, s53, v3
	s_delay_alu instid0(VALU_DEP_1) | instskip(NEXT) | instid1(VALU_DEP_1)
	v_add_nc_u32_e32 v4, v3, v4
	v_lshrrev_b32_e32 v4, s36, v4
	s_delay_alu instid0(VALU_DEP_1) | instskip(NEXT) | instid1(VALU_DEP_1)
	v_mul_lo_u32 v4, v4, s52
	v_sub_nc_u32_e32 v7, v3, v4
	s_delay_alu instid0(VALU_DEP_1) | instskip(SKIP_2) | instid1(VALU_DEP_2)
	v_mad_u64_u32 v[3:4], null, v7, s54, v[2:3]
	v_mad_u64_u32 v[4:5], null, v7, s55, v[1:2]
	;; [unrolled: 1-line block ×3, first 2 shown]
	v_dual_mov_b32 v2, v3 :: v_dual_mov_b32 v1, v4
	s_delay_alu instid0(VALU_DEP_2)
	v_mov_b32_e32 v0, v5
	s_branch .LBB119_1114
.LBB119_1113:
	s_mov_b32 s38, -1
                                        ; implicit-def: $vgpr2
                                        ; implicit-def: $vgpr1
                                        ; implicit-def: $vgpr0
.LBB119_1114:
	s_delay_alu instid0(SALU_CYCLE_1)
	s_and_not1_b32 vcc_lo, exec_lo, s38
	s_cbranch_vccnz .LBB119_1117
; %bb.1115:
	s_waitcnt vmcnt(0)
	v_mul_hi_u32 v0, s17, v9
	s_and_not1_b32 vcc_lo, exec_lo, s35
	s_delay_alu instid0(VALU_DEP_1) | instskip(NEXT) | instid1(VALU_DEP_1)
	v_add_nc_u32_e32 v0, v9, v0
	v_lshrrev_b32_e32 v3, s18, v0
	s_delay_alu instid0(VALU_DEP_1) | instskip(NEXT) | instid1(VALU_DEP_1)
	v_mul_lo_u32 v0, v3, s16
	v_sub_nc_u32_e32 v0, v9, v0
	s_delay_alu instid0(VALU_DEP_1)
	v_mul_lo_u32 v2, v0, s12
	v_mul_lo_u32 v1, v0, s13
	;; [unrolled: 1-line block ×3, first 2 shown]
	s_cbranch_vccnz .LBB119_1117
; %bb.1116:
	v_mul_hi_u32 v4, s24, v3
	s_delay_alu instid0(VALU_DEP_1) | instskip(NEXT) | instid1(VALU_DEP_1)
	v_add_nc_u32_e32 v4, v3, v4
	v_lshrrev_b32_e32 v4, s25, v4
	s_delay_alu instid0(VALU_DEP_1) | instskip(NEXT) | instid1(VALU_DEP_1)
	v_mul_lo_u32 v4, v4, s19
	v_sub_nc_u32_e32 v7, v3, v4
	s_delay_alu instid0(VALU_DEP_1) | instskip(SKIP_2) | instid1(VALU_DEP_2)
	v_mad_u64_u32 v[3:4], null, v7, s15, v[2:3]
	v_mad_u64_u32 v[4:5], null, v7, s22, v[1:2]
	;; [unrolled: 1-line block ×3, first 2 shown]
	v_dual_mov_b32 v2, v3 :: v_dual_mov_b32 v1, v4
	s_delay_alu instid0(VALU_DEP_2)
	v_mov_b32_e32 v0, v5
.LBB119_1117:
	v_and_b32_e64 v7, 0xff, s34
	s_waitcnt vmcnt(0)
	s_delay_alu instid0(VALU_DEP_3) | instskip(NEXT) | instid1(VALU_DEP_1)
	v_add_co_u32 v5, s2, s6, v1
	v_add_co_ci_u32_e64 v6, null, s7, 0, s2
	s_delay_alu instid0(VALU_DEP_3)
	v_cmp_gt_i16_e32 vcc_lo, 11, v7
	s_mov_b32 s2, 0
	s_cbranch_vccnz .LBB119_1124
; %bb.1118:
	v_cmp_lt_i16_e32 vcc_lo, 25, v7
	s_mov_b32 s7, 0
	s_cbranch_vccz .LBB119_1125
; %bb.1119:
	v_cmp_lt_i16_e32 vcc_lo, 28, v7
	s_cbranch_vccz .LBB119_1127
; %bb.1120:
	v_cmp_lt_i16_e32 vcc_lo, 43, v7
	;; [unrolled: 3-line block ×3, first 2 shown]
	s_cbranch_vccz .LBB119_1131
; %bb.1122:
	v_cmp_eq_u16_e32 vcc_lo, 46, v7
	s_mov_b32 s3, 0
	s_cbranch_vccz .LBB119_1204
; %bb.1123:
	global_load_b32 v1, v[5:6], off
	s_mov_b32 s6, 0
	s_mov_b32 s2, -1
	s_waitcnt vmcnt(0)
	v_lshlrev_b32_e32 v1, 16, v1
	s_delay_alu instid0(VALU_DEP_1)
	v_cvt_f64_f32_e32 v[3:4], v1
	s_branch .LBB119_1206
.LBB119_1124:
	s_mov_b32 s3, -1
	s_mov_b32 s7, 0
	s_mov_b32 s6, s48
                                        ; implicit-def: $vgpr3_vgpr4
	s_branch .LBB119_1271
.LBB119_1125:
	s_mov_b32 s3, -1
	s_mov_b32 s6, s48
                                        ; implicit-def: $vgpr3_vgpr4
	s_branch .LBB119_1239
.LBB119_1126:
	s_mov_b32 s2, s44
	s_branch .LBB119_1160
.LBB119_1127:
	s_mov_b32 s3, -1
	s_mov_b32 s6, s48
                                        ; implicit-def: $vgpr3_vgpr4
	s_branch .LBB119_1218
.LBB119_1128:
	s_mov_b32 s2, s44
	s_branch .LBB119_1143
.LBB119_1129:
	s_mov_b32 s3, -1
	s_mov_b32 s6, s48
                                        ; implicit-def: $vgpr3_vgpr4
	s_branch .LBB119_1213
.LBB119_1130:
	s_mov_b32 s2, s44
	s_branch .LBB119_1139
.LBB119_1131:
	s_mov_b32 s3, -1
	s_mov_b32 s6, s48
	s_branch .LBB119_1205
.LBB119_1132:
	s_mov_b32 s2, s44
.LBB119_1133:
	s_and_b32 vcc_lo, exec_lo, s49
	s_cbranch_vccz .LBB119_1138
; %bb.1134:
	v_cmp_eq_u16_e32 vcc_lo, 44, v6
	s_mov_b32 s2, -1
	s_cbranch_vccz .LBB119_1138
; %bb.1135:
	v_cvt_f32_f64_e32 v2, v[0:1]
	v_mov_b32_e32 v3, 0xff
	s_mov_b32 s3, exec_lo
	s_delay_alu instid0(VALU_DEP_2) | instskip(NEXT) | instid1(VALU_DEP_1)
	v_bfe_u32 v7, v2, 23, 8
	v_cmpx_ne_u32_e32 0xff, v7
; %bb.1136:
	v_and_b32_e32 v3, 0x400000, v2
	v_and_or_b32 v7, 0x3fffff, v2, v7
	v_lshrrev_b32_e32 v2, 23, v2
	s_delay_alu instid0(VALU_DEP_3) | instskip(NEXT) | instid1(VALU_DEP_3)
	v_cmp_ne_u32_e32 vcc_lo, 0, v3
	v_cmp_ne_u32_e64 s2, 0, v7
	s_delay_alu instid0(VALU_DEP_1) | instskip(NEXT) | instid1(SALU_CYCLE_1)
	s_and_b32 s2, vcc_lo, s2
	v_cndmask_b32_e64 v3, 0, 1, s2
	s_delay_alu instid0(VALU_DEP_1)
	v_add_nc_u32_e32 v3, v2, v3
; %bb.1137:
	s_or_b32 exec_lo, exec_lo, s3
	s_mov_b32 s3, -1
	s_mov_b32 s2, 0
	global_store_b8 v[4:5], v3, off
.LBB119_1138:
	s_mov_b32 s49, 0
.LBB119_1139:
	s_delay_alu instid0(SALU_CYCLE_1)
	s_and_b32 vcc_lo, exec_lo, s49
	s_cbranch_vccz .LBB119_1142
; %bb.1140:
	v_cmp_eq_u16_e32 vcc_lo, 29, v6
	s_mov_b32 s2, -1
	s_cbranch_vccz .LBB119_1142
; %bb.1141:
	v_trunc_f64_e32 v[2:3], v[0:1]
	s_mov_b32 s3, -1
	s_mov_b32 s2, 0
	s_mov_b32 s49, 0
	s_delay_alu instid0(VALU_DEP_1) | instskip(NEXT) | instid1(VALU_DEP_1)
	v_ldexp_f64 v[7:8], v[2:3], 0xffffffe0
	v_floor_f64_e32 v[7:8], v[7:8]
	s_delay_alu instid0(VALU_DEP_1) | instskip(SKIP_1) | instid1(VALU_DEP_2)
	v_fma_f64 v[2:3], 0xc1f00000, v[7:8], v[2:3]
	v_cvt_u32_f64_e32 v8, v[7:8]
	v_cvt_u32_f64_e32 v7, v[2:3]
	global_store_b64 v[4:5], v[7:8], off
	s_branch .LBB119_1143
.LBB119_1142:
	s_mov_b32 s49, 0
.LBB119_1143:
	s_delay_alu instid0(SALU_CYCLE_1)
	s_and_b32 vcc_lo, exec_lo, s49
	s_cbranch_vccz .LBB119_1159
; %bb.1144:
	v_cmp_gt_i16_e32 vcc_lo, 27, v6
	s_mov_b32 s3, -1
	s_cbranch_vccnz .LBB119_1150
; %bb.1145:
	s_delay_alu instid0(VALU_DEP_4)
	v_cvt_u32_f64_e32 v2, v[0:1]
	v_cmp_lt_i16_e32 vcc_lo, 27, v6
	s_cbranch_vccz .LBB119_1147
; %bb.1146:
	s_mov_b32 s3, 0
	global_store_b32 v[4:5], v2, off
.LBB119_1147:
	s_and_not1_b32 vcc_lo, exec_lo, s3
	s_cbranch_vccnz .LBB119_1149
; %bb.1148:
	global_store_b16 v[4:5], v2, off
.LBB119_1149:
	s_mov_b32 s3, 0
.LBB119_1150:
	s_delay_alu instid0(SALU_CYCLE_1)
	s_and_not1_b32 vcc_lo, exec_lo, s3
	s_cbranch_vccnz .LBB119_1158
; %bb.1151:
	s_delay_alu instid0(VALU_DEP_4) | instskip(SKIP_2) | instid1(VALU_DEP_2)
	v_cvt_f32_f64_e32 v2, v[0:1]
	v_mov_b32_e32 v7, 0x80
	s_mov_b32 s3, exec_lo
	v_and_b32_e32 v3, 0x7fffffff, v2
	s_delay_alu instid0(VALU_DEP_1)
	v_cmpx_gt_u32_e32 0x43800000, v3
	s_cbranch_execz .LBB119_1157
; %bb.1152:
	v_cmp_lt_u32_e32 vcc_lo, 0x3bffffff, v3
	s_mov_b32 s49, 0
                                        ; implicit-def: $vgpr3
	s_and_saveexec_b32 s50, vcc_lo
	s_delay_alu instid0(SALU_CYCLE_1)
	s_xor_b32 s50, exec_lo, s50
	s_cbranch_execz .LBB119_1209
; %bb.1153:
	v_bfe_u32 v3, v2, 20, 1
	s_mov_b32 s49, exec_lo
	s_delay_alu instid0(VALU_DEP_1) | instskip(NEXT) | instid1(VALU_DEP_1)
	v_add3_u32 v3, v2, v3, 0x487ffff
	v_lshrrev_b32_e32 v3, 20, v3
	s_or_saveexec_b32 s50, s50
                                        ; implicit-def: $sgpr51
	s_delay_alu instid0(SALU_CYCLE_1)
	s_xor_b32 exec_lo, exec_lo, s50
	s_cbranch_execnz .LBB119_1210
.LBB119_1154:
	s_or_b32 exec_lo, exec_lo, s50
	v_mov_b32_e32 v7, s51
	s_and_saveexec_b32 s50, s49
.LBB119_1155:
	v_lshrrev_b32_e32 v2, 24, v2
	s_delay_alu instid0(VALU_DEP_1)
	v_and_or_b32 v7, 0x80, v2, v3
.LBB119_1156:
	s_or_b32 exec_lo, exec_lo, s50
.LBB119_1157:
	s_delay_alu instid0(SALU_CYCLE_1)
	s_or_b32 exec_lo, exec_lo, s3
	global_store_b8 v[4:5], v7, off
.LBB119_1158:
	s_mov_b32 s3, -1
.LBB119_1159:
	s_mov_b32 s49, 0
.LBB119_1160:
	s_delay_alu instid0(SALU_CYCLE_1)
	s_and_b32 vcc_lo, exec_lo, s49
	s_cbranch_vccz .LBB119_1201
; %bb.1161:
	v_cmp_lt_i16_e32 vcc_lo, 22, v6
	s_mov_b32 s49, -1
	s_cbranch_vccz .LBB119_1193
; %bb.1162:
	v_cmp_gt_i16_e32 vcc_lo, 24, v6
	s_mov_b32 s3, -1
	s_cbranch_vccnz .LBB119_1182
; %bb.1163:
	v_cmp_lt_i16_e32 vcc_lo, 24, v6
	s_cbranch_vccz .LBB119_1171
; %bb.1164:
	v_cvt_f32_f64_e32 v2, v[0:1]
	v_mov_b32_e32 v7, 0x80
	s_mov_b32 s3, exec_lo
	s_delay_alu instid0(VALU_DEP_2) | instskip(NEXT) | instid1(VALU_DEP_1)
	v_and_b32_e32 v3, 0x7fffffff, v2
	v_cmpx_gt_u32_e32 0x47800000, v3
	s_cbranch_execz .LBB119_1170
; %bb.1165:
	v_cmp_lt_u32_e32 vcc_lo, 0x37ffffff, v3
	s_mov_b32 s49, 0
                                        ; implicit-def: $vgpr3
	s_and_saveexec_b32 s50, vcc_lo
	s_delay_alu instid0(SALU_CYCLE_1)
	s_xor_b32 s50, exec_lo, s50
	s_cbranch_execz .LBB119_2291
; %bb.1166:
	v_bfe_u32 v3, v2, 21, 1
	s_mov_b32 s49, exec_lo
	s_delay_alu instid0(VALU_DEP_1) | instskip(NEXT) | instid1(VALU_DEP_1)
	v_add3_u32 v3, v2, v3, 0x88fffff
	v_lshrrev_b32_e32 v3, 21, v3
	s_or_saveexec_b32 s50, s50
                                        ; implicit-def: $sgpr51
	s_delay_alu instid0(SALU_CYCLE_1)
	s_xor_b32 exec_lo, exec_lo, s50
	s_cbranch_execnz .LBB119_2292
.LBB119_1167:
	s_or_b32 exec_lo, exec_lo, s50
	v_mov_b32_e32 v7, s51
	s_and_saveexec_b32 s50, s49
.LBB119_1168:
	v_lshrrev_b32_e32 v2, 24, v2
	s_delay_alu instid0(VALU_DEP_1)
	v_and_or_b32 v7, 0x80, v2, v3
.LBB119_1169:
	s_or_b32 exec_lo, exec_lo, s50
.LBB119_1170:
	s_delay_alu instid0(SALU_CYCLE_1)
	s_or_b32 exec_lo, exec_lo, s3
	s_mov_b32 s3, 0
	global_store_b8 v[4:5], v7, off
.LBB119_1171:
	s_and_b32 vcc_lo, exec_lo, s3
	s_cbranch_vccz .LBB119_1181
; %bb.1172:
	v_cvt_f32_f64_e32 v2, v[0:1]
	s_mov_b32 s3, exec_lo
                                        ; implicit-def: $vgpr3
	s_delay_alu instid0(VALU_DEP_1) | instskip(NEXT) | instid1(VALU_DEP_1)
	v_and_b32_e32 v7, 0x7fffffff, v2
	v_cmpx_gt_u32_e32 0x43f00000, v7
	s_xor_b32 s3, exec_lo, s3
	s_cbranch_execz .LBB119_1178
; %bb.1173:
	s_mov_b32 s49, exec_lo
                                        ; implicit-def: $vgpr3
	v_cmpx_lt_u32_e32 0x3c7fffff, v7
	s_xor_b32 s49, exec_lo, s49
; %bb.1174:
	v_bfe_u32 v3, v2, 20, 1
	s_delay_alu instid0(VALU_DEP_1) | instskip(NEXT) | instid1(VALU_DEP_1)
	v_add3_u32 v3, v2, v3, 0x407ffff
	v_and_b32_e32 v7, 0xff00000, v3
	v_lshrrev_b32_e32 v3, 20, v3
	s_delay_alu instid0(VALU_DEP_2) | instskip(NEXT) | instid1(VALU_DEP_2)
	v_cmp_ne_u32_e32 vcc_lo, 0x7f00000, v7
	v_cndmask_b32_e32 v3, 0x7e, v3, vcc_lo
; %bb.1175:
	s_and_not1_saveexec_b32 s49, s49
; %bb.1176:
	v_add_f32_e64 v3, 0x46800000, |v2|
; %bb.1177:
	s_or_b32 exec_lo, exec_lo, s49
                                        ; implicit-def: $vgpr7
.LBB119_1178:
	s_and_not1_saveexec_b32 s3, s3
; %bb.1179:
	v_mov_b32_e32 v3, 0x7f
	v_cmp_lt_u32_e32 vcc_lo, 0x7f800000, v7
	s_delay_alu instid0(VALU_DEP_2)
	v_cndmask_b32_e32 v3, 0x7e, v3, vcc_lo
; %bb.1180:
	s_or_b32 exec_lo, exec_lo, s3
	v_lshrrev_b32_e32 v2, 24, v2
	s_delay_alu instid0(VALU_DEP_1)
	v_and_or_b32 v2, 0x80, v2, v3
	global_store_b8 v[4:5], v2, off
.LBB119_1181:
	s_mov_b32 s3, 0
.LBB119_1182:
	s_delay_alu instid0(SALU_CYCLE_1)
	s_and_not1_b32 vcc_lo, exec_lo, s3
	s_cbranch_vccnz .LBB119_1192
; %bb.1183:
	s_delay_alu instid0(VALU_DEP_4) | instskip(SKIP_1) | instid1(VALU_DEP_1)
	v_cvt_f32_f64_e32 v2, v[0:1]
	s_mov_b32 s3, exec_lo
                                        ; implicit-def: $vgpr3
	v_and_b32_e32 v7, 0x7fffffff, v2
	s_delay_alu instid0(VALU_DEP_1)
	v_cmpx_gt_u32_e32 0x47800000, v7
	s_xor_b32 s3, exec_lo, s3
	s_cbranch_execz .LBB119_1189
; %bb.1184:
	s_mov_b32 s49, exec_lo
                                        ; implicit-def: $vgpr3
	v_cmpx_lt_u32_e32 0x387fffff, v7
	s_xor_b32 s49, exec_lo, s49
; %bb.1185:
	v_bfe_u32 v3, v2, 21, 1
	s_delay_alu instid0(VALU_DEP_1) | instskip(NEXT) | instid1(VALU_DEP_1)
	v_add3_u32 v3, v2, v3, 0x80fffff
	v_lshrrev_b32_e32 v3, 21, v3
; %bb.1186:
	s_and_not1_saveexec_b32 s49, s49
; %bb.1187:
	v_add_f32_e64 v3, 0x43000000, |v2|
; %bb.1188:
	s_or_b32 exec_lo, exec_lo, s49
                                        ; implicit-def: $vgpr7
.LBB119_1189:
	s_and_not1_saveexec_b32 s3, s3
; %bb.1190:
	v_mov_b32_e32 v3, 0x7f
	v_cmp_lt_u32_e32 vcc_lo, 0x7f800000, v7
	s_delay_alu instid0(VALU_DEP_2)
	v_cndmask_b32_e32 v3, 0x7c, v3, vcc_lo
; %bb.1191:
	s_or_b32 exec_lo, exec_lo, s3
	v_lshrrev_b32_e32 v2, 24, v2
	s_delay_alu instid0(VALU_DEP_1)
	v_and_or_b32 v2, 0x80, v2, v3
	global_store_b8 v[4:5], v2, off
.LBB119_1192:
	s_mov_b32 s49, 0
	s_mov_b32 s3, -1
.LBB119_1193:
	s_and_not1_b32 vcc_lo, exec_lo, s49
	s_cbranch_vccnz .LBB119_1201
; %bb.1194:
	v_cmp_lt_i16_e32 vcc_lo, 14, v6
	s_mov_b32 s49, -1
	s_cbranch_vccz .LBB119_1198
; %bb.1195:
	v_cmp_eq_u16_e32 vcc_lo, 15, v6
	s_mov_b32 s2, -1
	s_cbranch_vccz .LBB119_1197
; %bb.1196:
	v_cvt_f32_f64_e32 v2, v[0:1]
	s_mov_b32 s3, -1
	s_mov_b32 s2, 0
	s_delay_alu instid0(VALU_DEP_1) | instskip(SKIP_1) | instid1(VALU_DEP_2)
	v_bfe_u32 v3, v2, 16, 1
	v_cmp_o_f32_e32 vcc_lo, v2, v2
	v_add3_u32 v3, v2, v3, 0x7fff
	s_delay_alu instid0(VALU_DEP_1) | instskip(NEXT) | instid1(VALU_DEP_1)
	v_lshrrev_b32_e32 v3, 16, v3
	v_cndmask_b32_e32 v2, 0x7fc0, v3, vcc_lo
	global_store_b16 v[4:5], v2, off
.LBB119_1197:
	s_mov_b32 s49, 0
.LBB119_1198:
	s_delay_alu instid0(SALU_CYCLE_1)
	s_and_b32 vcc_lo, exec_lo, s49
	s_cbranch_vccz .LBB119_1201
; %bb.1199:
	v_cmp_eq_u16_e32 vcc_lo, 11, v6
	s_mov_b32 s2, -1
	s_cbranch_vccz .LBB119_1201
; %bb.1200:
	v_cmp_neq_f64_e32 vcc_lo, 0, v[0:1]
	s_mov_b32 s3, -1
	s_mov_b32 s2, 0
	v_cndmask_b32_e64 v2, 0, 1, vcc_lo
	global_store_b8 v[4:5], v2, off
.LBB119_1201:
.LBB119_1202:
	s_and_not1_b32 vcc_lo, exec_lo, s3
	s_mov_b32 s3, 0
	s_cbranch_vccnz .LBB119_1102
.LBB119_1203:
	v_add_nc_u32_e32 v9, 0x80, v9
	s_mov_b32 s51, -1
	s_branch .LBB119_1104
.LBB119_1204:
	s_mov_b32 s6, -1
.LBB119_1205:
                                        ; implicit-def: $vgpr3_vgpr4
.LBB119_1206:
	s_and_b32 vcc_lo, exec_lo, s3
	s_cbranch_vccz .LBB119_1212
; %bb.1207:
	v_cmp_eq_u16_e32 vcc_lo, 44, v7
	s_cbranch_vccz .LBB119_1211
; %bb.1208:
	global_load_u8 v1, v[5:6], off
	s_mov_b32 s6, 0
	s_mov_b32 s2, -1
	s_waitcnt vmcnt(0)
	v_cmp_ne_u32_e32 vcc_lo, 0xff, v1
	v_lshlrev_b32_e32 v3, 23, v1
	s_delay_alu instid0(VALU_DEP_1) | instskip(NEXT) | instid1(VALU_DEP_1)
	v_cvt_f64_f32_e32 v[3:4], v3
	v_cndmask_b32_e32 v4, 0x7ff80000, v4, vcc_lo
	s_delay_alu instid0(VALU_DEP_2) | instskip(SKIP_1) | instid1(VALU_DEP_3)
	v_cndmask_b32_e32 v3, 0x20000000, v3, vcc_lo
	v_cmp_ne_u32_e32 vcc_lo, 0, v1
	v_cndmask_b32_e32 v4, 0x38000000, v4, vcc_lo
	s_delay_alu instid0(VALU_DEP_3)
	v_cndmask_b32_e32 v3, 0, v3, vcc_lo
	s_branch .LBB119_1212
.LBB119_1209:
	s_or_saveexec_b32 s50, s50
                                        ; implicit-def: $sgpr51
	s_delay_alu instid0(SALU_CYCLE_1)
	s_xor_b32 exec_lo, exec_lo, s50
	s_cbranch_execz .LBB119_1154
.LBB119_1210:
	v_add_f32_e64 v3, 0x46000000, |v2|
	s_and_not1_b32 s49, s49, exec_lo
	s_mov_b32 s51, 0
	s_delay_alu instid0(VALU_DEP_1) | instskip(NEXT) | instid1(VALU_DEP_1)
	v_and_b32_e32 v3, 0xff, v3
	v_cmp_ne_u32_e32 vcc_lo, 0, v3
	s_and_b32 s52, vcc_lo, exec_lo
	s_delay_alu instid0(SALU_CYCLE_1)
	s_or_b32 s49, s49, s52
	s_or_b32 exec_lo, exec_lo, s50
	v_mov_b32_e32 v7, s51
	s_and_saveexec_b32 s50, s49
	s_cbranch_execnz .LBB119_1155
	s_branch .LBB119_1156
.LBB119_1211:
	s_mov_b32 s6, -1
                                        ; implicit-def: $vgpr3_vgpr4
.LBB119_1212:
	s_mov_b32 s3, 0
.LBB119_1213:
	s_delay_alu instid0(SALU_CYCLE_1)
	s_and_b32 vcc_lo, exec_lo, s3
	s_cbranch_vccz .LBB119_1217
; %bb.1214:
	v_cmp_eq_u16_e32 vcc_lo, 29, v7
	s_cbranch_vccz .LBB119_1216
; %bb.1215:
	global_load_b64 v[3:4], v[5:6], off
	s_mov_b32 s6, 0
	s_mov_b32 s2, -1
	s_mov_b32 s3, 0
	s_waitcnt vmcnt(0)
	v_cvt_f64_u32_e32 v[8:9], v4
	v_cvt_f64_u32_e32 v[3:4], v3
	s_delay_alu instid0(VALU_DEP_2) | instskip(NEXT) | instid1(VALU_DEP_1)
	v_ldexp_f64 v[8:9], v[8:9], 32
	v_add_f64 v[3:4], v[8:9], v[3:4]
	s_branch .LBB119_1218
.LBB119_1216:
	s_mov_b32 s6, -1
                                        ; implicit-def: $vgpr3_vgpr4
.LBB119_1217:
	s_mov_b32 s3, 0
.LBB119_1218:
	s_delay_alu instid0(SALU_CYCLE_1)
	s_and_b32 vcc_lo, exec_lo, s3
	s_cbranch_vccz .LBB119_1238
; %bb.1219:
	v_cmp_gt_i16_e32 vcc_lo, 27, v7
	s_cbranch_vccnz .LBB119_1222
; %bb.1220:
	v_cmp_lt_i16_e32 vcc_lo, 27, v7
	s_cbranch_vccz .LBB119_1223
; %bb.1221:
	global_load_b32 v1, v[5:6], off
	s_mov_b32 s2, 0
	s_waitcnt vmcnt(0)
	v_cvt_f64_u32_e32 v[3:4], v1
	s_branch .LBB119_1224
.LBB119_1222:
	s_mov_b32 s2, -1
                                        ; implicit-def: $vgpr3_vgpr4
	s_branch .LBB119_1227
.LBB119_1223:
	s_mov_b32 s2, -1
                                        ; implicit-def: $vgpr3_vgpr4
.LBB119_1224:
	s_delay_alu instid0(SALU_CYCLE_1)
	s_and_not1_b32 vcc_lo, exec_lo, s2
	s_cbranch_vccnz .LBB119_1226
; %bb.1225:
	global_load_u16 v1, v[5:6], off
	s_waitcnt vmcnt(0)
	v_cvt_f64_u32_e32 v[3:4], v1
.LBB119_1226:
	s_mov_b32 s2, 0
.LBB119_1227:
	s_delay_alu instid0(SALU_CYCLE_1)
	s_and_not1_b32 vcc_lo, exec_lo, s2
	s_cbranch_vccnz .LBB119_1237
; %bb.1228:
	global_load_u8 v1, v[5:6], off
	s_mov_b32 s12, 0
	s_mov_b32 s13, exec_lo
                                        ; implicit-def: $sgpr2_sgpr3
	s_waitcnt vmcnt(0)
	v_cmpx_lt_i16_e32 0x7f, v1
	s_xor_b32 s13, exec_lo, s13
	s_cbranch_execz .LBB119_1232
; %bb.1229:
	s_mov_b32 s14, -1
	s_mov_b32 s12, exec_lo
                                        ; implicit-def: $sgpr2_sgpr3
	v_cmpx_eq_u16_e32 0x80, v1
; %bb.1230:
	s_mov_b32 s3, 0x7ff80000
	s_brev_b32 s2, 4
	s_xor_b32 s14, exec_lo, -1
; %bb.1231:
	s_or_b32 exec_lo, exec_lo, s12
	s_delay_alu instid0(SALU_CYCLE_1)
	s_and_b32 s12, s14, exec_lo
.LBB119_1232:
	s_or_saveexec_b32 s13, s13
	v_dual_mov_b32 v4, s3 :: v_dual_mov_b32 v3, s2
	s_xor_b32 exec_lo, exec_lo, s13
; %bb.1233:
	v_cmp_ne_u16_e32 vcc_lo, 0, v1
	v_mov_b32_e32 v3, 0
	v_mov_b32_e32 v4, 0
	s_and_not1_b32 s2, s12, exec_lo
	s_and_b32 s3, vcc_lo, exec_lo
	s_delay_alu instid0(SALU_CYCLE_1)
	s_or_b32 s12, s2, s3
; %bb.1234:
	s_or_b32 exec_lo, exec_lo, s13
	s_and_saveexec_b32 s2, s12
	s_cbranch_execz .LBB119_1236
; %bb.1235:
	v_and_b32_e32 v3, 0xffff, v1
	v_lshlrev_b32_e32 v1, 24, v1
	s_delay_alu instid0(VALU_DEP_2) | instskip(NEXT) | instid1(VALU_DEP_2)
	v_and_b32_e32 v4, 7, v3
	v_and_b32_e32 v1, 0x80000000, v1
	s_delay_alu instid0(VALU_DEP_2) | instskip(NEXT) | instid1(VALU_DEP_1)
	v_clz_i32_u32_e32 v8, v4
	v_min_u32_e32 v8, 32, v8
	s_delay_alu instid0(VALU_DEP_1) | instskip(SKIP_1) | instid1(VALU_DEP_2)
	v_subrev_nc_u32_e32 v9, 28, v8
	v_sub_nc_u32_e32 v8, 29, v8
	v_lshlrev_b32_e32 v9, v9, v3
	v_bfe_u32 v3, v3, 3, 4
	s_delay_alu instid0(VALU_DEP_2) | instskip(NEXT) | instid1(VALU_DEP_2)
	v_and_b32_e32 v9, 7, v9
	v_cmp_eq_u32_e32 vcc_lo, 0, v3
	s_delay_alu instid0(VALU_DEP_2) | instskip(NEXT) | instid1(VALU_DEP_1)
	v_dual_cndmask_b32 v3, v3, v8 :: v_dual_cndmask_b32 v4, v4, v9
	v_lshl_add_u32 v3, v3, 23, 0x3b800000
	s_delay_alu instid0(VALU_DEP_2) | instskip(NEXT) | instid1(VALU_DEP_1)
	v_lshlrev_b32_e32 v4, 20, v4
	v_or3_b32 v1, v1, v3, v4
	s_delay_alu instid0(VALU_DEP_1)
	v_cvt_f64_f32_e32 v[3:4], v1
.LBB119_1236:
	s_or_b32 exec_lo, exec_lo, s2
.LBB119_1237:
	s_mov_b32 s2, -1
.LBB119_1238:
	s_mov_b32 s3, 0
.LBB119_1239:
	s_delay_alu instid0(SALU_CYCLE_1)
	s_and_b32 vcc_lo, exec_lo, s3
	s_cbranch_vccz .LBB119_1270
; %bb.1240:
	v_cmp_lt_i16_e32 vcc_lo, 22, v7
	s_cbranch_vccz .LBB119_1252
; %bb.1241:
	v_cmp_gt_i16_e32 vcc_lo, 24, v7
	s_cbranch_vccnz .LBB119_1253
; %bb.1242:
	v_cmp_lt_i16_e32 vcc_lo, 24, v7
	s_cbranch_vccz .LBB119_1254
; %bb.1243:
	global_load_u8 v1, v[5:6], off
	s_mov_b32 s12, exec_lo
                                        ; implicit-def: $sgpr2_sgpr3
	s_waitcnt vmcnt(0)
	v_cmpx_lt_i16_e32 0x7f, v1
	s_xor_b32 s12, exec_lo, s12
	s_cbranch_execz .LBB119_1247
; %bb.1244:
	s_mov_b32 s13, -1
	s_mov_b32 s7, exec_lo
                                        ; implicit-def: $sgpr2_sgpr3
	v_cmpx_eq_u16_e32 0x80, v1
; %bb.1245:
	s_mov_b32 s3, 0x7ff80000
	s_brev_b32 s2, 4
	s_xor_b32 s13, exec_lo, -1
; %bb.1246:
	s_or_b32 exec_lo, exec_lo, s7
	s_delay_alu instid0(SALU_CYCLE_1)
	s_and_b32 s7, s13, exec_lo
.LBB119_1247:
	s_or_saveexec_b32 s12, s12
	v_dual_mov_b32 v4, s3 :: v_dual_mov_b32 v3, s2
	s_xor_b32 exec_lo, exec_lo, s12
; %bb.1248:
	v_cmp_ne_u16_e32 vcc_lo, 0, v1
	v_mov_b32_e32 v3, 0
	v_mov_b32_e32 v4, 0
	s_and_not1_b32 s2, s7, exec_lo
	s_and_b32 s3, vcc_lo, exec_lo
	s_delay_alu instid0(SALU_CYCLE_1)
	s_or_b32 s7, s2, s3
; %bb.1249:
	s_or_b32 exec_lo, exec_lo, s12
	s_and_saveexec_b32 s2, s7
	s_cbranch_execz .LBB119_1251
; %bb.1250:
	v_and_b32_e32 v3, 0xffff, v1
	v_lshlrev_b32_e32 v1, 24, v1
	s_delay_alu instid0(VALU_DEP_2) | instskip(NEXT) | instid1(VALU_DEP_2)
	v_and_b32_e32 v4, 3, v3
	v_and_b32_e32 v1, 0x80000000, v1
	s_delay_alu instid0(VALU_DEP_2) | instskip(NEXT) | instid1(VALU_DEP_1)
	v_clz_i32_u32_e32 v8, v4
	v_min_u32_e32 v8, 32, v8
	s_delay_alu instid0(VALU_DEP_1) | instskip(SKIP_1) | instid1(VALU_DEP_2)
	v_subrev_nc_u32_e32 v9, 29, v8
	v_sub_nc_u32_e32 v8, 30, v8
	v_lshlrev_b32_e32 v9, v9, v3
	v_bfe_u32 v3, v3, 2, 5
	s_delay_alu instid0(VALU_DEP_2) | instskip(NEXT) | instid1(VALU_DEP_2)
	v_and_b32_e32 v9, 3, v9
	v_cmp_eq_u32_e32 vcc_lo, 0, v3
	s_delay_alu instid0(VALU_DEP_2) | instskip(NEXT) | instid1(VALU_DEP_1)
	v_dual_cndmask_b32 v3, v3, v8 :: v_dual_cndmask_b32 v4, v4, v9
	v_lshl_add_u32 v3, v3, 23, 0x37800000
	s_delay_alu instid0(VALU_DEP_2) | instskip(NEXT) | instid1(VALU_DEP_1)
	v_lshlrev_b32_e32 v4, 21, v4
	v_or3_b32 v1, v1, v3, v4
	s_delay_alu instid0(VALU_DEP_1)
	v_cvt_f64_f32_e32 v[3:4], v1
.LBB119_1251:
	s_or_b32 exec_lo, exec_lo, s2
	s_mov_b32 s2, 0
	s_branch .LBB119_1255
.LBB119_1252:
	s_mov_b32 s3, -1
                                        ; implicit-def: $vgpr3_vgpr4
	s_branch .LBB119_1261
.LBB119_1253:
	s_mov_b32 s2, -1
                                        ; implicit-def: $vgpr3_vgpr4
	s_branch .LBB119_1258
.LBB119_1254:
	s_mov_b32 s2, -1
                                        ; implicit-def: $vgpr3_vgpr4
.LBB119_1255:
	s_delay_alu instid0(SALU_CYCLE_1)
	s_and_b32 vcc_lo, exec_lo, s2
	s_cbranch_vccz .LBB119_1257
; %bb.1256:
	global_load_u8 v1, v[5:6], off
	s_waitcnt vmcnt(0)
	v_lshlrev_b32_e32 v1, 24, v1
	s_delay_alu instid0(VALU_DEP_1) | instskip(NEXT) | instid1(VALU_DEP_1)
	v_and_b32_e32 v3, 0x7f000000, v1
	v_clz_i32_u32_e32 v4, v3
	v_cmp_ne_u32_e32 vcc_lo, 0, v3
	v_add_nc_u32_e32 v9, 0x1000000, v3
	s_delay_alu instid0(VALU_DEP_3) | instskip(NEXT) | instid1(VALU_DEP_1)
	v_min_u32_e32 v4, 32, v4
	v_sub_nc_u32_e64 v4, v4, 4 clamp
	s_delay_alu instid0(VALU_DEP_1) | instskip(SKIP_1) | instid1(VALU_DEP_2)
	v_lshlrev_b32_e32 v8, v4, v3
	v_lshlrev_b32_e32 v4, 23, v4
	v_lshrrev_b32_e32 v8, 4, v8
	s_delay_alu instid0(VALU_DEP_1) | instskip(SKIP_1) | instid1(VALU_DEP_2)
	v_sub_nc_u32_e32 v4, v8, v4
	v_ashrrev_i32_e32 v8, 8, v9
	v_add_nc_u32_e32 v4, 0x3c000000, v4
	s_delay_alu instid0(VALU_DEP_1) | instskip(NEXT) | instid1(VALU_DEP_1)
	v_and_or_b32 v4, 0x7f800000, v8, v4
	v_cndmask_b32_e32 v3, 0, v4, vcc_lo
	s_delay_alu instid0(VALU_DEP_1) | instskip(NEXT) | instid1(VALU_DEP_1)
	v_and_or_b32 v1, 0x80000000, v1, v3
	v_cvt_f64_f32_e32 v[3:4], v1
.LBB119_1257:
	s_mov_b32 s2, 0
.LBB119_1258:
	s_delay_alu instid0(SALU_CYCLE_1)
	s_and_not1_b32 vcc_lo, exec_lo, s2
	s_cbranch_vccnz .LBB119_1260
; %bb.1259:
	global_load_u8 v1, v[5:6], off
	s_waitcnt vmcnt(0)
	v_lshlrev_b32_e32 v3, 25, v1
	v_lshlrev_b16 v1, 8, v1
	s_delay_alu instid0(VALU_DEP_1) | instskip(SKIP_1) | instid1(VALU_DEP_2)
	v_and_or_b32 v8, 0x7f00, v1, 0.5
	v_bfe_i32 v1, v1, 0, 16
	v_add_f32_e32 v8, -0.5, v8
	v_lshrrev_b32_e32 v4, 4, v3
	v_cmp_gt_u32_e32 vcc_lo, 0x8000000, v3
	s_delay_alu instid0(VALU_DEP_2) | instskip(NEXT) | instid1(VALU_DEP_1)
	v_or_b32_e32 v4, 0x70000000, v4
	v_mul_f32_e32 v4, 0x7800000, v4
	s_delay_alu instid0(VALU_DEP_1) | instskip(NEXT) | instid1(VALU_DEP_1)
	v_cndmask_b32_e32 v3, v4, v8, vcc_lo
	v_and_or_b32 v1, 0x80000000, v1, v3
	s_delay_alu instid0(VALU_DEP_1)
	v_cvt_f64_f32_e32 v[3:4], v1
.LBB119_1260:
	s_mov_b32 s3, 0
	s_mov_b32 s2, -1
.LBB119_1261:
	s_and_not1_b32 vcc_lo, exec_lo, s3
	s_mov_b32 s7, 0
	s_cbranch_vccnz .LBB119_1270
; %bb.1262:
	v_cmp_lt_i16_e32 vcc_lo, 14, v7
	s_cbranch_vccz .LBB119_1265
; %bb.1263:
	v_cmp_eq_u16_e32 vcc_lo, 15, v7
	s_cbranch_vccz .LBB119_1266
; %bb.1264:
	global_load_u16 v1, v[5:6], off
	s_mov_b32 s6, 0
	s_mov_b32 s2, -1
	s_waitcnt vmcnt(0)
	v_lshlrev_b32_e32 v1, 16, v1
	s_delay_alu instid0(VALU_DEP_1)
	v_cvt_f64_f32_e32 v[3:4], v1
	s_branch .LBB119_1267
.LBB119_1265:
	s_mov_b32 s3, -1
                                        ; implicit-def: $vgpr3_vgpr4
	s_branch .LBB119_1268
.LBB119_1266:
	s_mov_b32 s6, -1
                                        ; implicit-def: $vgpr3_vgpr4
.LBB119_1267:
	s_mov_b32 s3, 0
.LBB119_1268:
	s_delay_alu instid0(SALU_CYCLE_1)
	s_and_b32 vcc_lo, exec_lo, s3
	s_cbranch_vccz .LBB119_1270
; %bb.1269:
	v_cmp_ne_u16_e32 vcc_lo, 11, v7
	s_and_not1_b32 s3, s6, exec_lo
	s_mov_b32 s7, -1
                                        ; implicit-def: $vgpr3_vgpr4
	s_and_b32 s6, vcc_lo, exec_lo
	s_delay_alu instid0(SALU_CYCLE_1)
	s_or_b32 s6, s3, s6
.LBB119_1270:
	s_mov_b32 s3, 0
.LBB119_1271:
	s_and_not1_b32 s12, s48, exec_lo
	s_and_b32 s6, s6, exec_lo
	s_and_b32 s2, s2, exec_lo
	;; [unrolled: 1-line block ×4, first 2 shown]
	s_or_b32 s52, s12, s6
.LBB119_1272:
	s_or_b32 exec_lo, exec_lo, s37
	s_delay_alu instid0(SALU_CYCLE_1)
	s_and_not1_b32 s6, s48, exec_lo
	s_and_b32 s7, s52, exec_lo
	s_and_b32 s2, s2, exec_lo
	s_and_b32 s51, s51, exec_lo
	s_and_b32 s3, s3, exec_lo
	s_or_b32 s48, s6, s7
.LBB119_1273:
	s_or_b32 exec_lo, exec_lo, s47
	s_delay_alu instid0(SALU_CYCLE_1)
	s_and_not1_b32 s6, s44, exec_lo
	s_and_b32 s7, s49, exec_lo
	s_and_not1_b32 s12, s45, exec_lo
	s_and_b32 s13, s50, exec_lo
	s_or_b32 s44, s6, s7
	s_and_not1_b32 s6, s43, exec_lo
	s_and_b32 s7, s48, exec_lo
	s_or_b32 s45, s12, s13
	s_and_b32 s2, s2, exec_lo
	s_and_b32 s47, s51, exec_lo
	s_and_b32 s3, s3, exec_lo
	s_or_b32 s43, s6, s7
.LBB119_1274:
	s_or_b32 exec_lo, exec_lo, s46
	s_delay_alu instid0(SALU_CYCLE_1)
	s_and_not1_b32 s6, s39, exec_lo
	s_and_b32 s7, s44, exec_lo
	s_and_not1_b32 s12, s40, exec_lo
	s_and_b32 s13, s45, exec_lo
	s_or_b32 s39, s6, s7
	s_and_not1_b32 s6, s41, exec_lo
	s_and_b32 s7, s43, exec_lo
	s_or_b32 s40, s12, s13
	s_and_b32 s2, s2, exec_lo
	s_and_b32 s44, s47, exec_lo
	;; [unrolled: 1-line block ×3, first 2 shown]
	s_or_b32 s41, s6, s7
.LBB119_1275:
	s_or_b32 exec_lo, exec_lo, s42
	s_mov_b32 s3, 0
	s_and_saveexec_b32 s6, s41
	s_cbranch_execnz .LBB119_1287
; %bb.1276:
	s_or_b32 exec_lo, exec_lo, s6
	s_and_saveexec_b32 s6, s43
	s_delay_alu instid0(SALU_CYCLE_1)
	s_xor_b32 s6, exec_lo, s6
	s_cbranch_execz .LBB119_1278
.LBB119_1277:
	global_load_u8 v1, v[5:6], off
	v_mov_b32_e32 v3, 0
	s_or_b32 s2, s2, exec_lo
	s_waitcnt vmcnt(0)
	v_cmp_ne_u16_e32 vcc_lo, 0, v1
	v_cndmask_b32_e64 v4, 0, 0x3ff00000, vcc_lo
.LBB119_1278:
	s_or_b32 exec_lo, exec_lo, s6
	s_and_saveexec_b32 s6, s44
	s_cbranch_execz .LBB119_1326
; %bb.1279:
	v_cmp_gt_i16_e32 vcc_lo, 5, v7
	s_cbranch_vccnz .LBB119_1284
; %bb.1280:
	v_cmp_gt_i16_e32 vcc_lo, 8, v7
	s_cbranch_vccnz .LBB119_1285
	;; [unrolled: 3-line block ×3, first 2 shown]
; %bb.1282:
	v_cmp_lt_i16_e32 vcc_lo, 9, v7
	s_cbranch_vccz .LBB119_1289
; %bb.1283:
	global_load_b64 v[3:4], v[5:6], off
	s_mov_b32 s7, 0
	s_branch .LBB119_1290
.LBB119_1284:
                                        ; implicit-def: $vgpr3_vgpr4
	s_branch .LBB119_1307
.LBB119_1285:
                                        ; implicit-def: $vgpr3_vgpr4
	s_branch .LBB119_1296
.LBB119_1286:
	s_mov_b32 s7, -1
                                        ; implicit-def: $vgpr3_vgpr4
	s_branch .LBB119_1293
.LBB119_1287:
	s_cbranch_execnz .LBB119_1609
; %bb.1288:
	s_mov_b32 s3, exec_lo
	s_and_not1_b32 s43, s43, exec_lo
                                        ; implicit-def: $vgpr3_vgpr4
	s_or_b32 exec_lo, exec_lo, s6
	s_and_saveexec_b32 s6, s43
	s_delay_alu instid0(SALU_CYCLE_1)
	s_xor_b32 s6, exec_lo, s6
	s_cbranch_execnz .LBB119_1277
	s_branch .LBB119_1278
.LBB119_1289:
	s_mov_b32 s7, -1
                                        ; implicit-def: $vgpr3_vgpr4
.LBB119_1290:
	s_delay_alu instid0(SALU_CYCLE_1)
	s_and_not1_b32 vcc_lo, exec_lo, s7
	s_cbranch_vccnz .LBB119_1292
; %bb.1291:
	global_load_b32 v1, v[5:6], off
	s_waitcnt vmcnt(0)
	v_cvt_f64_f32_e32 v[3:4], v1
.LBB119_1292:
	s_mov_b32 s7, 0
.LBB119_1293:
	s_delay_alu instid0(SALU_CYCLE_1)
	s_and_not1_b32 vcc_lo, exec_lo, s7
	s_cbranch_vccnz .LBB119_1295
; %bb.1294:
	global_load_b32 v1, v[5:6], off
	s_waitcnt vmcnt(0)
	v_cvt_f32_f16_e32 v1, v1
	s_delay_alu instid0(VALU_DEP_1)
	v_cvt_f64_f32_e32 v[3:4], v1
.LBB119_1295:
	s_cbranch_execnz .LBB119_1306
.LBB119_1296:
	v_cmp_gt_i16_e32 vcc_lo, 6, v7
	s_cbranch_vccnz .LBB119_1299
; %bb.1297:
	v_cmp_lt_i16_e32 vcc_lo, 6, v7
	s_cbranch_vccz .LBB119_1300
; %bb.1298:
	global_load_b64 v[3:4], v[5:6], off
	s_mov_b32 s7, 0
	s_branch .LBB119_1301
.LBB119_1299:
	s_mov_b32 s7, -1
                                        ; implicit-def: $vgpr3_vgpr4
	s_branch .LBB119_1304
.LBB119_1300:
	s_mov_b32 s7, -1
                                        ; implicit-def: $vgpr3_vgpr4
.LBB119_1301:
	s_delay_alu instid0(SALU_CYCLE_1)
	s_and_not1_b32 vcc_lo, exec_lo, s7
	s_cbranch_vccnz .LBB119_1303
; %bb.1302:
	global_load_b32 v1, v[5:6], off
	s_waitcnt vmcnt(0)
	v_cvt_f64_f32_e32 v[3:4], v1
.LBB119_1303:
	s_mov_b32 s7, 0
.LBB119_1304:
	s_delay_alu instid0(SALU_CYCLE_1)
	s_and_not1_b32 vcc_lo, exec_lo, s7
	s_cbranch_vccnz .LBB119_1306
; %bb.1305:
	global_load_u16 v1, v[5:6], off
	s_waitcnt vmcnt(0)
	v_cvt_f32_f16_e32 v1, v1
	s_delay_alu instid0(VALU_DEP_1)
	v_cvt_f64_f32_e32 v[3:4], v1
.LBB119_1306:
	s_cbranch_execnz .LBB119_1325
.LBB119_1307:
	v_cmp_gt_i16_e32 vcc_lo, 2, v7
	s_cbranch_vccnz .LBB119_1311
; %bb.1308:
	v_cmp_gt_i16_e32 vcc_lo, 3, v7
	s_cbranch_vccnz .LBB119_1312
; %bb.1309:
	v_cmp_lt_i16_e32 vcc_lo, 3, v7
	s_cbranch_vccz .LBB119_1313
; %bb.1310:
	global_load_b64 v[3:4], v[5:6], off
	s_mov_b32 s7, 0
	s_waitcnt vmcnt(0)
	v_cvt_f64_i32_e32 v[8:9], v4
	v_cvt_f64_u32_e32 v[3:4], v3
	s_delay_alu instid0(VALU_DEP_2) | instskip(NEXT) | instid1(VALU_DEP_1)
	v_ldexp_f64 v[8:9], v[8:9], 32
	v_add_f64 v[3:4], v[8:9], v[3:4]
	s_branch .LBB119_1314
.LBB119_1311:
                                        ; implicit-def: $vgpr3_vgpr4
	s_branch .LBB119_1320
.LBB119_1312:
	s_mov_b32 s7, -1
                                        ; implicit-def: $vgpr3_vgpr4
	s_branch .LBB119_1317
.LBB119_1313:
	s_mov_b32 s7, -1
                                        ; implicit-def: $vgpr3_vgpr4
.LBB119_1314:
	s_delay_alu instid0(SALU_CYCLE_1)
	s_and_not1_b32 vcc_lo, exec_lo, s7
	s_cbranch_vccnz .LBB119_1316
; %bb.1315:
	global_load_b32 v1, v[5:6], off
	s_waitcnt vmcnt(0)
	v_cvt_f64_i32_e32 v[3:4], v1
.LBB119_1316:
	s_mov_b32 s7, 0
.LBB119_1317:
	s_delay_alu instid0(SALU_CYCLE_1)
	s_and_not1_b32 vcc_lo, exec_lo, s7
	s_cbranch_vccnz .LBB119_1319
; %bb.1318:
	global_load_i16 v1, v[5:6], off
	s_waitcnt vmcnt(0)
	v_cvt_f64_i32_e32 v[3:4], v1
.LBB119_1319:
	s_cbranch_execnz .LBB119_1325
.LBB119_1320:
	v_cmp_lt_i16_e32 vcc_lo, 0, v7
	s_mov_b32 s7, 0
	s_cbranch_vccz .LBB119_1322
; %bb.1321:
	global_load_i8 v1, v[5:6], off
	s_waitcnt vmcnt(0)
	v_cvt_f64_i32_e32 v[3:4], v1
	s_branch .LBB119_1323
.LBB119_1322:
	s_mov_b32 s7, -1
                                        ; implicit-def: $vgpr3_vgpr4
.LBB119_1323:
	s_delay_alu instid0(SALU_CYCLE_1)
	s_and_not1_b32 vcc_lo, exec_lo, s7
	s_cbranch_vccnz .LBB119_1325
; %bb.1324:
	global_load_u8 v1, v[5:6], off
	s_waitcnt vmcnt(0)
	v_cvt_f64_u32_e32 v[3:4], v1
.LBB119_1325:
	s_or_b32 s2, s2, exec_lo
.LBB119_1326:
	s_or_b32 exec_lo, exec_lo, s6
	s_mov_b32 s7, 0
	s_mov_b32 s14, 0
	;; [unrolled: 1-line block ×3, first 2 shown]
                                        ; implicit-def: $sgpr12
                                        ; implicit-def: $vgpr1
                                        ; implicit-def: $vgpr5_vgpr6
	s_and_saveexec_b32 s6, s2
	s_cbranch_execz .LBB119_1336
; %bb.1327:
	s_waitcnt vmcnt(0)
	v_and_b32_e64 v1, 0xff, s33
	s_delay_alu instid0(VALU_DEP_2) | instskip(NEXT) | instid1(VALU_DEP_1)
	v_add_co_u32 v5, s2, s8, v0
	v_add_co_ci_u32_e64 v6, null, s9, 0, s2
	s_delay_alu instid0(VALU_DEP_3)
	v_cmp_gt_i16_e32 vcc_lo, 11, v1
	s_mov_b32 s9, 0
	s_cbranch_vccnz .LBB119_1334
; %bb.1328:
	v_cmp_lt_i16_e32 vcc_lo, 25, v1
	s_mov_b32 s2, 0
	s_cbranch_vccz .LBB119_1346
; %bb.1329:
	v_cmp_lt_i16_e32 vcc_lo, 28, v1
	s_cbranch_vccz .LBB119_1348
; %bb.1330:
	v_cmp_lt_i16_e32 vcc_lo, 43, v1
	;; [unrolled: 3-line block ×3, first 2 shown]
	s_cbranch_vccz .LBB119_1615
; %bb.1332:
	v_cmp_eq_u16_e32 vcc_lo, 46, v1
	s_mov_b32 s12, 0
	s_cbranch_vccz .LBB119_1747
; %bb.1333:
	global_load_b32 v0, v[5:6], off
	s_mov_b32 s9, -1
	s_waitcnt vmcnt(0)
	v_and_b32_e32 v0, 0x7fff7fff, v0
	s_delay_alu instid0(VALU_DEP_1)
	v_cmp_ne_u32_e32 vcc_lo, 0, v0
	s_and_b32 s8, vcc_lo, exec_lo
	s_branch .LBB119_1749
.LBB119_1334:
	s_mov_b32 s14, -1
	s_mov_b32 s2, 0
	s_mov_b32 s7, s40
                                        ; implicit-def: $sgpr8
.LBB119_1335:
	s_and_b32 s12, s8, exec_lo
	s_and_b32 s13, s9, exec_lo
	s_and_not1_b32 s8, s40, exec_lo
	s_and_b32 s9, s7, exec_lo
	s_and_b32 s14, s14, exec_lo
	;; [unrolled: 1-line block ×3, first 2 shown]
	s_or_b32 s40, s8, s9
.LBB119_1336:
	s_or_b32 exec_lo, exec_lo, s6
	s_and_saveexec_b32 s2, s40
	s_cbranch_execnz .LBB119_1350
; %bb.1337:
	s_or_b32 exec_lo, exec_lo, s2
	s_and_saveexec_b32 s2, s7
	s_delay_alu instid0(SALU_CYCLE_1)
	s_xor_b32 s2, exec_lo, s2
	s_cbranch_execz .LBB119_1339
.LBB119_1338:
	global_load_u8 v0, v[5:6], off
	s_and_not1_b32 s6, s12, exec_lo
	s_or_b32 s13, s13, exec_lo
	s_waitcnt vmcnt(0)
	v_cmp_ne_u16_e32 vcc_lo, 0, v0
	s_and_b32 s7, vcc_lo, exec_lo
	s_delay_alu instid0(SALU_CYCLE_1)
	s_or_b32 s12, s6, s7
.LBB119_1339:
	s_or_b32 exec_lo, exec_lo, s2
	s_and_saveexec_b32 s6, s14
	s_cbranch_execz .LBB119_1390
; %bb.1340:
	s_waitcnt vmcnt(0)
	v_cmp_gt_i16_e32 vcc_lo, 5, v1
	s_cbranch_vccnz .LBB119_1345
; %bb.1341:
	v_cmp_gt_i16_e32 vcc_lo, 8, v1
	s_cbranch_vccnz .LBB119_1347
; %bb.1342:
	;; [unrolled: 3-line block ×3, first 2 shown]
	v_cmp_lt_i16_e32 vcc_lo, 9, v1
	s_cbranch_vccz .LBB119_1353
; %bb.1344:
	global_load_b128 v[7:10], v[5:6], off
	s_mov_b32 s7, 0
	s_waitcnt vmcnt(0)
	v_cmp_neq_f64_e32 vcc_lo, 0, v[7:8]
	v_cmp_neq_f64_e64 s2, 0, v[9:10]
	s_delay_alu instid0(VALU_DEP_1) | instskip(NEXT) | instid1(SALU_CYCLE_1)
	s_or_b32 s2, vcc_lo, s2
	s_and_b32 s2, s2, exec_lo
	s_branch .LBB119_1354
.LBB119_1345:
                                        ; implicit-def: $sgpr2
	s_branch .LBB119_1371
.LBB119_1346:
	s_mov_b32 s7, s40
                                        ; implicit-def: $sgpr8
	s_cbranch_execnz .LBB119_1776
	s_branch .LBB119_1335
.LBB119_1347:
                                        ; implicit-def: $sgpr2
	s_branch .LBB119_1360
.LBB119_1348:
	s_mov_b32 s12, -1
	s_mov_b32 s7, s40
                                        ; implicit-def: $sgpr8
	s_branch .LBB119_1757
.LBB119_1349:
	s_mov_b32 s7, -1
                                        ; implicit-def: $sgpr2
	s_branch .LBB119_1357
.LBB119_1350:
	s_cbranch_execnz .LBB119_1611
; %bb.1351:
	s_and_not1_b32 s12, s12, exec_lo
	s_or_b32 s3, s3, exec_lo
	s_and_not1_b32 s13, s13, exec_lo
	s_and_not1_b32 s7, s7, exec_lo
	s_or_b32 exec_lo, exec_lo, s2
	s_and_saveexec_b32 s2, s7
	s_delay_alu instid0(SALU_CYCLE_1)
	s_xor_b32 s2, exec_lo, s2
	s_cbranch_execnz .LBB119_1338
	s_branch .LBB119_1339
.LBB119_1352:
	s_mov_b32 s12, -1
	s_mov_b32 s7, s40
                                        ; implicit-def: $sgpr8
	s_branch .LBB119_1752
.LBB119_1353:
	s_mov_b32 s7, -1
                                        ; implicit-def: $sgpr2
.LBB119_1354:
	s_delay_alu instid0(SALU_CYCLE_1)
	s_and_not1_b32 vcc_lo, exec_lo, s7
	s_cbranch_vccnz .LBB119_1356
; %bb.1355:
	global_load_b64 v[7:8], v[5:6], off
	s_and_not1_b32 s2, s2, exec_lo
	s_waitcnt vmcnt(0)
	v_or_b32_e32 v0, v7, v8
	s_delay_alu instid0(VALU_DEP_1) | instskip(NEXT) | instid1(VALU_DEP_1)
	v_and_b32_e32 v0, 0x7fffffff, v0
	v_cmp_ne_u32_e32 vcc_lo, 0, v0
	s_and_b32 s7, vcc_lo, exec_lo
	s_delay_alu instid0(SALU_CYCLE_1)
	s_or_b32 s2, s2, s7
.LBB119_1356:
	s_mov_b32 s7, 0
.LBB119_1357:
	s_delay_alu instid0(SALU_CYCLE_1)
	s_and_not1_b32 vcc_lo, exec_lo, s7
	s_cbranch_vccnz .LBB119_1359
; %bb.1358:
	global_load_b32 v0, v[5:6], off
	s_and_not1_b32 s2, s2, exec_lo
	s_waitcnt vmcnt(0)
	v_and_b32_e32 v0, 0x7fff7fff, v0
	s_delay_alu instid0(VALU_DEP_1) | instskip(SKIP_1) | instid1(SALU_CYCLE_1)
	v_cmp_ne_u32_e32 vcc_lo, 0, v0
	s_and_b32 s7, vcc_lo, exec_lo
	s_or_b32 s2, s2, s7
.LBB119_1359:
	s_cbranch_execnz .LBB119_1370
.LBB119_1360:
	v_cmp_gt_i16_e32 vcc_lo, 6, v1
	s_cbranch_vccnz .LBB119_1363
; %bb.1361:
	v_cmp_lt_i16_e32 vcc_lo, 6, v1
	s_cbranch_vccz .LBB119_1364
; %bb.1362:
	global_load_b64 v[7:8], v[5:6], off
	s_mov_b32 s7, 0
	s_waitcnt vmcnt(0)
	v_cmp_neq_f64_e32 vcc_lo, 0, v[7:8]
	s_and_b32 s2, vcc_lo, exec_lo
	s_branch .LBB119_1365
.LBB119_1363:
	s_mov_b32 s7, -1
                                        ; implicit-def: $sgpr2
	s_branch .LBB119_1368
.LBB119_1364:
	s_mov_b32 s7, -1
                                        ; implicit-def: $sgpr2
.LBB119_1365:
	s_delay_alu instid0(SALU_CYCLE_1)
	s_and_not1_b32 vcc_lo, exec_lo, s7
	s_cbranch_vccnz .LBB119_1367
; %bb.1366:
	global_load_b32 v0, v[5:6], off
	s_and_not1_b32 s2, s2, exec_lo
	s_waitcnt vmcnt(0)
	v_cmp_neq_f32_e32 vcc_lo, 0, v0
	s_and_b32 s7, vcc_lo, exec_lo
	s_delay_alu instid0(SALU_CYCLE_1)
	s_or_b32 s2, s2, s7
.LBB119_1367:
	s_mov_b32 s7, 0
.LBB119_1368:
	s_delay_alu instid0(SALU_CYCLE_1)
	s_and_not1_b32 vcc_lo, exec_lo, s7
	s_cbranch_vccnz .LBB119_1370
; %bb.1369:
	global_load_u16 v0, v[5:6], off
	s_and_not1_b32 s2, s2, exec_lo
	s_waitcnt vmcnt(0)
	v_and_b32_e32 v0, 0x7fff, v0
	s_delay_alu instid0(VALU_DEP_1) | instskip(SKIP_1) | instid1(SALU_CYCLE_1)
	v_cmp_ne_u16_e32 vcc_lo, 0, v0
	s_and_b32 s7, vcc_lo, exec_lo
	s_or_b32 s2, s2, s7
.LBB119_1370:
	s_cbranch_execnz .LBB119_1389
.LBB119_1371:
	v_cmp_gt_i16_e32 vcc_lo, 2, v1
	s_cbranch_vccnz .LBB119_1375
; %bb.1372:
	v_cmp_gt_i16_e32 vcc_lo, 3, v1
	s_cbranch_vccnz .LBB119_1376
; %bb.1373:
	v_cmp_lt_i16_e32 vcc_lo, 3, v1
	s_cbranch_vccz .LBB119_1377
; %bb.1374:
	global_load_b64 v[7:8], v[5:6], off
	s_mov_b32 s7, 0
	s_waitcnt vmcnt(0)
	v_cmp_ne_u64_e32 vcc_lo, 0, v[7:8]
	s_and_b32 s2, vcc_lo, exec_lo
	s_branch .LBB119_1378
.LBB119_1375:
                                        ; implicit-def: $sgpr2
	s_branch .LBB119_1384
.LBB119_1376:
	s_mov_b32 s7, -1
                                        ; implicit-def: $sgpr2
	s_branch .LBB119_1381
.LBB119_1377:
	s_mov_b32 s7, -1
                                        ; implicit-def: $sgpr2
.LBB119_1378:
	s_delay_alu instid0(SALU_CYCLE_1)
	s_and_not1_b32 vcc_lo, exec_lo, s7
	s_cbranch_vccnz .LBB119_1380
; %bb.1379:
	global_load_b32 v0, v[5:6], off
	s_and_not1_b32 s2, s2, exec_lo
	s_waitcnt vmcnt(0)
	v_cmp_ne_u32_e32 vcc_lo, 0, v0
	s_and_b32 s7, vcc_lo, exec_lo
	s_delay_alu instid0(SALU_CYCLE_1)
	s_or_b32 s2, s2, s7
.LBB119_1380:
	s_mov_b32 s7, 0
.LBB119_1381:
	s_delay_alu instid0(SALU_CYCLE_1)
	s_and_not1_b32 vcc_lo, exec_lo, s7
	s_cbranch_vccnz .LBB119_1383
; %bb.1382:
	global_load_u16 v0, v[5:6], off
	s_and_not1_b32 s2, s2, exec_lo
	s_waitcnt vmcnt(0)
	v_cmp_ne_u16_e32 vcc_lo, 0, v0
	s_and_b32 s7, vcc_lo, exec_lo
	s_delay_alu instid0(SALU_CYCLE_1)
	s_or_b32 s2, s2, s7
.LBB119_1383:
	s_cbranch_execnz .LBB119_1389
.LBB119_1384:
	v_cmp_lt_i16_e32 vcc_lo, 0, v1
	s_mov_b32 s7, 0
	s_cbranch_vccz .LBB119_1386
; %bb.1385:
	global_load_u8 v0, v[5:6], off
	s_waitcnt vmcnt(0)
	v_cmp_ne_u16_e32 vcc_lo, 0, v0
	s_and_b32 s2, vcc_lo, exec_lo
	s_branch .LBB119_1387
.LBB119_1386:
	s_mov_b32 s7, -1
                                        ; implicit-def: $sgpr2
.LBB119_1387:
	s_delay_alu instid0(SALU_CYCLE_1)
	s_and_not1_b32 vcc_lo, exec_lo, s7
	s_cbranch_vccnz .LBB119_1389
; %bb.1388:
	global_load_u8 v0, v[5:6], off
	s_and_not1_b32 s2, s2, exec_lo
	s_waitcnt vmcnt(0)
	v_cmp_ne_u16_e32 vcc_lo, 0, v0
	s_and_b32 s7, vcc_lo, exec_lo
	s_delay_alu instid0(SALU_CYCLE_1)
	s_or_b32 s2, s2, s7
.LBB119_1389:
	s_and_not1_b32 s7, s12, exec_lo
	s_and_b32 s2, s2, exec_lo
	s_or_b32 s13, s13, exec_lo
	s_or_b32 s12, s7, s2
.LBB119_1390:
	s_or_b32 exec_lo, exec_lo, s6
	s_mov_b32 s2, 0
	s_mov_b32 s7, 0
                                        ; implicit-def: $vgpr7
                                        ; implicit-def: $vgpr5_vgpr6
                                        ; implicit-def: $vgpr0_vgpr1
	s_and_saveexec_b32 s6, s13
	s_cbranch_execz .LBB119_1467
; %bb.1391:
	s_waitcnt vmcnt(0)
	v_cndmask_b32_e64 v0, 0, 1, s12
	v_and_b32_e64 v7, 0xff, s31
	v_add_co_u32 v5, s2, s4, v2
	s_delay_alu instid0(VALU_DEP_1) | instskip(NEXT) | instid1(VALU_DEP_4)
	v_add_co_ci_u32_e64 v6, null, s5, 0, s2
	v_cvt_f64_u32_e32 v[0:1], v0
	s_delay_alu instid0(VALU_DEP_4) | instskip(SKIP_3) | instid1(VALU_DEP_2)
	v_cmp_gt_i16_e32 vcc_lo, 11, v7
	s_mov_b32 s8, 0
	s_mov_b32 s4, -1
	s_mov_b32 s2, s39
	v_mul_f64 v[0:1], v[3:4], v[0:1]
	s_delay_alu instid0(VALU_DEP_1)
	v_mul_f64 v[0:1], s[10:11], v[0:1]
	s_cbranch_vccnz .LBB119_1466
; %bb.1392:
	v_cmp_lt_i16_e32 vcc_lo, 25, v7
	s_mov_b32 s2, s39
	s_cbranch_vccz .LBB119_1425
; %bb.1393:
	v_cmp_lt_i16_e32 vcc_lo, 28, v7
	s_mov_b32 s2, s39
	s_cbranch_vccz .LBB119_1409
	;; [unrolled: 4-line block ×4, first 2 shown]
; %bb.1396:
	v_cmp_eq_u16_e32 vcc_lo, 46, v7
	s_mov_b32 s2, -1
	s_cbranch_vccz .LBB119_1398
; %bb.1397:
	v_cvt_f32_f64_e32 v2, v[0:1]
	s_mov_b32 s2, 0
	s_delay_alu instid0(VALU_DEP_1) | instskip(SKIP_1) | instid1(VALU_DEP_2)
	v_bfe_u32 v3, v2, 16, 1
	v_cmp_o_f32_e32 vcc_lo, v2, v2
	v_add3_u32 v3, v2, v3, 0x7fff
	s_delay_alu instid0(VALU_DEP_1) | instskip(NEXT) | instid1(VALU_DEP_1)
	v_lshrrev_b32_e32 v3, 16, v3
	v_cndmask_b32_e32 v2, 0x7fc0, v3, vcc_lo
	global_store_b32 v[5:6], v2, off
.LBB119_1398:
	s_mov_b32 s4, 0
.LBB119_1399:
	s_delay_alu instid0(SALU_CYCLE_1)
	s_and_b32 vcc_lo, exec_lo, s4
	s_cbranch_vccz .LBB119_1404
; %bb.1400:
	v_cmp_eq_u16_e32 vcc_lo, 44, v7
	s_mov_b32 s2, -1
	s_cbranch_vccz .LBB119_1404
; %bb.1401:
	v_cvt_f32_f64_e32 v2, v[0:1]
	v_mov_b32_e32 v3, 0xff
	s_mov_b32 s4, exec_lo
	s_delay_alu instid0(VALU_DEP_2) | instskip(NEXT) | instid1(VALU_DEP_1)
	v_bfe_u32 v4, v2, 23, 8
	v_cmpx_ne_u32_e32 0xff, v4
; %bb.1402:
	v_and_b32_e32 v3, 0x400000, v2
	v_and_or_b32 v4, 0x3fffff, v2, v4
	v_lshrrev_b32_e32 v2, 23, v2
	s_delay_alu instid0(VALU_DEP_3) | instskip(NEXT) | instid1(VALU_DEP_3)
	v_cmp_ne_u32_e32 vcc_lo, 0, v3
	v_cmp_ne_u32_e64 s2, 0, v4
	s_delay_alu instid0(VALU_DEP_1) | instskip(NEXT) | instid1(SALU_CYCLE_1)
	s_and_b32 s2, vcc_lo, s2
	v_cndmask_b32_e64 v3, 0, 1, s2
	s_delay_alu instid0(VALU_DEP_1)
	v_add_nc_u32_e32 v3, v2, v3
; %bb.1403:
	s_or_b32 exec_lo, exec_lo, s4
	s_mov_b32 s2, 0
	global_store_b8 v[5:6], v3, off
.LBB119_1404:
	s_mov_b32 s4, 0
.LBB119_1405:
	s_delay_alu instid0(SALU_CYCLE_1)
	s_and_b32 vcc_lo, exec_lo, s4
	s_cbranch_vccz .LBB119_1408
; %bb.1406:
	v_cmp_eq_u16_e32 vcc_lo, 29, v7
	s_mov_b32 s2, -1
	s_cbranch_vccz .LBB119_1408
; %bb.1407:
	v_trunc_f64_e32 v[2:3], v[0:1]
	s_mov_b32 s2, 0
	s_delay_alu instid0(VALU_DEP_1) | instskip(NEXT) | instid1(VALU_DEP_1)
	v_ldexp_f64 v[8:9], v[2:3], 0xffffffe0
	v_floor_f64_e32 v[8:9], v[8:9]
	s_delay_alu instid0(VALU_DEP_1) | instskip(SKIP_1) | instid1(VALU_DEP_2)
	v_fma_f64 v[2:3], 0xc1f00000, v[8:9], v[2:3]
	v_cvt_u32_f64_e32 v4, v[8:9]
	v_cvt_u32_f64_e32 v3, v[2:3]
	global_store_b64 v[5:6], v[3:4], off
.LBB119_1408:
	s_mov_b32 s4, 0
.LBB119_1409:
	s_delay_alu instid0(SALU_CYCLE_1)
	s_and_b32 vcc_lo, exec_lo, s4
	s_cbranch_vccz .LBB119_1424
; %bb.1410:
	v_cmp_gt_i16_e32 vcc_lo, 27, v7
	s_mov_b32 s4, -1
	s_cbranch_vccnz .LBB119_1416
; %bb.1411:
	s_delay_alu instid0(VALU_DEP_4)
	v_cvt_u32_f64_e32 v2, v[0:1]
	v_cmp_lt_i16_e32 vcc_lo, 27, v7
	s_cbranch_vccz .LBB119_1413
; %bb.1412:
	s_mov_b32 s4, 0
	global_store_b32 v[5:6], v2, off
.LBB119_1413:
	s_and_not1_b32 vcc_lo, exec_lo, s4
	s_cbranch_vccnz .LBB119_1415
; %bb.1414:
	global_store_b16 v[5:6], v2, off
.LBB119_1415:
	s_mov_b32 s4, 0
.LBB119_1416:
	s_delay_alu instid0(SALU_CYCLE_1)
	s_and_not1_b32 vcc_lo, exec_lo, s4
	s_cbranch_vccnz .LBB119_1424
; %bb.1417:
	s_delay_alu instid0(VALU_DEP_4) | instskip(SKIP_2) | instid1(VALU_DEP_2)
	v_cvt_f32_f64_e32 v2, v[0:1]
	v_mov_b32_e32 v4, 0x80
	s_mov_b32 s4, exec_lo
	v_and_b32_e32 v3, 0x7fffffff, v2
	s_delay_alu instid0(VALU_DEP_1)
	v_cmpx_gt_u32_e32 0x43800000, v3
	s_cbranch_execz .LBB119_1423
; %bb.1418:
	v_cmp_lt_u32_e32 vcc_lo, 0x3bffffff, v3
	s_mov_b32 s5, 0
                                        ; implicit-def: $vgpr3
	s_and_saveexec_b32 s7, vcc_lo
	s_delay_alu instid0(SALU_CYCLE_1)
	s_xor_b32 s7, exec_lo, s7
	s_cbranch_execz .LBB119_1704
; %bb.1419:
	v_bfe_u32 v3, v2, 20, 1
	s_mov_b32 s5, exec_lo
	s_delay_alu instid0(VALU_DEP_1) | instskip(NEXT) | instid1(VALU_DEP_1)
	v_add3_u32 v3, v2, v3, 0x487ffff
	v_lshrrev_b32_e32 v3, 20, v3
	s_or_saveexec_b32 s7, s7
                                        ; implicit-def: $sgpr8
	s_delay_alu instid0(SALU_CYCLE_1)
	s_xor_b32 exec_lo, exec_lo, s7
	s_cbranch_execnz .LBB119_1705
.LBB119_1420:
	s_or_b32 exec_lo, exec_lo, s7
	v_mov_b32_e32 v4, s8
	s_and_saveexec_b32 s7, s5
.LBB119_1421:
	v_lshrrev_b32_e32 v2, 24, v2
	s_delay_alu instid0(VALU_DEP_1)
	v_and_or_b32 v4, 0x80, v2, v3
.LBB119_1422:
	s_or_b32 exec_lo, exec_lo, s7
.LBB119_1423:
	s_delay_alu instid0(SALU_CYCLE_1)
	s_or_b32 exec_lo, exec_lo, s4
	global_store_b8 v[5:6], v4, off
.LBB119_1424:
	s_mov_b32 s4, 0
.LBB119_1425:
	s_delay_alu instid0(SALU_CYCLE_1)
	s_and_b32 vcc_lo, exec_lo, s4
	s_mov_b32 s4, 0
	s_cbranch_vccz .LBB119_1465
; %bb.1426:
	v_cmp_lt_i16_e32 vcc_lo, 22, v7
	s_mov_b32 s5, -1
	s_cbranch_vccz .LBB119_1458
; %bb.1427:
	v_cmp_gt_i16_e32 vcc_lo, 24, v7
	s_cbranch_vccnz .LBB119_1447
; %bb.1428:
	v_cmp_lt_i16_e32 vcc_lo, 24, v7
	s_cbranch_vccz .LBB119_1436
; %bb.1429:
	v_cvt_f32_f64_e32 v2, v[0:1]
	v_mov_b32_e32 v4, 0x80
	s_mov_b32 s5, exec_lo
	s_delay_alu instid0(VALU_DEP_2) | instskip(NEXT) | instid1(VALU_DEP_1)
	v_and_b32_e32 v3, 0x7fffffff, v2
	v_cmpx_gt_u32_e32 0x47800000, v3
	s_cbranch_execz .LBB119_1435
; %bb.1430:
	v_cmp_lt_u32_e32 vcc_lo, 0x37ffffff, v3
	s_mov_b32 s7, 0
                                        ; implicit-def: $vgpr3
	s_and_saveexec_b32 s8, vcc_lo
	s_delay_alu instid0(SALU_CYCLE_1)
	s_xor_b32 s8, exec_lo, s8
	s_cbranch_execz .LBB119_1895
; %bb.1431:
	v_bfe_u32 v3, v2, 21, 1
	s_mov_b32 s7, exec_lo
	s_delay_alu instid0(VALU_DEP_1) | instskip(NEXT) | instid1(VALU_DEP_1)
	v_add3_u32 v3, v2, v3, 0x88fffff
	v_lshrrev_b32_e32 v3, 21, v3
	s_or_saveexec_b32 s8, s8
                                        ; implicit-def: $sgpr9
	s_delay_alu instid0(SALU_CYCLE_1)
	s_xor_b32 exec_lo, exec_lo, s8
	s_cbranch_execnz .LBB119_1896
.LBB119_1432:
	s_or_b32 exec_lo, exec_lo, s8
	v_mov_b32_e32 v4, s9
	s_and_saveexec_b32 s8, s7
.LBB119_1433:
	v_lshrrev_b32_e32 v2, 24, v2
	s_delay_alu instid0(VALU_DEP_1)
	v_and_or_b32 v4, 0x80, v2, v3
.LBB119_1434:
	s_or_b32 exec_lo, exec_lo, s8
.LBB119_1435:
	s_delay_alu instid0(SALU_CYCLE_1)
	s_or_b32 exec_lo, exec_lo, s5
	s_mov_b32 s5, 0
	global_store_b8 v[5:6], v4, off
.LBB119_1436:
	s_and_b32 vcc_lo, exec_lo, s5
	s_cbranch_vccz .LBB119_1446
; %bb.1437:
	v_cvt_f32_f64_e32 v2, v[0:1]
	s_mov_b32 s5, exec_lo
                                        ; implicit-def: $vgpr3
	s_delay_alu instid0(VALU_DEP_1) | instskip(NEXT) | instid1(VALU_DEP_1)
	v_and_b32_e32 v4, 0x7fffffff, v2
	v_cmpx_gt_u32_e32 0x43f00000, v4
	s_xor_b32 s5, exec_lo, s5
	s_cbranch_execz .LBB119_1443
; %bb.1438:
	s_mov_b32 s7, exec_lo
                                        ; implicit-def: $vgpr3
	v_cmpx_lt_u32_e32 0x3c7fffff, v4
	s_xor_b32 s7, exec_lo, s7
; %bb.1439:
	v_bfe_u32 v3, v2, 20, 1
	s_delay_alu instid0(VALU_DEP_1) | instskip(NEXT) | instid1(VALU_DEP_1)
	v_add3_u32 v3, v2, v3, 0x407ffff
	v_and_b32_e32 v4, 0xff00000, v3
	v_lshrrev_b32_e32 v3, 20, v3
	s_delay_alu instid0(VALU_DEP_2) | instskip(NEXT) | instid1(VALU_DEP_2)
	v_cmp_ne_u32_e32 vcc_lo, 0x7f00000, v4
	v_cndmask_b32_e32 v3, 0x7e, v3, vcc_lo
; %bb.1440:
	s_and_not1_saveexec_b32 s7, s7
; %bb.1441:
	v_add_f32_e64 v3, 0x46800000, |v2|
; %bb.1442:
	s_or_b32 exec_lo, exec_lo, s7
                                        ; implicit-def: $vgpr4
.LBB119_1443:
	s_and_not1_saveexec_b32 s5, s5
; %bb.1444:
	v_mov_b32_e32 v3, 0x7f
	v_cmp_lt_u32_e32 vcc_lo, 0x7f800000, v4
	s_delay_alu instid0(VALU_DEP_2)
	v_cndmask_b32_e32 v3, 0x7e, v3, vcc_lo
; %bb.1445:
	s_or_b32 exec_lo, exec_lo, s5
	v_lshrrev_b32_e32 v2, 24, v2
	s_delay_alu instid0(VALU_DEP_1)
	v_and_or_b32 v2, 0x80, v2, v3
	global_store_b8 v[5:6], v2, off
.LBB119_1446:
	s_mov_b32 s5, 0
.LBB119_1447:
	s_delay_alu instid0(SALU_CYCLE_1)
	s_and_not1_b32 vcc_lo, exec_lo, s5
	s_cbranch_vccnz .LBB119_1457
; %bb.1448:
	s_delay_alu instid0(VALU_DEP_4) | instskip(SKIP_1) | instid1(VALU_DEP_1)
	v_cvt_f32_f64_e32 v2, v[0:1]
	s_mov_b32 s5, exec_lo
                                        ; implicit-def: $vgpr3
	v_and_b32_e32 v4, 0x7fffffff, v2
	s_delay_alu instid0(VALU_DEP_1)
	v_cmpx_gt_u32_e32 0x47800000, v4
	s_xor_b32 s5, exec_lo, s5
	s_cbranch_execz .LBB119_1454
; %bb.1449:
	s_mov_b32 s7, exec_lo
                                        ; implicit-def: $vgpr3
	v_cmpx_lt_u32_e32 0x387fffff, v4
	s_xor_b32 s7, exec_lo, s7
; %bb.1450:
	v_bfe_u32 v3, v2, 21, 1
	s_delay_alu instid0(VALU_DEP_1) | instskip(NEXT) | instid1(VALU_DEP_1)
	v_add3_u32 v3, v2, v3, 0x80fffff
	v_lshrrev_b32_e32 v3, 21, v3
; %bb.1451:
	s_and_not1_saveexec_b32 s7, s7
; %bb.1452:
	v_add_f32_e64 v3, 0x43000000, |v2|
; %bb.1453:
	s_or_b32 exec_lo, exec_lo, s7
                                        ; implicit-def: $vgpr4
.LBB119_1454:
	s_and_not1_saveexec_b32 s5, s5
; %bb.1455:
	v_mov_b32_e32 v3, 0x7f
	v_cmp_lt_u32_e32 vcc_lo, 0x7f800000, v4
	s_delay_alu instid0(VALU_DEP_2)
	v_cndmask_b32_e32 v3, 0x7c, v3, vcc_lo
; %bb.1456:
	s_or_b32 exec_lo, exec_lo, s5
	v_lshrrev_b32_e32 v2, 24, v2
	s_delay_alu instid0(VALU_DEP_1)
	v_and_or_b32 v2, 0x80, v2, v3
	global_store_b8 v[5:6], v2, off
.LBB119_1457:
	s_mov_b32 s5, 0
.LBB119_1458:
	s_delay_alu instid0(SALU_CYCLE_1)
	s_and_not1_b32 vcc_lo, exec_lo, s5
	s_mov_b32 s8, 0
	s_cbranch_vccnz .LBB119_1466
; %bb.1459:
	v_cmp_lt_i16_e32 vcc_lo, 14, v7
	s_mov_b32 s5, -1
	s_cbranch_vccz .LBB119_1463
; %bb.1460:
	v_cmp_eq_u16_e32 vcc_lo, 15, v7
	s_mov_b32 s2, -1
	s_cbranch_vccz .LBB119_1462
; %bb.1461:
	v_cvt_f32_f64_e32 v2, v[0:1]
	s_mov_b32 s2, 0
	s_delay_alu instid0(VALU_DEP_1) | instskip(SKIP_1) | instid1(VALU_DEP_2)
	v_bfe_u32 v3, v2, 16, 1
	v_cmp_o_f32_e32 vcc_lo, v2, v2
	v_add3_u32 v3, v2, v3, 0x7fff
	s_delay_alu instid0(VALU_DEP_1) | instskip(NEXT) | instid1(VALU_DEP_1)
	v_lshrrev_b32_e32 v3, 16, v3
	v_cndmask_b32_e32 v2, 0x7fc0, v3, vcc_lo
	global_store_b16 v[5:6], v2, off
.LBB119_1462:
	s_mov_b32 s5, 0
.LBB119_1463:
	s_delay_alu instid0(SALU_CYCLE_1)
	s_and_b32 vcc_lo, exec_lo, s5
	s_cbranch_vccz .LBB119_1466
; %bb.1464:
	v_cmp_ne_u16_e32 vcc_lo, 11, v7
	s_and_not1_b32 s2, s2, exec_lo
	s_mov_b32 s8, -1
	s_and_b32 s5, vcc_lo, exec_lo
	s_delay_alu instid0(SALU_CYCLE_1)
	s_or_b32 s2, s2, s5
	s_branch .LBB119_1466
.LBB119_1465:
	s_mov_b32 s8, 0
.LBB119_1466:
	s_and_b32 s7, s4, exec_lo
	s_and_not1_b32 s4, s39, exec_lo
	s_and_b32 s5, s2, exec_lo
	s_and_b32 s2, s8, exec_lo
	s_or_b32 s39, s4, s5
.LBB119_1467:
	s_or_b32 exec_lo, exec_lo, s6
	s_and_saveexec_b32 s4, s39
	s_cbranch_execnz .LBB119_1569
; %bb.1468:
	s_or_b32 exec_lo, exec_lo, s4
	s_and_saveexec_b32 s4, s2
	s_delay_alu instid0(SALU_CYCLE_1)
	s_xor_b32 s2, exec_lo, s4
	s_cbranch_execz .LBB119_1470
.LBB119_1469:
	s_waitcnt vmcnt(0)
	s_delay_alu instid0(VALU_DEP_1)
	v_cmp_neq_f64_e32 vcc_lo, 0, v[0:1]
	v_cndmask_b32_e64 v2, 0, 1, vcc_lo
	global_store_b8 v[5:6], v2, off
.LBB119_1470:
	s_or_b32 exec_lo, exec_lo, s2
	s_and_saveexec_b32 s2, s7
	s_delay_alu instid0(SALU_CYCLE_1)
	s_xor_b32 s2, exec_lo, s2
	s_cbranch_execz .LBB119_1508
; %bb.1471:
	v_cmp_gt_i16_e32 vcc_lo, 5, v7
	s_mov_b32 s4, -1
	s_cbranch_vccnz .LBB119_1492
; %bb.1472:
	v_cmp_gt_i16_e32 vcc_lo, 8, v7
	s_cbranch_vccnz .LBB119_1482
; %bb.1473:
	v_cmp_gt_i16_e32 vcc_lo, 9, v7
	s_cbranch_vccnz .LBB119_1479
; %bb.1474:
	v_cmp_lt_i16_e32 vcc_lo, 9, v7
	s_cbranch_vccz .LBB119_1476
; %bb.1475:
	v_mov_b32_e32 v2, 0
	s_mov_b32 s4, 0
	s_waitcnt vmcnt(0)
	s_delay_alu instid0(VALU_DEP_1)
	v_mov_b32_e32 v3, v2
	global_store_b128 v[5:6], v[0:3], off
.LBB119_1476:
	s_and_not1_b32 vcc_lo, exec_lo, s4
	s_cbranch_vccnz .LBB119_1478
; %bb.1477:
	s_waitcnt vmcnt(0)
	v_cvt_f32_f64_e32 v2, v[0:1]
	v_mov_b32_e32 v3, 0
	global_store_b64 v[5:6], v[2:3], off
.LBB119_1478:
	s_mov_b32 s4, 0
.LBB119_1479:
	s_delay_alu instid0(SALU_CYCLE_1)
	s_and_not1_b32 vcc_lo, exec_lo, s4
	s_cbranch_vccnz .LBB119_1481
; %bb.1480:
	s_waitcnt vmcnt(0)
	s_delay_alu instid0(VALU_DEP_4) | instskip(NEXT) | instid1(VALU_DEP_1)
	v_cvt_f32_f64_e32 v2, v[0:1]
	v_cvt_f16_f32_e32 v2, v2
	s_delay_alu instid0(VALU_DEP_1)
	v_and_b32_e32 v2, 0xffff, v2
	global_store_b32 v[5:6], v2, off
.LBB119_1481:
	s_mov_b32 s4, 0
.LBB119_1482:
	s_delay_alu instid0(SALU_CYCLE_1)
	s_and_not1_b32 vcc_lo, exec_lo, s4
	s_cbranch_vccnz .LBB119_1491
; %bb.1483:
	v_cmp_gt_i16_e32 vcc_lo, 6, v7
	s_mov_b32 s4, -1
	s_cbranch_vccnz .LBB119_1489
; %bb.1484:
	v_cmp_lt_i16_e32 vcc_lo, 6, v7
	s_cbranch_vccz .LBB119_1486
; %bb.1485:
	s_mov_b32 s4, 0
	s_waitcnt vmcnt(0)
	global_store_b64 v[5:6], v[0:1], off
.LBB119_1486:
	s_and_not1_b32 vcc_lo, exec_lo, s4
	s_cbranch_vccnz .LBB119_1488
; %bb.1487:
	s_waitcnt vmcnt(0)
	v_cvt_f32_f64_e32 v2, v[0:1]
	global_store_b32 v[5:6], v2, off
.LBB119_1488:
	s_mov_b32 s4, 0
.LBB119_1489:
	s_delay_alu instid0(SALU_CYCLE_1)
	s_and_not1_b32 vcc_lo, exec_lo, s4
	s_cbranch_vccnz .LBB119_1491
; %bb.1490:
	s_waitcnt vmcnt(0)
	s_delay_alu instid0(VALU_DEP_4) | instskip(NEXT) | instid1(VALU_DEP_1)
	v_cvt_f32_f64_e32 v2, v[0:1]
	v_cvt_f16_f32_e32 v2, v2
	global_store_b16 v[5:6], v2, off
.LBB119_1491:
	s_mov_b32 s4, 0
.LBB119_1492:
	s_delay_alu instid0(SALU_CYCLE_1)
	s_and_not1_b32 vcc_lo, exec_lo, s4
	s_cbranch_vccnz .LBB119_1508
; %bb.1493:
	v_cmp_gt_i16_e32 vcc_lo, 2, v7
	s_mov_b32 s4, -1
	s_cbranch_vccnz .LBB119_1503
; %bb.1494:
	v_cmp_gt_i16_e32 vcc_lo, 3, v7
	s_cbranch_vccnz .LBB119_1500
; %bb.1495:
	v_cmp_lt_i16_e32 vcc_lo, 3, v7
	s_cbranch_vccz .LBB119_1497
; %bb.1496:
	s_waitcnt vmcnt(0)
	v_trunc_f64_e32 v[2:3], v[0:1]
	s_mov_b32 s4, 0
	s_delay_alu instid0(VALU_DEP_1) | instskip(NEXT) | instid1(VALU_DEP_1)
	v_ldexp_f64 v[8:9], v[2:3], 0xffffffe0
	v_floor_f64_e32 v[8:9], v[8:9]
	s_delay_alu instid0(VALU_DEP_1) | instskip(SKIP_1) | instid1(VALU_DEP_2)
	v_fma_f64 v[2:3], 0xc1f00000, v[8:9], v[2:3]
	v_cvt_i32_f64_e32 v4, v[8:9]
	v_cvt_u32_f64_e32 v3, v[2:3]
	global_store_b64 v[5:6], v[3:4], off
.LBB119_1497:
	s_and_not1_b32 vcc_lo, exec_lo, s4
	s_cbranch_vccnz .LBB119_1499
; %bb.1498:
	s_waitcnt vmcnt(0)
	v_cvt_i32_f64_e32 v2, v[0:1]
	global_store_b32 v[5:6], v2, off
.LBB119_1499:
	s_mov_b32 s4, 0
.LBB119_1500:
	s_delay_alu instid0(SALU_CYCLE_1)
	s_and_not1_b32 vcc_lo, exec_lo, s4
	s_cbranch_vccnz .LBB119_1502
; %bb.1501:
	s_waitcnt vmcnt(0)
	s_delay_alu instid0(VALU_DEP_4)
	v_cvt_i32_f64_e32 v2, v[0:1]
	global_store_b16 v[5:6], v2, off
.LBB119_1502:
	s_mov_b32 s4, 0
.LBB119_1503:
	s_delay_alu instid0(SALU_CYCLE_1)
	s_and_not1_b32 vcc_lo, exec_lo, s4
	s_cbranch_vccnz .LBB119_1508
; %bb.1504:
	v_cmp_lt_i16_e32 vcc_lo, 0, v7
	s_mov_b32 s4, -1
	s_cbranch_vccz .LBB119_1506
; %bb.1505:
	s_waitcnt vmcnt(0)
	s_delay_alu instid0(VALU_DEP_4)
	v_cvt_i32_f64_e32 v2, v[0:1]
	s_mov_b32 s4, 0
	global_store_b8 v[5:6], v2, off
.LBB119_1506:
	s_and_not1_b32 vcc_lo, exec_lo, s4
	s_cbranch_vccnz .LBB119_1508
; %bb.1507:
	s_waitcnt vmcnt(0)
	s_delay_alu instid0(VALU_DEP_4) | instskip(NEXT) | instid1(VALU_DEP_1)
	v_trunc_f64_e32 v[0:1], v[0:1]
	v_ldexp_f64 v[2:3], v[0:1], 0xffffffe0
	s_delay_alu instid0(VALU_DEP_1) | instskip(NEXT) | instid1(VALU_DEP_1)
	v_floor_f64_e32 v[2:3], v[2:3]
	v_fma_f64 v[0:1], 0xc1f00000, v[2:3], v[0:1]
	s_delay_alu instid0(VALU_DEP_1)
	v_cvt_u32_f64_e32 v0, v[0:1]
	global_store_b8 v[5:6], v0, off
.LBB119_1508:
	s_or_b32 exec_lo, exec_lo, s2
	s_delay_alu instid0(SALU_CYCLE_1)
	s_and_b32 s8, s3, exec_lo
                                        ; implicit-def: $vgpr13
                                        ; implicit-def: $vgpr9
.LBB119_1509:
	s_or_saveexec_b32 s9, s30
	s_mov_b32 s2, 0
                                        ; implicit-def: $vgpr4_vgpr5
                                        ; implicit-def: $sgpr6
                                        ; implicit-def: $vgpr0_vgpr1
	s_xor_b32 exec_lo, exec_lo, s9
	s_cbranch_execz .LBB119_3066
; %bb.1510:
	s_waitcnt vmcnt(0)
	v_cndmask_b32_e64 v1, 0, 1, s29
	s_and_not1_b32 vcc_lo, exec_lo, s29
	s_cbranch_vccnz .LBB119_1516
; %bb.1511:
	v_mov_b32_e32 v2, 0
	v_mov_b32_e32 v0, 0
	;; [unrolled: 1-line block ×3, first 2 shown]
	s_cmp_lg_u32 s26, 0
	s_mov_b32 s4, 0
	s_cbranch_scc0 .LBB119_1517
; %bb.1512:
	s_min_u32 s5, s27, 15
	v_dual_mov_b32 v8, 0 :: v_dual_mov_b32 v3, v9
	s_add_i32 s2, s5, 1
	v_mov_b32_e32 v0, 0
	v_mov_b32_e32 v2, 0
	s_and_b32 s6, s2, 30
	s_add_u32 s2, s20, 0xffffffec
	s_addc_u32 s3, s21, -1
	s_set_inst_prefetch_distance 0x1
	.p2align	6
.LBB119_1513:                           ; =>This Inner Loop Header: Depth=1
	s_clause 0x2
	s_load_b128 s[12:15], s[2:3], 0x18
	s_load_b64 s[10:11], s[2:3], 0x28
	s_load_b128 s[16:19], s[2:3], 0xd8
	s_waitcnt lgkmcnt(0)
	v_mul_hi_u32 v4, s13, v3
	s_delay_alu instid0(VALU_DEP_1) | instskip(NEXT) | instid1(VALU_DEP_1)
	v_add_nc_u32_e32 v4, v3, v4
	v_lshrrev_b32_e32 v4, s14, v4
	s_delay_alu instid0(VALU_DEP_1)
	v_mul_hi_u32 v5, s10, v4
	v_mul_lo_u32 v6, v4, s12
	s_load_b64 s[12:13], s[2:3], 0xe8
	s_add_u32 s2, s2, 24
	s_addc_u32 s3, s3, 0
	s_add_i32 s6, s6, -2
	s_delay_alu instid0(SALU_CYCLE_1) | instskip(NEXT) | instid1(VALU_DEP_2)
	s_cmp_lg_u32 s6, 0
	v_add_nc_u32_e32 v5, v4, v5
	s_delay_alu instid0(VALU_DEP_2) | instskip(NEXT) | instid1(VALU_DEP_2)
	v_sub_nc_u32_e32 v6, v3, v6
	v_lshrrev_b32_e32 v3, s11, v5
	s_delay_alu instid0(VALU_DEP_2) | instskip(NEXT) | instid1(VALU_DEP_2)
	v_mul_lo_u32 v7, v6, s16
	v_mul_lo_u32 v5, v3, s15
	s_delay_alu instid0(VALU_DEP_1) | instskip(SKIP_2) | instid1(VALU_DEP_3)
	v_sub_nc_u32_e32 v4, v4, v5
	v_mul_lo_u32 v5, v6, s17
	v_mul_lo_u32 v6, v6, s18
	;; [unrolled: 1-line block ×3, first 2 shown]
	s_waitcnt lgkmcnt(0)
	v_mul_lo_u32 v11, v4, s12
	v_mul_lo_u32 v4, v4, s13
	s_delay_alu instid0(VALU_DEP_3) | instskip(NEXT) | instid1(VALU_DEP_3)
	v_add3_u32 v2, v7, v2, v10
	v_add3_u32 v0, v5, v0, v11
	s_delay_alu instid0(VALU_DEP_3)
	v_add3_u32 v8, v6, v8, v4
	s_cbranch_scc1 .LBB119_1513
; %bb.1514:
	s_set_inst_prefetch_distance 0x2
	s_bitcmp1_b32 s5, 0
	s_cselect_b32 s5, -1, 0
	s_delay_alu instid0(SALU_CYCLE_1)
	s_and_b32 vcc_lo, exec_lo, s5
	s_cbranch_vccnz .LBB119_1517
; %bb.1515:
	s_clause 0x3
	s_load_b64 s[6:7], s[2:3], 0x18
	s_load_b32 s5, s[2:3], 0x20
	s_load_b64 s[10:11], s[2:3], 0xd8
	s_load_b32 s2, s[2:3], 0xe0
	s_waitcnt lgkmcnt(0)
	v_mul_hi_u32 v4, s7, v3
	s_delay_alu instid0(VALU_DEP_1) | instskip(NEXT) | instid1(VALU_DEP_1)
	v_add_nc_u32_e32 v4, v3, v4
	v_lshrrev_b32_e32 v4, s5, v4
	s_delay_alu instid0(VALU_DEP_1) | instskip(NEXT) | instid1(VALU_DEP_1)
	v_mul_lo_u32 v4, v4, s6
	v_sub_nc_u32_e32 v7, v3, v4
	s_delay_alu instid0(VALU_DEP_1) | instskip(SKIP_2) | instid1(VALU_DEP_3)
	v_mad_u64_u32 v[3:4], null, v7, s10, v[2:3]
	v_mad_u64_u32 v[4:5], null, v7, s11, v[0:1]
	v_mad_u64_u32 v[5:6], null, v7, s2, v[8:9]
	v_mov_b32_e32 v2, v3
	s_delay_alu instid0(VALU_DEP_3) | instskip(NEXT) | instid1(VALU_DEP_3)
	v_mov_b32_e32 v0, v4
	v_mov_b32_e32 v8, v5
	s_branch .LBB119_1517
.LBB119_1516:
	s_mov_b32 s4, -1
                                        ; implicit-def: $vgpr2
                                        ; implicit-def: $vgpr0
                                        ; implicit-def: $vgpr8
.LBB119_1517:
	s_delay_alu instid0(SALU_CYCLE_1)
	s_and_not1_b32 vcc_lo, exec_lo, s4
	s_cbranch_vccnz .LBB119_1520
; %bb.1518:
	s_clause 0x1
	s_load_b128 s[4:7], s[20:21], 0x4
	s_load_b128 s[12:15], s[20:21], 0xc4
	s_cmp_lt_u32 s26, 2
	s_waitcnt lgkmcnt(0)
	v_mul_hi_u32 v0, s5, v9
	s_delay_alu instid0(VALU_DEP_1) | instskip(NEXT) | instid1(VALU_DEP_1)
	v_add_nc_u32_e32 v0, v9, v0
	v_lshrrev_b32_e32 v3, s6, v0
	s_delay_alu instid0(VALU_DEP_1) | instskip(NEXT) | instid1(VALU_DEP_1)
	v_mul_lo_u32 v0, v3, s4
	v_sub_nc_u32_e32 v4, v9, v0
	s_delay_alu instid0(VALU_DEP_1)
	v_mul_lo_u32 v2, v4, s12
	v_mul_lo_u32 v0, v4, s13
	;; [unrolled: 1-line block ×3, first 2 shown]
	s_cbranch_scc1 .LBB119_1520
; %bb.1519:
	s_clause 0x1
	s_load_b128 s[4:7], s[20:21], 0x10
	s_load_b128 s[12:15], s[20:21], 0xd0
	s_waitcnt lgkmcnt(0)
	v_mul_hi_u32 v4, s5, v3
	s_delay_alu instid0(VALU_DEP_1) | instskip(NEXT) | instid1(VALU_DEP_1)
	v_add_nc_u32_e32 v4, v3, v4
	v_lshrrev_b32_e32 v4, s6, v4
	s_delay_alu instid0(VALU_DEP_1) | instskip(NEXT) | instid1(VALU_DEP_1)
	v_mul_lo_u32 v4, v4, s4
	v_sub_nc_u32_e32 v7, v3, v4
	s_delay_alu instid0(VALU_DEP_1) | instskip(SKIP_2) | instid1(VALU_DEP_3)
	v_mad_u64_u32 v[3:4], null, v7, s12, v[2:3]
	v_mad_u64_u32 v[4:5], null, v7, s13, v[0:1]
	;; [unrolled: 1-line block ×3, first 2 shown]
	v_mov_b32_e32 v2, v3
	s_delay_alu instid0(VALU_DEP_3) | instskip(NEXT) | instid1(VALU_DEP_3)
	v_mov_b32_e32 v0, v4
	v_mov_b32_e32 v8, v5
.LBB119_1520:
	v_cmp_ne_u32_e32 vcc_lo, 1, v1
	v_add_nc_u32_e32 v3, 0x80, v9
	s_cbranch_vccnz .LBB119_1526
; %bb.1521:
	v_dual_mov_b32 v6, 0 :: v_dual_mov_b32 v7, 0
	v_mov_b32_e32 v11, 0
	s_cmp_lg_u32 s26, 0
	s_mov_b32 s4, 0
	s_cbranch_scc0 .LBB119_1527
; %bb.1522:
	s_min_u32 s5, s27, 15
	v_dual_mov_b32 v11, 0 :: v_dual_mov_b32 v6, 0
	s_add_i32 s2, s5, 1
	v_dual_mov_b32 v7, 0 :: v_dual_mov_b32 v4, v3
	s_and_b32 s6, s2, 30
	s_add_u32 s2, s20, 0xffffffec
	s_addc_u32 s3, s21, -1
	s_set_inst_prefetch_distance 0x1
	.p2align	6
.LBB119_1523:                           ; =>This Inner Loop Header: Depth=1
	s_clause 0x2
	s_load_b128 s[12:15], s[2:3], 0x18
	s_load_b64 s[10:11], s[2:3], 0x28
	s_load_b128 s[16:19], s[2:3], 0xd8
	s_waitcnt lgkmcnt(0)
	v_mul_hi_u32 v5, s13, v4
	s_delay_alu instid0(VALU_DEP_1) | instskip(NEXT) | instid1(VALU_DEP_1)
	v_add_nc_u32_e32 v5, v4, v5
	v_lshrrev_b32_e32 v5, s14, v5
	s_delay_alu instid0(VALU_DEP_1)
	v_mul_hi_u32 v10, s10, v5
	v_mul_lo_u32 v12, v5, s12
	s_load_b64 s[12:13], s[2:3], 0xe8
	s_add_u32 s2, s2, 24
	s_addc_u32 s3, s3, 0
	s_add_i32 s6, s6, -2
	s_delay_alu instid0(SALU_CYCLE_1) | instskip(NEXT) | instid1(VALU_DEP_2)
	s_cmp_lg_u32 s6, 0
	v_add_nc_u32_e32 v10, v5, v10
	s_delay_alu instid0(VALU_DEP_2) | instskip(NEXT) | instid1(VALU_DEP_2)
	v_sub_nc_u32_e32 v12, v4, v12
	v_lshrrev_b32_e32 v4, s11, v10
	s_delay_alu instid0(VALU_DEP_2) | instskip(NEXT) | instid1(VALU_DEP_2)
	v_mul_lo_u32 v14, v12, s16
	v_mul_lo_u32 v10, v4, s15
	s_delay_alu instid0(VALU_DEP_1) | instskip(SKIP_2) | instid1(VALU_DEP_3)
	v_sub_nc_u32_e32 v5, v5, v10
	v_mul_lo_u32 v10, v12, s17
	v_mul_lo_u32 v12, v12, s18
	;; [unrolled: 1-line block ×3, first 2 shown]
	s_waitcnt lgkmcnt(0)
	v_mul_lo_u32 v16, v5, s12
	v_mul_lo_u32 v5, v5, s13
	s_delay_alu instid0(VALU_DEP_3) | instskip(NEXT) | instid1(VALU_DEP_3)
	v_add3_u32 v6, v14, v6, v15
	v_add3_u32 v7, v10, v7, v16
	s_delay_alu instid0(VALU_DEP_3)
	v_add3_u32 v11, v12, v11, v5
	s_cbranch_scc1 .LBB119_1523
; %bb.1524:
	s_set_inst_prefetch_distance 0x2
	s_bitcmp1_b32 s5, 0
	s_cselect_b32 s5, -1, 0
	s_delay_alu instid0(SALU_CYCLE_1)
	s_and_b32 vcc_lo, exec_lo, s5
	s_cbranch_vccnz .LBB119_1527
; %bb.1525:
	s_clause 0x3
	s_load_b64 s[6:7], s[2:3], 0x18
	s_load_b32 s5, s[2:3], 0x20
	s_load_b64 s[10:11], s[2:3], 0xd8
	s_load_b32 s2, s[2:3], 0xe0
	s_waitcnt lgkmcnt(0)
	v_mul_hi_u32 v5, s7, v4
	s_delay_alu instid0(VALU_DEP_1) | instskip(NEXT) | instid1(VALU_DEP_1)
	v_add_nc_u32_e32 v5, v4, v5
	v_lshrrev_b32_e32 v5, s5, v5
	s_delay_alu instid0(VALU_DEP_1) | instskip(NEXT) | instid1(VALU_DEP_1)
	v_mul_lo_u32 v5, v5, s6
	v_sub_nc_u32_e32 v10, v4, v5
	s_delay_alu instid0(VALU_DEP_1) | instskip(SKIP_2) | instid1(VALU_DEP_2)
	v_mad_u64_u32 v[4:5], null, v10, s10, v[6:7]
	v_mad_u64_u32 v[5:6], null, v10, s11, v[7:8]
	;; [unrolled: 1-line block ×3, first 2 shown]
	v_dual_mov_b32 v6, v4 :: v_dual_mov_b32 v7, v5
	s_delay_alu instid0(VALU_DEP_2)
	v_mov_b32_e32 v11, v14
	s_branch .LBB119_1527
.LBB119_1526:
	s_mov_b32 s4, -1
                                        ; implicit-def: $vgpr6
                                        ; implicit-def: $vgpr7
                                        ; implicit-def: $vgpr11
.LBB119_1527:
	s_delay_alu instid0(SALU_CYCLE_1)
	s_and_not1_b32 vcc_lo, exec_lo, s4
	s_cbranch_vccnz .LBB119_1530
; %bb.1528:
	s_clause 0x1
	s_load_b128 s[4:7], s[20:21], 0x4
	s_load_b128 s[12:15], s[20:21], 0xc4
	s_cmp_lt_u32 s26, 2
	s_waitcnt lgkmcnt(0)
	v_mul_hi_u32 v4, s5, v3
	s_delay_alu instid0(VALU_DEP_1) | instskip(NEXT) | instid1(VALU_DEP_1)
	v_add_nc_u32_e32 v4, v3, v4
	v_lshrrev_b32_e32 v4, s6, v4
	s_delay_alu instid0(VALU_DEP_1) | instskip(NEXT) | instid1(VALU_DEP_1)
	v_mul_lo_u32 v5, v4, s4
	v_sub_nc_u32_e32 v3, v3, v5
	s_delay_alu instid0(VALU_DEP_1)
	v_mul_lo_u32 v6, v3, s12
	v_mul_lo_u32 v7, v3, s13
	;; [unrolled: 1-line block ×3, first 2 shown]
	s_cbranch_scc1 .LBB119_1530
; %bb.1529:
	s_clause 0x1
	s_load_b128 s[4:7], s[20:21], 0x10
	s_load_b128 s[12:15], s[20:21], 0xd0
	s_waitcnt lgkmcnt(0)
	v_mul_hi_u32 v3, s5, v4
	s_delay_alu instid0(VALU_DEP_1) | instskip(NEXT) | instid1(VALU_DEP_1)
	v_add_nc_u32_e32 v3, v4, v3
	v_lshrrev_b32_e32 v3, s6, v3
	s_delay_alu instid0(VALU_DEP_1) | instskip(NEXT) | instid1(VALU_DEP_1)
	v_mul_lo_u32 v3, v3, s4
	v_sub_nc_u32_e32 v10, v4, v3
	s_delay_alu instid0(VALU_DEP_1) | instskip(SKIP_2) | instid1(VALU_DEP_2)
	v_mad_u64_u32 v[3:4], null, v10, s12, v[6:7]
	v_mad_u64_u32 v[4:5], null, v10, s13, v[7:8]
	;; [unrolled: 1-line block ×3, first 2 shown]
	v_dual_mov_b32 v6, v3 :: v_dual_mov_b32 v7, v4
	s_delay_alu instid0(VALU_DEP_2)
	v_mov_b32_e32 v11, v5
.LBB119_1530:
	v_cmp_ne_u32_e32 vcc_lo, 1, v1
	v_add_nc_u32_e32 v3, 0x100, v9
	s_cbranch_vccnz .LBB119_1536
; %bb.1531:
	v_dual_mov_b32 v5, 0 :: v_dual_mov_b32 v10, 0
	v_mov_b32_e32 v12, 0
	s_cmp_lg_u32 s26, 0
	s_mov_b32 s4, 0
	s_cbranch_scc0 .LBB119_1537
; %bb.1532:
	s_min_u32 s5, s27, 15
	v_dual_mov_b32 v12, 0 :: v_dual_mov_b32 v5, 0
	s_add_i32 s2, s5, 1
	v_mov_b32_e32 v10, 0
	v_mov_b32_e32 v4, v3
	s_and_b32 s6, s2, 30
	s_add_u32 s2, s20, 0xffffffec
	s_addc_u32 s3, s21, -1
	s_set_inst_prefetch_distance 0x1
	.p2align	6
.LBB119_1533:                           ; =>This Inner Loop Header: Depth=1
	s_clause 0x2
	s_load_b128 s[12:15], s[2:3], 0x18
	s_load_b64 s[10:11], s[2:3], 0x28
	s_load_b128 s[16:19], s[2:3], 0xd8
	s_waitcnt lgkmcnt(0)
	v_mul_hi_u32 v9, s13, v4
	s_delay_alu instid0(VALU_DEP_1) | instskip(NEXT) | instid1(VALU_DEP_1)
	v_add_nc_u32_e32 v9, v4, v9
	v_lshrrev_b32_e32 v9, s14, v9
	s_delay_alu instid0(VALU_DEP_1)
	v_mul_hi_u32 v14, s10, v9
	v_mul_lo_u32 v15, v9, s12
	s_load_b64 s[12:13], s[2:3], 0xe8
	s_add_u32 s2, s2, 24
	s_addc_u32 s3, s3, 0
	s_add_i32 s6, s6, -2
	s_delay_alu instid0(SALU_CYCLE_1) | instskip(NEXT) | instid1(VALU_DEP_2)
	s_cmp_lg_u32 s6, 0
	v_add_nc_u32_e32 v14, v9, v14
	s_delay_alu instid0(VALU_DEP_2) | instskip(NEXT) | instid1(VALU_DEP_2)
	v_sub_nc_u32_e32 v15, v4, v15
	v_lshrrev_b32_e32 v4, s11, v14
	s_delay_alu instid0(VALU_DEP_2) | instskip(NEXT) | instid1(VALU_DEP_2)
	v_mul_lo_u32 v16, v15, s16
	v_mul_lo_u32 v14, v4, s15
	s_delay_alu instid0(VALU_DEP_1) | instskip(SKIP_2) | instid1(VALU_DEP_3)
	v_sub_nc_u32_e32 v9, v9, v14
	v_mul_lo_u32 v14, v15, s17
	v_mul_lo_u32 v15, v15, s18
	;; [unrolled: 1-line block ×3, first 2 shown]
	s_waitcnt lgkmcnt(0)
	v_mul_lo_u32 v18, v9, s12
	v_mul_lo_u32 v9, v9, s13
	s_delay_alu instid0(VALU_DEP_3) | instskip(NEXT) | instid1(VALU_DEP_3)
	v_add3_u32 v5, v16, v5, v17
	v_add3_u32 v10, v14, v10, v18
	s_delay_alu instid0(VALU_DEP_3)
	v_add3_u32 v12, v15, v12, v9
	s_cbranch_scc1 .LBB119_1533
; %bb.1534:
	s_set_inst_prefetch_distance 0x2
	s_bitcmp1_b32 s5, 0
	s_cselect_b32 s5, -1, 0
	s_delay_alu instid0(SALU_CYCLE_1)
	s_and_b32 vcc_lo, exec_lo, s5
	s_cbranch_vccnz .LBB119_1537
; %bb.1535:
	s_clause 0x3
	s_load_b64 s[6:7], s[2:3], 0x18
	s_load_b32 s5, s[2:3], 0x20
	s_load_b64 s[10:11], s[2:3], 0xd8
	s_load_b32 s2, s[2:3], 0xe0
	s_waitcnt lgkmcnt(0)
	v_mul_hi_u32 v9, s7, v4
	s_delay_alu instid0(VALU_DEP_1) | instskip(NEXT) | instid1(VALU_DEP_1)
	v_add_nc_u32_e32 v9, v4, v9
	v_lshrrev_b32_e32 v9, s5, v9
	s_delay_alu instid0(VALU_DEP_1) | instskip(NEXT) | instid1(VALU_DEP_1)
	v_mul_lo_u32 v9, v9, s6
	v_sub_nc_u32_e32 v16, v4, v9
	s_delay_alu instid0(VALU_DEP_1) | instskip(SKIP_2) | instid1(VALU_DEP_2)
	v_mad_u64_u32 v[14:15], null, v16, s10, v[5:6]
	v_mad_u64_u32 v[4:5], null, v16, s11, v[10:11]
	;; [unrolled: 1-line block ×3, first 2 shown]
	v_dual_mov_b32 v5, v14 :: v_dual_mov_b32 v10, v4
	s_delay_alu instid0(VALU_DEP_2)
	v_mov_b32_e32 v12, v9
	s_branch .LBB119_1537
.LBB119_1536:
	s_mov_b32 s4, -1
                                        ; implicit-def: $vgpr5
                                        ; implicit-def: $vgpr10
                                        ; implicit-def: $vgpr12
.LBB119_1537:
	s_delay_alu instid0(SALU_CYCLE_1)
	s_and_not1_b32 vcc_lo, exec_lo, s4
	s_cbranch_vccnz .LBB119_1540
; %bb.1538:
	s_clause 0x1
	s_load_b128 s[4:7], s[20:21], 0x4
	s_load_b128 s[12:15], s[20:21], 0xc4
	s_cmp_lt_u32 s26, 2
	s_waitcnt lgkmcnt(0)
	v_mul_hi_u32 v4, s5, v3
	s_delay_alu instid0(VALU_DEP_1) | instskip(NEXT) | instid1(VALU_DEP_1)
	v_add_nc_u32_e32 v4, v3, v4
	v_lshrrev_b32_e32 v4, s6, v4
	s_delay_alu instid0(VALU_DEP_1) | instskip(NEXT) | instid1(VALU_DEP_1)
	v_mul_lo_u32 v5, v4, s4
	v_sub_nc_u32_e32 v3, v3, v5
	s_delay_alu instid0(VALU_DEP_1)
	v_mul_lo_u32 v5, v3, s12
	v_mul_lo_u32 v10, v3, s13
	;; [unrolled: 1-line block ×3, first 2 shown]
	s_cbranch_scc1 .LBB119_1540
; %bb.1539:
	s_clause 0x1
	s_load_b128 s[4:7], s[20:21], 0x10
	s_load_b128 s[12:15], s[20:21], 0xd0
	s_waitcnt lgkmcnt(0)
	v_mul_hi_u32 v3, s5, v4
	s_delay_alu instid0(VALU_DEP_1) | instskip(NEXT) | instid1(VALU_DEP_1)
	v_add_nc_u32_e32 v3, v4, v3
	v_lshrrev_b32_e32 v3, s6, v3
	s_delay_alu instid0(VALU_DEP_1) | instskip(NEXT) | instid1(VALU_DEP_1)
	v_mul_lo_u32 v3, v3, s4
	v_sub_nc_u32_e32 v14, v4, v3
	s_delay_alu instid0(VALU_DEP_1) | instskip(SKIP_2) | instid1(VALU_DEP_2)
	v_mad_u64_u32 v[3:4], null, v14, s12, v[5:6]
	v_mad_u64_u32 v[4:5], null, v14, s13, v[10:11]
	;; [unrolled: 1-line block ×3, first 2 shown]
	v_dual_mov_b32 v5, v3 :: v_dual_mov_b32 v10, v4
	s_delay_alu instid0(VALU_DEP_2)
	v_mov_b32_e32 v12, v9
.LBB119_1540:
	v_cmp_ne_u32_e32 vcc_lo, 1, v1
	s_cbranch_vccnz .LBB119_1546
; %bb.1541:
	v_dual_mov_b32 v4, 0 :: v_dual_mov_b32 v9, 0
	v_mov_b32_e32 v3, 0
	s_cmp_lg_u32 s26, 0
	s_mov_b32 s4, 0
	s_cbranch_scc0 .LBB119_1547
; %bb.1542:
	s_min_u32 s5, s27, 15
	v_dual_mov_b32 v3, 0 :: v_dual_mov_b32 v4, 0
	s_add_i32 s2, s5, 1
	v_mov_b32_e32 v9, 0
	v_mov_b32_e32 v1, v13
	s_and_b32 s6, s2, 30
	s_add_u32 s2, s20, 0xffffffec
	s_addc_u32 s3, s21, -1
	s_set_inst_prefetch_distance 0x1
	.p2align	6
.LBB119_1543:                           ; =>This Inner Loop Header: Depth=1
	s_clause 0x2
	s_load_b128 s[12:15], s[2:3], 0x18
	s_load_b64 s[10:11], s[2:3], 0x28
	s_load_b128 s[16:19], s[2:3], 0xd8
	s_waitcnt lgkmcnt(0)
	v_mul_hi_u32 v14, s13, v1
	s_delay_alu instid0(VALU_DEP_1) | instskip(NEXT) | instid1(VALU_DEP_1)
	v_add_nc_u32_e32 v14, v1, v14
	v_lshrrev_b32_e32 v14, s14, v14
	s_delay_alu instid0(VALU_DEP_1)
	v_mul_hi_u32 v15, s10, v14
	v_mul_lo_u32 v16, v14, s12
	s_load_b64 s[12:13], s[2:3], 0xe8
	s_add_u32 s2, s2, 24
	s_addc_u32 s3, s3, 0
	s_add_i32 s6, s6, -2
	s_delay_alu instid0(SALU_CYCLE_1) | instskip(NEXT) | instid1(VALU_DEP_2)
	s_cmp_lg_u32 s6, 0
	v_add_nc_u32_e32 v15, v14, v15
	s_delay_alu instid0(VALU_DEP_2) | instskip(NEXT) | instid1(VALU_DEP_2)
	v_sub_nc_u32_e32 v16, v1, v16
	v_lshrrev_b32_e32 v1, s11, v15
	s_delay_alu instid0(VALU_DEP_2) | instskip(NEXT) | instid1(VALU_DEP_2)
	v_mul_lo_u32 v17, v16, s16
	v_mul_lo_u32 v15, v1, s15
	s_delay_alu instid0(VALU_DEP_1) | instskip(SKIP_2) | instid1(VALU_DEP_3)
	v_sub_nc_u32_e32 v14, v14, v15
	v_mul_lo_u32 v15, v16, s17
	v_mul_lo_u32 v16, v16, s18
	;; [unrolled: 1-line block ×3, first 2 shown]
	s_waitcnt lgkmcnt(0)
	v_mul_lo_u32 v19, v14, s12
	v_mul_lo_u32 v14, v14, s13
	s_delay_alu instid0(VALU_DEP_3) | instskip(NEXT) | instid1(VALU_DEP_3)
	v_add3_u32 v4, v17, v4, v18
	v_add3_u32 v9, v15, v9, v19
	s_delay_alu instid0(VALU_DEP_3)
	v_add3_u32 v3, v16, v3, v14
	s_cbranch_scc1 .LBB119_1543
; %bb.1544:
	s_set_inst_prefetch_distance 0x2
	s_bitcmp1_b32 s5, 0
	s_cselect_b32 s5, -1, 0
	s_delay_alu instid0(SALU_CYCLE_1)
	s_and_b32 vcc_lo, exec_lo, s5
	s_cbranch_vccnz .LBB119_1547
; %bb.1545:
	s_clause 0x3
	s_load_b64 s[6:7], s[2:3], 0x18
	s_load_b32 s5, s[2:3], 0x20
	s_load_b64 s[10:11], s[2:3], 0xd8
	s_load_b32 s2, s[2:3], 0xe0
	s_waitcnt lgkmcnt(0)
	v_mul_hi_u32 v14, s7, v1
	s_delay_alu instid0(VALU_DEP_1) | instskip(NEXT) | instid1(VALU_DEP_1)
	v_add_nc_u32_e32 v14, v1, v14
	v_lshrrev_b32_e32 v14, s5, v14
	s_delay_alu instid0(VALU_DEP_1) | instskip(NEXT) | instid1(VALU_DEP_1)
	v_mul_lo_u32 v14, v14, s6
	v_sub_nc_u32_e32 v1, v1, v14
	s_delay_alu instid0(VALU_DEP_1) | instskip(SKIP_2) | instid1(VALU_DEP_2)
	v_mad_u64_u32 v[14:15], null, v1, s10, v[4:5]
	v_mad_u64_u32 v[15:16], null, v1, s11, v[9:10]
	;; [unrolled: 1-line block ×3, first 2 shown]
	v_dual_mov_b32 v4, v14 :: v_dual_mov_b32 v9, v15
	s_delay_alu instid0(VALU_DEP_2)
	v_mov_b32_e32 v3, v16
	s_branch .LBB119_1547
.LBB119_1546:
	s_mov_b32 s4, -1
                                        ; implicit-def: $vgpr4
                                        ; implicit-def: $vgpr9
                                        ; implicit-def: $vgpr3
.LBB119_1547:
	s_delay_alu instid0(SALU_CYCLE_1)
	s_and_not1_b32 vcc_lo, exec_lo, s4
	s_cbranch_vccnz .LBB119_1550
; %bb.1548:
	s_clause 0x1
	s_load_b128 s[4:7], s[20:21], 0x4
	s_load_b128 s[12:15], s[20:21], 0xc4
	s_cmp_lt_u32 s26, 2
	s_waitcnt lgkmcnt(0)
	v_mul_hi_u32 v1, s5, v13
	s_delay_alu instid0(VALU_DEP_1) | instskip(NEXT) | instid1(VALU_DEP_1)
	v_add_nc_u32_e32 v1, v13, v1
	v_lshrrev_b32_e32 v1, s6, v1
	s_delay_alu instid0(VALU_DEP_1) | instskip(NEXT) | instid1(VALU_DEP_1)
	v_mul_lo_u32 v3, v1, s4
	v_sub_nc_u32_e32 v3, v13, v3
	s_delay_alu instid0(VALU_DEP_1)
	v_mul_lo_u32 v4, v3, s12
	v_mul_lo_u32 v9, v3, s13
	;; [unrolled: 1-line block ×3, first 2 shown]
	s_cbranch_scc1 .LBB119_1550
; %bb.1549:
	s_clause 0x1
	s_load_b128 s[4:7], s[20:21], 0x10
	s_load_b128 s[12:15], s[20:21], 0xd0
	s_waitcnt lgkmcnt(0)
	v_mul_hi_u32 v13, s5, v1
	s_delay_alu instid0(VALU_DEP_1) | instskip(NEXT) | instid1(VALU_DEP_1)
	v_add_nc_u32_e32 v13, v1, v13
	v_lshrrev_b32_e32 v13, s6, v13
	s_delay_alu instid0(VALU_DEP_1) | instskip(NEXT) | instid1(VALU_DEP_1)
	v_mul_lo_u32 v13, v13, s4
	v_sub_nc_u32_e32 v1, v1, v13
	s_delay_alu instid0(VALU_DEP_1) | instskip(SKIP_2) | instid1(VALU_DEP_2)
	v_mad_u64_u32 v[13:14], null, v1, s12, v[4:5]
	v_mad_u64_u32 v[14:15], null, v1, s13, v[9:10]
	;; [unrolled: 1-line block ×3, first 2 shown]
	v_dual_mov_b32 v4, v13 :: v_dual_mov_b32 v9, v14
	s_delay_alu instid0(VALU_DEP_2)
	v_mov_b32_e32 v3, v15
.LBB119_1550:
	s_clause 0x1
	s_load_b32 s11, s[0:1], 0x1b0
	s_load_b128 s[4:7], s[20:21], 0x188
	s_waitcnt lgkmcnt(0)
	s_lshr_b32 s0, s11, 8
	s_delay_alu instid0(SALU_CYCLE_1) | instskip(SKIP_1) | instid1(VALU_DEP_1)
	v_and_b32_e64 v17, 0xff, s0
	v_add_co_u32 v13, s0, s6, v0
	v_add_co_ci_u32_e64 v14, null, s7, 0, s0
	s_delay_alu instid0(VALU_DEP_3)
	v_cmp_gt_i16_e32 vcc_lo, 11, v17
	s_mov_b32 s0, 0
	s_cbranch_vccnz .LBB119_1557
; %bb.1551:
	v_cmp_lt_i16_e32 vcc_lo, 25, v17
	s_mov_b32 s3, 0
	s_cbranch_vccz .LBB119_1563
; %bb.1552:
	v_cmp_lt_i16_e32 vcc_lo, 28, v17
	s_cbranch_vccz .LBB119_1565
; %bb.1553:
	v_cmp_lt_i16_e32 vcc_lo, 43, v17
	;; [unrolled: 3-line block ×3, first 2 shown]
	s_cbranch_vccz .LBB119_1571
; %bb.1555:
	v_cmp_eq_u16_e32 vcc_lo, 46, v17
	s_mov_b32 s1, 0
	s_cbranch_vccz .LBB119_1616
; %bb.1556:
	global_load_b32 v0, v[13:14], off
	s_mov_b32 s2, 0
	s_mov_b32 s0, -1
	s_waitcnt vmcnt(0)
	v_lshlrev_b32_e32 v0, 16, v0
	s_delay_alu instid0(VALU_DEP_1)
	v_cvt_f64_f32_e32 v[0:1], v0
	s_branch .LBB119_1618
.LBB119_1557:
	s_mov_b32 s10, s8
                                        ; implicit-def: $vgpr0_vgpr1
	s_cbranch_execz .LBB119_1681
; %bb.1558:
	v_cmp_gt_i16_e32 vcc_lo, 5, v17
	s_cbranch_vccnz .LBB119_1564
; %bb.1559:
	v_cmp_gt_i16_e32 vcc_lo, 8, v17
	s_cbranch_vccnz .LBB119_1566
	;; [unrolled: 3-line block ×3, first 2 shown]
; %bb.1561:
	v_cmp_lt_i16_e32 vcc_lo, 9, v17
	s_cbranch_vccz .LBB119_1572
; %bb.1562:
	global_load_b64 v[0:1], v[13:14], off
	s_mov_b32 s0, 0
	s_branch .LBB119_1573
.LBB119_1563:
	s_mov_b32 s2, 0
                                        ; implicit-def: $vgpr0_vgpr1
	s_cbranch_execnz .LBB119_1648
	s_branch .LBB119_1677
.LBB119_1564:
                                        ; implicit-def: $vgpr0_vgpr1
	s_branch .LBB119_1590
.LBB119_1565:
	s_mov_b32 s1, -1
	s_mov_b32 s2, 0
                                        ; implicit-def: $vgpr0_vgpr1
	s_branch .LBB119_1627
.LBB119_1566:
                                        ; implicit-def: $vgpr0_vgpr1
	s_branch .LBB119_1579
.LBB119_1567:
	s_mov_b32 s2, 0
                                        ; implicit-def: $vgpr0_vgpr1
	s_cbranch_execnz .LBB119_1623
	s_branch .LBB119_1626
.LBB119_1568:
	s_mov_b32 s0, -1
                                        ; implicit-def: $vgpr0_vgpr1
	s_branch .LBB119_1576
.LBB119_1569:
	s_cbranch_execnz .LBB119_1613
; %bb.1570:
	s_or_b32 s3, s3, exec_lo
	s_and_not1_b32 s2, s2, exec_lo
	s_or_b32 exec_lo, exec_lo, s4
	s_and_saveexec_b32 s4, s2
	s_delay_alu instid0(SALU_CYCLE_1)
	s_xor_b32 s2, exec_lo, s4
	s_cbranch_execnz .LBB119_1469
	s_branch .LBB119_1470
.LBB119_1571:
	s_mov_b32 s1, -1
	s_mov_b32 s2, 0
	s_branch .LBB119_1617
.LBB119_1572:
	s_mov_b32 s0, -1
                                        ; implicit-def: $vgpr0_vgpr1
.LBB119_1573:
	s_delay_alu instid0(SALU_CYCLE_1)
	s_and_not1_b32 vcc_lo, exec_lo, s0
	s_cbranch_vccnz .LBB119_1575
; %bb.1574:
	global_load_b32 v0, v[13:14], off
	s_waitcnt vmcnt(0)
	v_cvt_f64_f32_e32 v[0:1], v0
.LBB119_1575:
	s_mov_b32 s0, 0
.LBB119_1576:
	s_delay_alu instid0(SALU_CYCLE_1)
	s_and_not1_b32 vcc_lo, exec_lo, s0
	s_cbranch_vccnz .LBB119_1578
; %bb.1577:
	global_load_b32 v0, v[13:14], off
	s_waitcnt vmcnt(0)
	v_cvt_f32_f16_e32 v0, v0
	s_delay_alu instid0(VALU_DEP_1)
	v_cvt_f64_f32_e32 v[0:1], v0
.LBB119_1578:
	s_cbranch_execnz .LBB119_1589
.LBB119_1579:
	v_cmp_gt_i16_e32 vcc_lo, 6, v17
	s_cbranch_vccnz .LBB119_1582
; %bb.1580:
	v_cmp_lt_i16_e32 vcc_lo, 6, v17
	s_cbranch_vccz .LBB119_1583
; %bb.1581:
	global_load_b64 v[0:1], v[13:14], off
	s_mov_b32 s0, 0
	s_branch .LBB119_1584
.LBB119_1582:
	s_mov_b32 s0, -1
                                        ; implicit-def: $vgpr0_vgpr1
	s_branch .LBB119_1587
.LBB119_1583:
	s_mov_b32 s0, -1
                                        ; implicit-def: $vgpr0_vgpr1
.LBB119_1584:
	s_delay_alu instid0(SALU_CYCLE_1)
	s_and_not1_b32 vcc_lo, exec_lo, s0
	s_cbranch_vccnz .LBB119_1586
; %bb.1585:
	global_load_b32 v0, v[13:14], off
	s_waitcnt vmcnt(0)
	v_cvt_f64_f32_e32 v[0:1], v0
.LBB119_1586:
	s_mov_b32 s0, 0
.LBB119_1587:
	s_delay_alu instid0(SALU_CYCLE_1)
	s_and_not1_b32 vcc_lo, exec_lo, s0
	s_cbranch_vccnz .LBB119_1589
; %bb.1588:
	global_load_u16 v0, v[13:14], off
	s_waitcnt vmcnt(0)
	v_cvt_f32_f16_e32 v0, v0
	s_delay_alu instid0(VALU_DEP_1)
	v_cvt_f64_f32_e32 v[0:1], v0
.LBB119_1589:
	s_cbranch_execnz .LBB119_1608
.LBB119_1590:
	v_cmp_gt_i16_e32 vcc_lo, 2, v17
	s_cbranch_vccnz .LBB119_1594
; %bb.1591:
	v_cmp_gt_i16_e32 vcc_lo, 3, v17
	s_cbranch_vccnz .LBB119_1595
; %bb.1592:
	v_cmp_lt_i16_e32 vcc_lo, 3, v17
	s_cbranch_vccz .LBB119_1596
; %bb.1593:
	global_load_b64 v[0:1], v[13:14], off
	s_mov_b32 s0, 0
	s_waitcnt vmcnt(0)
	v_cvt_f64_i32_e32 v[15:16], v1
	v_cvt_f64_u32_e32 v[0:1], v0
	s_delay_alu instid0(VALU_DEP_2) | instskip(NEXT) | instid1(VALU_DEP_1)
	v_ldexp_f64 v[15:16], v[15:16], 32
	v_add_f64 v[0:1], v[15:16], v[0:1]
	s_branch .LBB119_1597
.LBB119_1594:
                                        ; implicit-def: $vgpr0_vgpr1
	s_branch .LBB119_1603
.LBB119_1595:
	s_mov_b32 s0, -1
                                        ; implicit-def: $vgpr0_vgpr1
	s_branch .LBB119_1600
.LBB119_1596:
	s_mov_b32 s0, -1
                                        ; implicit-def: $vgpr0_vgpr1
.LBB119_1597:
	s_delay_alu instid0(SALU_CYCLE_1)
	s_and_not1_b32 vcc_lo, exec_lo, s0
	s_cbranch_vccnz .LBB119_1599
; %bb.1598:
	global_load_b32 v0, v[13:14], off
	s_waitcnt vmcnt(0)
	v_cvt_f64_i32_e32 v[0:1], v0
.LBB119_1599:
	s_mov_b32 s0, 0
.LBB119_1600:
	s_delay_alu instid0(SALU_CYCLE_1)
	s_and_not1_b32 vcc_lo, exec_lo, s0
	s_cbranch_vccnz .LBB119_1602
; %bb.1601:
	global_load_i16 v0, v[13:14], off
	s_waitcnt vmcnt(0)
	v_cvt_f64_i32_e32 v[0:1], v0
.LBB119_1602:
	s_cbranch_execnz .LBB119_1608
.LBB119_1603:
	v_cmp_lt_i16_e32 vcc_lo, 0, v17
	s_mov_b32 s0, 0
	s_cbranch_vccz .LBB119_1605
; %bb.1604:
	global_load_i8 v0, v[13:14], off
	s_waitcnt vmcnt(0)
	v_cvt_f64_i32_e32 v[0:1], v0
	s_branch .LBB119_1606
.LBB119_1605:
	s_mov_b32 s0, -1
                                        ; implicit-def: $vgpr0_vgpr1
.LBB119_1606:
	s_delay_alu instid0(SALU_CYCLE_1)
	s_and_not1_b32 vcc_lo, exec_lo, s0
	s_cbranch_vccnz .LBB119_1608
; %bb.1607:
	global_load_u8 v0, v[13:14], off
	s_waitcnt vmcnt(0)
	v_cvt_f64_u32_e32 v[0:1], v0
.LBB119_1608:
	s_branch .LBB119_1682
.LBB119_1609:
	s_trap 2
	s_sendmsg_rtn_b32 s0, sendmsg(MSG_RTN_GET_DOORBELL)
	s_mov_b32 ttmp2, m0
	s_waitcnt lgkmcnt(0)
	s_and_b32 s0, s0, 0x3ff
	s_delay_alu instid0(SALU_CYCLE_1) | instskip(NEXT) | instid1(SALU_CYCLE_1)
	s_bitset1_b32 s0, 10
	s_mov_b32 m0, s0
	s_sendmsg sendmsg(MSG_INTERRUPT)
	s_mov_b32 m0, ttmp2
.LBB119_1610:                           ; =>This Inner Loop Header: Depth=1
	s_sethalt 5
	s_branch .LBB119_1610
.LBB119_1611:
	s_trap 2
	s_sendmsg_rtn_b32 s0, sendmsg(MSG_RTN_GET_DOORBELL)
	s_mov_b32 ttmp2, m0
	s_waitcnt lgkmcnt(0)
	s_and_b32 s0, s0, 0x3ff
	s_delay_alu instid0(SALU_CYCLE_1) | instskip(NEXT) | instid1(SALU_CYCLE_1)
	s_bitset1_b32 s0, 10
	s_mov_b32 m0, s0
	s_sendmsg sendmsg(MSG_INTERRUPT)
	s_mov_b32 m0, ttmp2
.LBB119_1612:                           ; =>This Inner Loop Header: Depth=1
	s_sethalt 5
	s_branch .LBB119_1612
.LBB119_1613:
	s_trap 2
	s_sendmsg_rtn_b32 s0, sendmsg(MSG_RTN_GET_DOORBELL)
	s_mov_b32 ttmp2, m0
	s_waitcnt lgkmcnt(0)
	s_and_b32 s0, s0, 0x3ff
	s_delay_alu instid0(SALU_CYCLE_1) | instskip(NEXT) | instid1(SALU_CYCLE_1)
	s_bitset1_b32 s0, 10
	s_mov_b32 m0, s0
	s_sendmsg sendmsg(MSG_INTERRUPT)
	s_mov_b32 m0, ttmp2
.LBB119_1614:                           ; =>This Inner Loop Header: Depth=1
	s_sethalt 5
	s_branch .LBB119_1614
.LBB119_1615:
	s_mov_b32 s12, -1
	s_mov_b32 s7, s40
	s_branch .LBB119_1748
.LBB119_1616:
	s_mov_b32 s2, -1
.LBB119_1617:
                                        ; implicit-def: $vgpr0_vgpr1
.LBB119_1618:
	s_and_b32 vcc_lo, exec_lo, s1
	s_cbranch_vccz .LBB119_1621
; %bb.1619:
	v_cmp_eq_u16_e32 vcc_lo, 44, v17
	s_cbranch_vccz .LBB119_1622
; %bb.1620:
	global_load_u8 v15, v[13:14], off
	s_mov_b32 s2, 0
	s_mov_b32 s0, -1
	s_waitcnt vmcnt(0)
	v_cmp_ne_u32_e32 vcc_lo, 0xff, v15
	v_lshlrev_b32_e32 v0, 23, v15
	s_delay_alu instid0(VALU_DEP_1) | instskip(NEXT) | instid1(VALU_DEP_1)
	v_cvt_f64_f32_e32 v[0:1], v0
	v_cndmask_b32_e32 v1, 0x7ff80000, v1, vcc_lo
	s_delay_alu instid0(VALU_DEP_2) | instskip(SKIP_1) | instid1(VALU_DEP_3)
	v_cndmask_b32_e32 v0, 0x20000000, v0, vcc_lo
	v_cmp_ne_u32_e32 vcc_lo, 0, v15
	v_cndmask_b32_e32 v1, 0x38000000, v1, vcc_lo
	s_delay_alu instid0(VALU_DEP_3)
	v_cndmask_b32_e32 v0, 0, v0, vcc_lo
.LBB119_1621:
	s_branch .LBB119_1626
.LBB119_1622:
	s_mov_b32 s2, -1
                                        ; implicit-def: $vgpr0_vgpr1
	s_branch .LBB119_1626
.LBB119_1623:
	v_cmp_eq_u16_e32 vcc_lo, 29, v17
	s_cbranch_vccz .LBB119_1625
; %bb.1624:
	global_load_b64 v[0:1], v[13:14], off
	s_mov_b32 s2, 0
	s_mov_b32 s0, -1
	s_mov_b32 s1, 0
	s_waitcnt vmcnt(0)
	v_cvt_f64_u32_e32 v[15:16], v1
	v_cvt_f64_u32_e32 v[0:1], v0
	s_delay_alu instid0(VALU_DEP_2) | instskip(NEXT) | instid1(VALU_DEP_1)
	v_ldexp_f64 v[15:16], v[15:16], 32
	v_add_f64 v[0:1], v[15:16], v[0:1]
	s_branch .LBB119_1627
.LBB119_1625:
	s_mov_b32 s2, -1
                                        ; implicit-def: $vgpr0_vgpr1
.LBB119_1626:
	s_mov_b32 s1, 0
.LBB119_1627:
	s_delay_alu instid0(SALU_CYCLE_1)
	s_and_b32 vcc_lo, exec_lo, s1
	s_cbranch_vccz .LBB119_1647
; %bb.1628:
	v_cmp_gt_i16_e32 vcc_lo, 27, v17
	s_cbranch_vccnz .LBB119_1631
; %bb.1629:
	v_cmp_lt_i16_e32 vcc_lo, 27, v17
	s_cbranch_vccz .LBB119_1632
; %bb.1630:
	global_load_b32 v0, v[13:14], off
	s_mov_b32 s0, 0
	s_waitcnt vmcnt(0)
	v_cvt_f64_u32_e32 v[0:1], v0
	s_branch .LBB119_1633
.LBB119_1631:
	s_mov_b32 s0, -1
                                        ; implicit-def: $vgpr0_vgpr1
	s_branch .LBB119_1636
.LBB119_1632:
	s_mov_b32 s0, -1
                                        ; implicit-def: $vgpr0_vgpr1
.LBB119_1633:
	s_delay_alu instid0(SALU_CYCLE_1)
	s_and_not1_b32 vcc_lo, exec_lo, s0
	s_cbranch_vccnz .LBB119_1635
; %bb.1634:
	global_load_u16 v0, v[13:14], off
	s_waitcnt vmcnt(0)
	v_cvt_f64_u32_e32 v[0:1], v0
.LBB119_1635:
	s_mov_b32 s0, 0
.LBB119_1636:
	s_delay_alu instid0(SALU_CYCLE_1)
	s_and_not1_b32 vcc_lo, exec_lo, s0
	s_cbranch_vccnz .LBB119_1646
; %bb.1637:
	global_load_u8 v15, v[13:14], off
	s_mov_b32 s10, 0
	s_mov_b32 s12, exec_lo
                                        ; implicit-def: $sgpr0_sgpr1
	s_waitcnt vmcnt(0)
	v_cmpx_lt_i16_e32 0x7f, v15
	s_xor_b32 s12, exec_lo, s12
	s_cbranch_execz .LBB119_1641
; %bb.1638:
	s_mov_b32 s13, -1
	s_mov_b32 s10, exec_lo
                                        ; implicit-def: $sgpr0_sgpr1
	v_cmpx_eq_u16_e32 0x80, v15
; %bb.1639:
	s_mov_b32 s1, 0x7ff80000
	s_brev_b32 s0, 4
	s_xor_b32 s13, exec_lo, -1
; %bb.1640:
	s_or_b32 exec_lo, exec_lo, s10
	s_delay_alu instid0(SALU_CYCLE_1)
	s_and_b32 s10, s13, exec_lo
.LBB119_1641:
	s_or_saveexec_b32 s12, s12
	v_dual_mov_b32 v0, s0 :: v_dual_mov_b32 v1, s1
	s_xor_b32 exec_lo, exec_lo, s12
; %bb.1642:
	v_cmp_ne_u16_e32 vcc_lo, 0, v15
	v_mov_b32_e32 v0, 0
	v_mov_b32_e32 v1, 0
	s_and_not1_b32 s0, s10, exec_lo
	s_and_b32 s1, vcc_lo, exec_lo
	s_delay_alu instid0(SALU_CYCLE_1)
	s_or_b32 s10, s0, s1
; %bb.1643:
	s_or_b32 exec_lo, exec_lo, s12
	s_and_saveexec_b32 s0, s10
	s_cbranch_execz .LBB119_1645
; %bb.1644:
	v_and_b32_e32 v0, 0xffff, v15
	s_delay_alu instid0(VALU_DEP_1) | instskip(NEXT) | instid1(VALU_DEP_1)
	v_and_b32_e32 v1, 7, v0
	v_clz_i32_u32_e32 v16, v1
	s_delay_alu instid0(VALU_DEP_1) | instskip(NEXT) | instid1(VALU_DEP_1)
	v_min_u32_e32 v16, 32, v16
	v_subrev_nc_u32_e32 v18, 28, v16
	v_sub_nc_u32_e32 v16, 29, v16
	s_delay_alu instid0(VALU_DEP_2) | instskip(SKIP_1) | instid1(VALU_DEP_2)
	v_lshlrev_b32_e32 v18, v18, v0
	v_bfe_u32 v0, v0, 3, 4
	v_and_b32_e32 v18, 7, v18
	s_delay_alu instid0(VALU_DEP_2) | instskip(SKIP_1) | instid1(VALU_DEP_3)
	v_cmp_eq_u32_e32 vcc_lo, 0, v0
	v_dual_cndmask_b32 v0, v0, v16 :: v_dual_lshlrev_b32 v15, 24, v15
	v_cndmask_b32_e32 v1, v1, v18, vcc_lo
	s_delay_alu instid0(VALU_DEP_2) | instskip(NEXT) | instid1(VALU_DEP_3)
	v_and_b32_e32 v15, 0x80000000, v15
	v_lshl_add_u32 v0, v0, 23, 0x3b800000
	s_delay_alu instid0(VALU_DEP_3) | instskip(NEXT) | instid1(VALU_DEP_1)
	v_lshlrev_b32_e32 v1, 20, v1
	v_or3_b32 v0, v15, v0, v1
	s_delay_alu instid0(VALU_DEP_1)
	v_cvt_f64_f32_e32 v[0:1], v0
.LBB119_1645:
	s_or_b32 exec_lo, exec_lo, s0
.LBB119_1646:
	s_mov_b32 s0, -1
.LBB119_1647:
	s_branch .LBB119_1677
.LBB119_1648:
	v_cmp_lt_i16_e32 vcc_lo, 22, v17
	s_cbranch_vccz .LBB119_1660
; %bb.1649:
	v_cmp_gt_i16_e32 vcc_lo, 24, v17
	s_cbranch_vccnz .LBB119_1661
; %bb.1650:
	v_cmp_lt_i16_e32 vcc_lo, 24, v17
	s_cbranch_vccz .LBB119_1662
; %bb.1651:
	global_load_u8 v15, v[13:14], off
	s_mov_b32 s10, exec_lo
                                        ; implicit-def: $sgpr0_sgpr1
	s_waitcnt vmcnt(0)
	v_cmpx_lt_i16_e32 0x7f, v15
	s_xor_b32 s10, exec_lo, s10
	s_cbranch_execz .LBB119_1655
; %bb.1652:
	s_mov_b32 s12, -1
	s_mov_b32 s3, exec_lo
                                        ; implicit-def: $sgpr0_sgpr1
	v_cmpx_eq_u16_e32 0x80, v15
; %bb.1653:
	s_mov_b32 s1, 0x7ff80000
	s_brev_b32 s0, 4
	s_xor_b32 s12, exec_lo, -1
; %bb.1654:
	s_or_b32 exec_lo, exec_lo, s3
	s_delay_alu instid0(SALU_CYCLE_1)
	s_and_b32 s3, s12, exec_lo
.LBB119_1655:
	s_or_saveexec_b32 s10, s10
	v_dual_mov_b32 v0, s0 :: v_dual_mov_b32 v1, s1
	s_xor_b32 exec_lo, exec_lo, s10
; %bb.1656:
	v_cmp_ne_u16_e32 vcc_lo, 0, v15
	v_mov_b32_e32 v0, 0
	v_mov_b32_e32 v1, 0
	s_and_not1_b32 s0, s3, exec_lo
	s_and_b32 s1, vcc_lo, exec_lo
	s_delay_alu instid0(SALU_CYCLE_1)
	s_or_b32 s3, s0, s1
; %bb.1657:
	s_or_b32 exec_lo, exec_lo, s10
	s_and_saveexec_b32 s0, s3
	s_cbranch_execz .LBB119_1659
; %bb.1658:
	v_and_b32_e32 v0, 0xffff, v15
	s_delay_alu instid0(VALU_DEP_1) | instskip(NEXT) | instid1(VALU_DEP_1)
	v_and_b32_e32 v1, 3, v0
	v_clz_i32_u32_e32 v16, v1
	s_delay_alu instid0(VALU_DEP_1) | instskip(NEXT) | instid1(VALU_DEP_1)
	v_min_u32_e32 v16, 32, v16
	v_subrev_nc_u32_e32 v18, 29, v16
	v_sub_nc_u32_e32 v16, 30, v16
	s_delay_alu instid0(VALU_DEP_2) | instskip(SKIP_1) | instid1(VALU_DEP_2)
	v_lshlrev_b32_e32 v18, v18, v0
	v_bfe_u32 v0, v0, 2, 5
	v_and_b32_e32 v18, 3, v18
	s_delay_alu instid0(VALU_DEP_2) | instskip(SKIP_1) | instid1(VALU_DEP_3)
	v_cmp_eq_u32_e32 vcc_lo, 0, v0
	v_dual_cndmask_b32 v0, v0, v16 :: v_dual_lshlrev_b32 v15, 24, v15
	v_cndmask_b32_e32 v1, v1, v18, vcc_lo
	s_delay_alu instid0(VALU_DEP_2) | instskip(NEXT) | instid1(VALU_DEP_3)
	v_and_b32_e32 v15, 0x80000000, v15
	v_lshl_add_u32 v0, v0, 23, 0x37800000
	s_delay_alu instid0(VALU_DEP_3) | instskip(NEXT) | instid1(VALU_DEP_1)
	v_lshlrev_b32_e32 v1, 21, v1
	v_or3_b32 v0, v15, v0, v1
	s_delay_alu instid0(VALU_DEP_1)
	v_cvt_f64_f32_e32 v[0:1], v0
.LBB119_1659:
	s_or_b32 exec_lo, exec_lo, s0
	s_mov_b32 s0, 0
	s_branch .LBB119_1663
.LBB119_1660:
                                        ; implicit-def: $vgpr0_vgpr1
	s_mov_b32 s3, 0
	s_branch .LBB119_1669
.LBB119_1661:
	s_mov_b32 s0, -1
                                        ; implicit-def: $vgpr0_vgpr1
	s_branch .LBB119_1666
.LBB119_1662:
	s_mov_b32 s0, -1
                                        ; implicit-def: $vgpr0_vgpr1
.LBB119_1663:
	s_delay_alu instid0(SALU_CYCLE_1)
	s_and_b32 vcc_lo, exec_lo, s0
	s_cbranch_vccz .LBB119_1665
; %bb.1664:
	global_load_u8 v0, v[13:14], off
	s_waitcnt vmcnt(0)
	v_lshlrev_b32_e32 v0, 24, v0
	s_delay_alu instid0(VALU_DEP_1) | instskip(NEXT) | instid1(VALU_DEP_1)
	v_and_b32_e32 v1, 0x7f000000, v0
	v_clz_i32_u32_e32 v15, v1
	v_add_nc_u32_e32 v18, 0x1000000, v1
	v_cmp_ne_u32_e32 vcc_lo, 0, v1
	s_delay_alu instid0(VALU_DEP_3) | instskip(NEXT) | instid1(VALU_DEP_1)
	v_min_u32_e32 v15, 32, v15
	v_sub_nc_u32_e64 v15, v15, 4 clamp
	s_delay_alu instid0(VALU_DEP_1) | instskip(SKIP_1) | instid1(VALU_DEP_2)
	v_lshlrev_b32_e32 v16, v15, v1
	v_lshlrev_b32_e32 v15, 23, v15
	v_lshrrev_b32_e32 v16, 4, v16
	s_delay_alu instid0(VALU_DEP_1) | instskip(SKIP_1) | instid1(VALU_DEP_2)
	v_sub_nc_u32_e32 v15, v16, v15
	v_ashrrev_i32_e32 v16, 8, v18
	v_add_nc_u32_e32 v15, 0x3c000000, v15
	s_delay_alu instid0(VALU_DEP_1) | instskip(NEXT) | instid1(VALU_DEP_1)
	v_and_or_b32 v15, 0x7f800000, v16, v15
	v_cndmask_b32_e32 v1, 0, v15, vcc_lo
	s_delay_alu instid0(VALU_DEP_1) | instskip(NEXT) | instid1(VALU_DEP_1)
	v_and_or_b32 v0, 0x80000000, v0, v1
	v_cvt_f64_f32_e32 v[0:1], v0
.LBB119_1665:
	s_mov_b32 s0, 0
.LBB119_1666:
	s_delay_alu instid0(SALU_CYCLE_1)
	s_and_not1_b32 vcc_lo, exec_lo, s0
	s_cbranch_vccnz .LBB119_1668
; %bb.1667:
	global_load_u8 v0, v[13:14], off
	s_waitcnt vmcnt(0)
	v_lshlrev_b32_e32 v1, 25, v0
	v_lshlrev_b16 v0, 8, v0
	s_delay_alu instid0(VALU_DEP_2) | instskip(NEXT) | instid1(VALU_DEP_2)
	v_lshrrev_b32_e32 v15, 4, v1
	v_and_or_b32 v16, 0x7f00, v0, 0.5
	v_cmp_gt_u32_e32 vcc_lo, 0x8000000, v1
	v_bfe_i32 v0, v0, 0, 16
	s_delay_alu instid0(VALU_DEP_4) | instskip(NEXT) | instid1(VALU_DEP_1)
	v_or_b32_e32 v15, 0x70000000, v15
	v_dual_add_f32 v16, -0.5, v16 :: v_dual_mul_f32 v15, 0x7800000, v15
	s_delay_alu instid0(VALU_DEP_1) | instskip(NEXT) | instid1(VALU_DEP_1)
	v_cndmask_b32_e32 v1, v15, v16, vcc_lo
	v_and_or_b32 v0, 0x80000000, v0, v1
	s_delay_alu instid0(VALU_DEP_1)
	v_cvt_f64_f32_e32 v[0:1], v0
.LBB119_1668:
	s_mov_b32 s0, -1
	s_mov_b32 s3, 0
	s_cbranch_execnz .LBB119_1677
.LBB119_1669:
	v_cmp_lt_i16_e32 vcc_lo, 14, v17
	s_cbranch_vccz .LBB119_1672
; %bb.1670:
	v_cmp_eq_u16_e32 vcc_lo, 15, v17
	s_cbranch_vccz .LBB119_1673
; %bb.1671:
	global_load_u16 v0, v[13:14], off
	s_mov_b32 s2, 0
	s_mov_b32 s0, -1
	s_waitcnt vmcnt(0)
	v_lshlrev_b32_e32 v0, 16, v0
	s_delay_alu instid0(VALU_DEP_1)
	v_cvt_f64_f32_e32 v[0:1], v0
	s_branch .LBB119_1674
.LBB119_1672:
	s_mov_b32 s1, -1
                                        ; implicit-def: $vgpr0_vgpr1
	s_branch .LBB119_1675
.LBB119_1673:
	s_mov_b32 s2, -1
                                        ; implicit-def: $vgpr0_vgpr1
.LBB119_1674:
	s_mov_b32 s1, 0
.LBB119_1675:
	s_delay_alu instid0(SALU_CYCLE_1)
	s_and_b32 vcc_lo, exec_lo, s1
	s_cbranch_vccz .LBB119_1677
; %bb.1676:
	v_cmp_ne_u16_e64 s2, 11, v17
	s_mov_b32 s3, -1
                                        ; implicit-def: $vgpr0_vgpr1
.LBB119_1677:
	s_delay_alu instid0(VALU_DEP_1)
	s_and_b32 vcc_lo, exec_lo, s2
	s_mov_b32 s10, s8
	s_cbranch_vccnz .LBB119_1701
; %bb.1678:
	s_and_not1_b32 vcc_lo, exec_lo, s3
	s_cbranch_vccnz .LBB119_1680
.LBB119_1679:
	global_load_u8 v0, v[13:14], off
	s_mov_b32 s0, -1
	s_waitcnt vmcnt(0)
	v_cmp_ne_u16_e32 vcc_lo, 0, v0
	v_mov_b32_e32 v0, 0
	v_cndmask_b32_e64 v1, 0, 0x3ff00000, vcc_lo
.LBB119_1680:
.LBB119_1681:
	s_and_not1_b32 vcc_lo, exec_lo, s0
	s_cbranch_vccnz .LBB119_3064
.LBB119_1682:
	s_load_b64 s[2:3], s[20:21], 0x198
	s_lshr_b32 s0, s11, 16
	s_mov_b32 s12, 0
	v_and_b32_e64 v16, 0xff, s0
	s_delay_alu instid0(VALU_DEP_1) | instskip(SKIP_2) | instid1(VALU_DEP_1)
	v_cmp_gt_i16_e32 vcc_lo, 11, v16
	s_waitcnt lgkmcnt(0)
	v_add_co_u32 v13, s0, s2, v8
	v_add_co_ci_u32_e64 v14, null, s3, 0, s0
	s_cbranch_vccnz .LBB119_1689
; %bb.1683:
	v_cmp_lt_i16_e32 vcc_lo, 25, v16
	s_mov_b32 s0, 0
	s_cbranch_vccz .LBB119_1695
; %bb.1684:
	v_cmp_lt_i16_e32 vcc_lo, 28, v16
	s_cbranch_vccz .LBB119_1697
; %bb.1685:
	v_cmp_lt_i16_e32 vcc_lo, 43, v16
	;; [unrolled: 3-line block ×3, first 2 shown]
	s_cbranch_vccz .LBB119_1703
; %bb.1687:
	v_cmp_eq_u16_e32 vcc_lo, 46, v16
	s_mov_b32 s13, 0
	s_cbranch_vccz .LBB119_1808
; %bb.1688:
	global_load_b32 v8, v[13:14], off
	s_mov_b32 s1, 0
	s_mov_b32 s12, -1
	s_waitcnt vmcnt(0)
	v_and_b32_e32 v8, 0x7fff7fff, v8
	s_delay_alu instid0(VALU_DEP_1)
	v_cmp_ne_u32_e32 vcc_lo, 0, v8
	s_and_b32 s11, vcc_lo, exec_lo
	s_branch .LBB119_1810
.LBB119_1689:
                                        ; implicit-def: $sgpr11
	s_cbranch_execz .LBB119_1873
; %bb.1690:
	v_cmp_gt_i16_e32 vcc_lo, 5, v16
	s_cbranch_vccnz .LBB119_1696
; %bb.1691:
	v_cmp_gt_i16_e32 vcc_lo, 8, v16
	s_cbranch_vccnz .LBB119_1698
	;; [unrolled: 3-line block ×3, first 2 shown]
; %bb.1693:
	v_cmp_lt_i16_e32 vcc_lo, 9, v16
	s_cbranch_vccz .LBB119_1706
; %bb.1694:
	global_load_b128 v[18:21], v[13:14], off
	s_waitcnt vmcnt(0)
	v_cmp_neq_f64_e32 vcc_lo, 0, v[18:19]
	v_cmp_neq_f64_e64 s0, 0, v[20:21]
	s_delay_alu instid0(VALU_DEP_1)
	s_or_b32 s1, vcc_lo, s0
	s_mov_b32 s0, 0
	s_and_b32 s11, s1, exec_lo
	s_branch .LBB119_1707
.LBB119_1695:
	s_mov_b32 s1, 0
                                        ; implicit-def: $sgpr11
	s_cbranch_execnz .LBB119_1837
	s_branch .LBB119_1869
.LBB119_1696:
                                        ; implicit-def: $sgpr11
	s_branch .LBB119_1725
.LBB119_1697:
	s_mov_b32 s13, -1
	s_mov_b32 s1, 0
                                        ; implicit-def: $sgpr11
	s_branch .LBB119_1818
.LBB119_1698:
	s_mov_b32 s0, -1
                                        ; implicit-def: $sgpr11
	s_branch .LBB119_1713
.LBB119_1699:
	s_mov_b32 s13, -1
	s_mov_b32 s1, 0
                                        ; implicit-def: $sgpr11
	s_branch .LBB119_1813
.LBB119_1700:
	s_mov_b32 s0, -1
                                        ; implicit-def: $sgpr11
	s_branch .LBB119_1710
.LBB119_1701:
	s_cbranch_execnz .LBB119_1745
; %bb.1702:
	s_or_b32 s10, s8, exec_lo
                                        ; implicit-def: $vgpr0_vgpr1
	s_cbranch_execz .LBB119_1679
	s_branch .LBB119_1680
.LBB119_1703:
	s_mov_b32 s13, -1
	s_mov_b32 s1, 0
	s_branch .LBB119_1809
.LBB119_1704:
	s_or_saveexec_b32 s7, s7
                                        ; implicit-def: $sgpr8
	s_delay_alu instid0(SALU_CYCLE_1)
	s_xor_b32 exec_lo, exec_lo, s7
	s_cbranch_execz .LBB119_1420
.LBB119_1705:
	v_add_f32_e64 v3, 0x46000000, |v2|
	s_and_not1_b32 s5, s5, exec_lo
	s_mov_b32 s8, 0
	s_delay_alu instid0(VALU_DEP_1) | instskip(NEXT) | instid1(VALU_DEP_1)
	v_and_b32_e32 v3, 0xff, v3
	v_cmp_ne_u32_e32 vcc_lo, 0, v3
	s_and_b32 s9, vcc_lo, exec_lo
	s_delay_alu instid0(SALU_CYCLE_1)
	s_or_b32 s5, s5, s9
	s_or_b32 exec_lo, exec_lo, s7
	v_mov_b32_e32 v4, s8
	s_and_saveexec_b32 s7, s5
	s_cbranch_execnz .LBB119_1421
	s_branch .LBB119_1422
.LBB119_1706:
	s_mov_b32 s0, -1
                                        ; implicit-def: $sgpr11
.LBB119_1707:
	s_delay_alu instid0(SALU_CYCLE_1)
	s_and_not1_b32 vcc_lo, exec_lo, s0
	s_cbranch_vccnz .LBB119_1709
; %bb.1708:
	global_load_b64 v[18:19], v[13:14], off
	s_and_not1_b32 s0, s11, exec_lo
	s_waitcnt vmcnt(0)
	v_or_b32_e32 v8, v18, v19
	s_delay_alu instid0(VALU_DEP_1) | instskip(NEXT) | instid1(VALU_DEP_1)
	v_and_b32_e32 v8, 0x7fffffff, v8
	v_cmp_ne_u32_e32 vcc_lo, 0, v8
	s_and_b32 s1, vcc_lo, exec_lo
	s_delay_alu instid0(SALU_CYCLE_1)
	s_or_b32 s11, s0, s1
.LBB119_1709:
	s_mov_b32 s0, 0
.LBB119_1710:
	s_delay_alu instid0(SALU_CYCLE_1)
	s_and_not1_b32 vcc_lo, exec_lo, s0
	s_cbranch_vccnz .LBB119_1712
; %bb.1711:
	global_load_b32 v8, v[13:14], off
	s_and_not1_b32 s0, s11, exec_lo
	s_waitcnt vmcnt(0)
	v_and_b32_e32 v8, 0x7fff7fff, v8
	s_delay_alu instid0(VALU_DEP_1) | instskip(SKIP_1) | instid1(SALU_CYCLE_1)
	v_cmp_ne_u32_e32 vcc_lo, 0, v8
	s_and_b32 s1, vcc_lo, exec_lo
	s_or_b32 s11, s0, s1
.LBB119_1712:
	s_mov_b32 s0, 0
.LBB119_1713:
	s_delay_alu instid0(SALU_CYCLE_1)
	s_and_not1_b32 vcc_lo, exec_lo, s0
	s_cbranch_vccnz .LBB119_1724
; %bb.1714:
	v_cmp_gt_i16_e32 vcc_lo, 6, v16
	s_cbranch_vccnz .LBB119_1717
; %bb.1715:
	v_cmp_lt_i16_e32 vcc_lo, 6, v16
	s_cbranch_vccz .LBB119_1718
; %bb.1716:
	global_load_b64 v[18:19], v[13:14], off
	s_mov_b32 s0, 0
	s_waitcnt vmcnt(0)
	v_cmp_neq_f64_e32 vcc_lo, 0, v[18:19]
	s_and_b32 s11, vcc_lo, exec_lo
	s_branch .LBB119_1719
.LBB119_1717:
	s_mov_b32 s0, -1
                                        ; implicit-def: $sgpr11
	s_branch .LBB119_1722
.LBB119_1718:
	s_mov_b32 s0, -1
                                        ; implicit-def: $sgpr11
.LBB119_1719:
	s_delay_alu instid0(SALU_CYCLE_1)
	s_and_not1_b32 vcc_lo, exec_lo, s0
	s_cbranch_vccnz .LBB119_1721
; %bb.1720:
	global_load_b32 v8, v[13:14], off
	s_and_not1_b32 s0, s11, exec_lo
	s_waitcnt vmcnt(0)
	v_cmp_neq_f32_e32 vcc_lo, 0, v8
	s_and_b32 s1, vcc_lo, exec_lo
	s_delay_alu instid0(SALU_CYCLE_1)
	s_or_b32 s11, s0, s1
.LBB119_1721:
	s_mov_b32 s0, 0
.LBB119_1722:
	s_delay_alu instid0(SALU_CYCLE_1)
	s_and_not1_b32 vcc_lo, exec_lo, s0
	s_cbranch_vccnz .LBB119_1724
; %bb.1723:
	global_load_u16 v8, v[13:14], off
	s_and_not1_b32 s0, s11, exec_lo
	s_waitcnt vmcnt(0)
	v_and_b32_e32 v8, 0x7fff, v8
	s_delay_alu instid0(VALU_DEP_1) | instskip(SKIP_1) | instid1(SALU_CYCLE_1)
	v_cmp_ne_u16_e32 vcc_lo, 0, v8
	s_and_b32 s1, vcc_lo, exec_lo
	s_or_b32 s11, s0, s1
.LBB119_1724:
	s_cbranch_execnz .LBB119_1744
.LBB119_1725:
	v_cmp_gt_i16_e32 vcc_lo, 2, v16
	s_cbranch_vccnz .LBB119_1729
; %bb.1726:
	v_cmp_gt_i16_e32 vcc_lo, 3, v16
	s_cbranch_vccnz .LBB119_1730
; %bb.1727:
	v_cmp_lt_i16_e32 vcc_lo, 3, v16
	s_cbranch_vccz .LBB119_1731
; %bb.1728:
	global_load_b64 v[18:19], v[13:14], off
	s_mov_b32 s0, 0
	s_waitcnt vmcnt(0)
	v_cmp_ne_u64_e32 vcc_lo, 0, v[18:19]
	s_and_b32 s11, vcc_lo, exec_lo
	s_branch .LBB119_1732
.LBB119_1729:
	s_mov_b32 s0, -1
                                        ; implicit-def: $sgpr11
	s_branch .LBB119_1738
.LBB119_1730:
	s_mov_b32 s0, -1
                                        ; implicit-def: $sgpr11
	s_branch .LBB119_1735
.LBB119_1731:
	s_mov_b32 s0, -1
                                        ; implicit-def: $sgpr11
.LBB119_1732:
	s_delay_alu instid0(SALU_CYCLE_1)
	s_and_not1_b32 vcc_lo, exec_lo, s0
	s_cbranch_vccnz .LBB119_1734
; %bb.1733:
	global_load_b32 v8, v[13:14], off
	s_and_not1_b32 s0, s11, exec_lo
	s_waitcnt vmcnt(0)
	v_cmp_ne_u32_e32 vcc_lo, 0, v8
	s_and_b32 s1, vcc_lo, exec_lo
	s_delay_alu instid0(SALU_CYCLE_1)
	s_or_b32 s11, s0, s1
.LBB119_1734:
	s_mov_b32 s0, 0
.LBB119_1735:
	s_delay_alu instid0(SALU_CYCLE_1)
	s_and_not1_b32 vcc_lo, exec_lo, s0
	s_cbranch_vccnz .LBB119_1737
; %bb.1736:
	global_load_u16 v8, v[13:14], off
	s_and_not1_b32 s0, s11, exec_lo
	s_waitcnt vmcnt(0)
	v_cmp_ne_u16_e32 vcc_lo, 0, v8
	s_and_b32 s1, vcc_lo, exec_lo
	s_delay_alu instid0(SALU_CYCLE_1)
	s_or_b32 s11, s0, s1
.LBB119_1737:
	s_mov_b32 s0, 0
.LBB119_1738:
	s_delay_alu instid0(SALU_CYCLE_1)
	s_and_not1_b32 vcc_lo, exec_lo, s0
	s_cbranch_vccnz .LBB119_1744
; %bb.1739:
	v_cmp_lt_i16_e32 vcc_lo, 0, v16
	s_mov_b32 s0, 0
	s_cbranch_vccz .LBB119_1741
; %bb.1740:
	global_load_u8 v8, v[13:14], off
	s_waitcnt vmcnt(0)
	v_cmp_ne_u16_e32 vcc_lo, 0, v8
	s_and_b32 s11, vcc_lo, exec_lo
	s_branch .LBB119_1742
.LBB119_1741:
	s_mov_b32 s0, -1
                                        ; implicit-def: $sgpr11
.LBB119_1742:
	s_delay_alu instid0(SALU_CYCLE_1)
	s_and_not1_b32 vcc_lo, exec_lo, s0
	s_cbranch_vccnz .LBB119_1744
; %bb.1743:
	global_load_u8 v8, v[13:14], off
	s_and_not1_b32 s0, s11, exec_lo
	s_waitcnt vmcnt(0)
	v_cmp_ne_u16_e32 vcc_lo, 0, v8
	s_and_b32 s1, vcc_lo, exec_lo
	s_delay_alu instid0(SALU_CYCLE_1)
	s_or_b32 s11, s0, s1
.LBB119_1744:
	s_branch .LBB119_1874
.LBB119_1745:
	s_trap 2
	s_sendmsg_rtn_b32 s0, sendmsg(MSG_RTN_GET_DOORBELL)
	s_mov_b32 ttmp2, m0
	s_waitcnt lgkmcnt(0)
	s_and_b32 s0, s0, 0x3ff
	s_delay_alu instid0(SALU_CYCLE_1) | instskip(NEXT) | instid1(SALU_CYCLE_1)
	s_bitset1_b32 s0, 10
	s_mov_b32 m0, s0
	s_sendmsg sendmsg(MSG_INTERRUPT)
	s_mov_b32 m0, ttmp2
.LBB119_1746:                           ; =>This Inner Loop Header: Depth=1
	s_sethalt 5
	s_branch .LBB119_1746
.LBB119_1747:
	s_mov_b32 s7, -1
.LBB119_1748:
                                        ; implicit-def: $sgpr8
.LBB119_1749:
	s_and_b32 vcc_lo, exec_lo, s12
	s_cbranch_vccz .LBB119_1751
; %bb.1750:
	v_cmp_ne_u16_e32 vcc_lo, 44, v1
	s_and_not1_b32 s7, s7, exec_lo
	s_mov_b32 s9, -1
	s_or_b32 s8, s8, exec_lo
	s_and_b32 s12, vcc_lo, exec_lo
	s_delay_alu instid0(SALU_CYCLE_1)
	s_or_b32 s7, s7, s12
.LBB119_1751:
	s_mov_b32 s12, 0
.LBB119_1752:
	s_delay_alu instid0(SALU_CYCLE_1)
	s_and_b32 vcc_lo, exec_lo, s12
	s_cbranch_vccz .LBB119_1756
; %bb.1753:
	v_cmp_eq_u16_e32 vcc_lo, 29, v1
	s_cbranch_vccz .LBB119_1755
; %bb.1754:
	global_load_b64 v[7:8], v[5:6], off
	s_mov_b32 s7, 0
	s_mov_b32 s9, -1
	s_mov_b32 s12, 0
	s_waitcnt vmcnt(0)
	v_cmp_ne_u64_e32 vcc_lo, 0, v[7:8]
	s_and_b32 s8, vcc_lo, exec_lo
	s_branch .LBB119_1757
.LBB119_1755:
	s_mov_b32 s7, -1
                                        ; implicit-def: $sgpr8
.LBB119_1756:
	s_mov_b32 s12, 0
.LBB119_1757:
	s_delay_alu instid0(SALU_CYCLE_1)
	s_and_b32 vcc_lo, exec_lo, s12
	s_cbranch_vccz .LBB119_1775
; %bb.1758:
	v_cmp_gt_i16_e32 vcc_lo, 27, v1
	s_cbranch_vccnz .LBB119_1761
; %bb.1759:
	v_cmp_lt_i16_e32 vcc_lo, 27, v1
	s_cbranch_vccz .LBB119_1762
; %bb.1760:
	global_load_b32 v0, v[5:6], off
	s_mov_b32 s9, 0
	s_waitcnt vmcnt(0)
	v_cmp_ne_u32_e32 vcc_lo, 0, v0
	s_and_b32 s8, vcc_lo, exec_lo
	s_branch .LBB119_1763
.LBB119_1761:
	s_mov_b32 s9, -1
                                        ; implicit-def: $sgpr8
	s_branch .LBB119_1766
.LBB119_1762:
	s_mov_b32 s9, -1
                                        ; implicit-def: $sgpr8
.LBB119_1763:
	s_delay_alu instid0(SALU_CYCLE_1)
	s_and_not1_b32 vcc_lo, exec_lo, s9
	s_cbranch_vccnz .LBB119_1765
; %bb.1764:
	global_load_u16 v0, v[5:6], off
	s_and_not1_b32 s8, s8, exec_lo
	s_waitcnt vmcnt(0)
	v_cmp_ne_u16_e32 vcc_lo, 0, v0
	s_and_b32 s9, vcc_lo, exec_lo
	s_delay_alu instid0(SALU_CYCLE_1)
	s_or_b32 s8, s8, s9
.LBB119_1765:
	s_mov_b32 s9, 0
.LBB119_1766:
	s_delay_alu instid0(SALU_CYCLE_1)
	s_and_not1_b32 vcc_lo, exec_lo, s9
	s_cbranch_vccnz .LBB119_1774
; %bb.1767:
	global_load_u8 v0, v[5:6], off
	s_mov_b32 s9, 0
	s_mov_b32 s12, exec_lo
                                        ; implicit-def: $sgpr8
	s_waitcnt vmcnt(0)
	v_cmpx_lt_i16_e32 0x7f, v0
	s_xor_b32 s12, exec_lo, s12
	s_cbranch_execz .LBB119_1787
; %bb.1768:
	s_mov_b32 s9, -1
	s_mov_b32 s13, exec_lo
                                        ; implicit-def: $sgpr8
	v_cmpx_eq_u16_e32 0x80, v0
; %bb.1769:
	s_mov_b32 s8, -1
	s_xor_b32 s9, exec_lo, -1
; %bb.1770:
	s_or_b32 exec_lo, exec_lo, s13
	s_delay_alu instid0(SALU_CYCLE_1)
	s_and_b32 s9, s9, exec_lo
	s_and_not1_saveexec_b32 s12, s12
	s_cbranch_execnz .LBB119_1788
.LBB119_1771:
	s_or_b32 exec_lo, exec_lo, s12
	s_and_saveexec_b32 s12, s9
	s_cbranch_execz .LBB119_1773
.LBB119_1772:
	v_and_b32_e32 v0, 0xffff, v0
	s_and_not1_b32 s8, s8, exec_lo
	s_delay_alu instid0(VALU_DEP_1) | instskip(NEXT) | instid1(VALU_DEP_1)
	v_and_b32_e32 v7, 7, v0
	v_clz_i32_u32_e32 v8, v7
	s_delay_alu instid0(VALU_DEP_1) | instskip(NEXT) | instid1(VALU_DEP_1)
	v_min_u32_e32 v8, 32, v8
	v_subrev_nc_u32_e32 v9, 28, v8
	v_sub_nc_u32_e32 v8, 29, v8
	s_delay_alu instid0(VALU_DEP_2) | instskip(SKIP_1) | instid1(VALU_DEP_1)
	v_lshlrev_b32_e32 v9, v9, v0
	v_bfe_u32 v0, v0, 3, 4
	v_cmp_eq_u32_e32 vcc_lo, 0, v0
	s_delay_alu instid0(VALU_DEP_3) | instskip(NEXT) | instid1(VALU_DEP_1)
	v_dual_cndmask_b32 v0, v0, v8 :: v_dual_and_b32 v9, 7, v9
	v_cndmask_b32_e32 v7, v7, v9, vcc_lo
	s_delay_alu instid0(VALU_DEP_2) | instskip(NEXT) | instid1(VALU_DEP_2)
	v_lshl_add_u32 v0, v0, 23, 0x3b800000
	v_lshlrev_b32_e32 v7, 20, v7
	s_delay_alu instid0(VALU_DEP_1) | instskip(NEXT) | instid1(VALU_DEP_1)
	v_and_or_b32 v0, 0x7f800000, v0, v7
	v_cmp_ne_u32_e32 vcc_lo, 0, v0
	s_and_b32 s9, vcc_lo, exec_lo
	s_delay_alu instid0(SALU_CYCLE_1)
	s_or_b32 s8, s8, s9
.LBB119_1773:
	s_or_b32 exec_lo, exec_lo, s12
.LBB119_1774:
	s_mov_b32 s9, -1
.LBB119_1775:
	s_branch .LBB119_1335
.LBB119_1776:
	v_cmp_lt_i16_e32 vcc_lo, 22, v1
	s_cbranch_vccz .LBB119_1786
; %bb.1777:
	v_cmp_gt_i16_e32 vcc_lo, 24, v1
	s_cbranch_vccnz .LBB119_1789
; %bb.1778:
	v_cmp_lt_i16_e32 vcc_lo, 24, v1
	s_cbranch_vccz .LBB119_1790
; %bb.1779:
	global_load_u8 v0, v[5:6], off
	s_mov_b32 s9, exec_lo
                                        ; implicit-def: $sgpr8
	s_waitcnt vmcnt(0)
	v_cmpx_lt_i16_e32 0x7f, v0
	s_xor_b32 s9, exec_lo, s9
	s_cbranch_execz .LBB119_1802
; %bb.1780:
	s_mov_b32 s2, -1
	s_mov_b32 s12, exec_lo
                                        ; implicit-def: $sgpr8
	v_cmpx_eq_u16_e32 0x80, v0
; %bb.1781:
	s_mov_b32 s8, -1
	s_xor_b32 s2, exec_lo, -1
; %bb.1782:
	s_or_b32 exec_lo, exec_lo, s12
	s_delay_alu instid0(SALU_CYCLE_1)
	s_and_b32 s2, s2, exec_lo
	s_and_not1_saveexec_b32 s9, s9
	s_cbranch_execnz .LBB119_1803
.LBB119_1783:
	s_or_b32 exec_lo, exec_lo, s9
	s_and_saveexec_b32 s9, s2
	s_cbranch_execz .LBB119_1785
.LBB119_1784:
	v_and_b32_e32 v0, 0xffff, v0
	s_and_not1_b32 s2, s8, exec_lo
	s_delay_alu instid0(VALU_DEP_1) | instskip(NEXT) | instid1(VALU_DEP_1)
	v_and_b32_e32 v7, 3, v0
	v_clz_i32_u32_e32 v8, v7
	s_delay_alu instid0(VALU_DEP_1) | instskip(NEXT) | instid1(VALU_DEP_1)
	v_min_u32_e32 v8, 32, v8
	v_subrev_nc_u32_e32 v9, 29, v8
	v_sub_nc_u32_e32 v8, 30, v8
	s_delay_alu instid0(VALU_DEP_2) | instskip(SKIP_1) | instid1(VALU_DEP_1)
	v_lshlrev_b32_e32 v9, v9, v0
	v_bfe_u32 v0, v0, 2, 5
	v_cmp_eq_u32_e32 vcc_lo, 0, v0
	s_delay_alu instid0(VALU_DEP_3) | instskip(NEXT) | instid1(VALU_DEP_1)
	v_dual_cndmask_b32 v0, v0, v8 :: v_dual_and_b32 v9, 3, v9
	v_cndmask_b32_e32 v7, v7, v9, vcc_lo
	s_delay_alu instid0(VALU_DEP_2) | instskip(NEXT) | instid1(VALU_DEP_2)
	v_lshl_add_u32 v0, v0, 23, 0x37800000
	v_lshlrev_b32_e32 v7, 21, v7
	s_delay_alu instid0(VALU_DEP_1) | instskip(NEXT) | instid1(VALU_DEP_1)
	v_and_or_b32 v0, 0x7f800000, v0, v7
	v_cmp_ne_u32_e32 vcc_lo, 0, v0
	s_and_b32 s8, vcc_lo, exec_lo
	s_delay_alu instid0(SALU_CYCLE_1)
	s_or_b32 s8, s2, s8
.LBB119_1785:
	s_or_b32 exec_lo, exec_lo, s9
	s_mov_b32 s2, 0
	s_branch .LBB119_1791
.LBB119_1786:
	s_mov_b32 s2, -1
                                        ; implicit-def: $sgpr8
	s_branch .LBB119_1797
.LBB119_1787:
	s_and_not1_saveexec_b32 s12, s12
	s_cbranch_execz .LBB119_1771
.LBB119_1788:
	v_cmp_ne_u16_e32 vcc_lo, 0, v0
	s_and_not1_b32 s9, s9, exec_lo
	s_and_not1_b32 s8, s8, exec_lo
	s_and_b32 s13, vcc_lo, exec_lo
	s_delay_alu instid0(SALU_CYCLE_1)
	s_or_b32 s9, s9, s13
	s_or_b32 exec_lo, exec_lo, s12
	s_and_saveexec_b32 s12, s9
	s_cbranch_execnz .LBB119_1772
	s_branch .LBB119_1773
.LBB119_1789:
	s_mov_b32 s2, -1
                                        ; implicit-def: $sgpr8
	s_branch .LBB119_1794
.LBB119_1790:
	s_mov_b32 s2, -1
                                        ; implicit-def: $sgpr8
.LBB119_1791:
	s_delay_alu instid0(SALU_CYCLE_1)
	s_and_b32 vcc_lo, exec_lo, s2
	s_cbranch_vccz .LBB119_1793
; %bb.1792:
	global_load_u8 v0, v[5:6], off
	s_and_not1_b32 s8, s8, exec_lo
	s_waitcnt vmcnt(0)
	v_lshlrev_b32_e32 v0, 24, v0
	s_delay_alu instid0(VALU_DEP_1) | instskip(NEXT) | instid1(VALU_DEP_1)
	v_and_b32_e32 v0, 0x7f000000, v0
	v_clz_i32_u32_e32 v7, v0
	v_add_nc_u32_e32 v9, 0x1000000, v0
	v_cmp_ne_u32_e32 vcc_lo, 0, v0
	s_delay_alu instid0(VALU_DEP_3) | instskip(NEXT) | instid1(VALU_DEP_3)
	v_min_u32_e32 v7, 32, v7
	v_ashrrev_i32_e32 v9, 8, v9
	s_delay_alu instid0(VALU_DEP_2) | instskip(NEXT) | instid1(VALU_DEP_1)
	v_sub_nc_u32_e64 v7, v7, 4 clamp
	v_lshlrev_b32_e32 v8, v7, v0
	v_lshlrev_b32_e32 v7, 23, v7
	s_delay_alu instid0(VALU_DEP_2) | instskip(NEXT) | instid1(VALU_DEP_1)
	v_lshrrev_b32_e32 v8, 4, v8
	v_sub_nc_u32_e32 v7, v8, v7
	v_and_b32_e32 v8, 0x7f800000, v9
	s_delay_alu instid0(VALU_DEP_2) | instskip(NEXT) | instid1(VALU_DEP_1)
	v_add_nc_u32_e32 v7, 0x3c000000, v7
	v_and_or_b32 v7, 0x7ff00000, v7, v8
	s_delay_alu instid0(VALU_DEP_1) | instskip(NEXT) | instid1(VALU_DEP_1)
	v_cmp_ne_u32_e64 s2, 0, v7
	s_and_b32 s2, vcc_lo, s2
	s_delay_alu instid0(SALU_CYCLE_1) | instskip(NEXT) | instid1(SALU_CYCLE_1)
	s_and_b32 s2, s2, exec_lo
	s_or_b32 s8, s8, s2
.LBB119_1793:
	s_mov_b32 s2, 0
.LBB119_1794:
	s_delay_alu instid0(SALU_CYCLE_1)
	s_and_not1_b32 vcc_lo, exec_lo, s2
	s_cbranch_vccnz .LBB119_1796
; %bb.1795:
	global_load_u8 v0, v[5:6], off
	s_and_not1_b32 s2, s8, exec_lo
	s_waitcnt vmcnt(0)
	v_lshlrev_b32_e32 v7, 25, v0
	v_lshlrev_b32_e32 v0, 8, v0
	s_delay_alu instid0(VALU_DEP_2) | instskip(NEXT) | instid1(VALU_DEP_2)
	v_lshrrev_b32_e32 v8, 4, v7
	v_and_or_b32 v0, 0x7f00, v0, 0.5
	v_cmp_gt_u32_e32 vcc_lo, 0x8000000, v7
	s_delay_alu instid0(VALU_DEP_3) | instskip(NEXT) | instid1(VALU_DEP_3)
	v_or_b32_e32 v8, 0x70000000, v8
	v_add_f32_e32 v0, -0.5, v0
	s_delay_alu instid0(VALU_DEP_2) | instskip(NEXT) | instid1(VALU_DEP_1)
	v_mul_f32_e32 v8, 0x7800000, v8
	v_cndmask_b32_e32 v0, v8, v0, vcc_lo
	s_delay_alu instid0(VALU_DEP_1) | instskip(SKIP_1) | instid1(SALU_CYCLE_1)
	v_cmp_neq_f32_e32 vcc_lo, 0, v0
	s_and_b32 s8, vcc_lo, exec_lo
	s_or_b32 s8, s2, s8
.LBB119_1796:
	s_mov_b32 s2, 0
	s_mov_b32 s9, -1
.LBB119_1797:
	s_and_not1_b32 vcc_lo, exec_lo, s2
	s_mov_b32 s2, 0
	s_cbranch_vccnz .LBB119_1335
; %bb.1798:
	v_cmp_lt_i16_e32 vcc_lo, 14, v1
	s_cbranch_vccz .LBB119_1801
; %bb.1799:
	v_cmp_eq_u16_e32 vcc_lo, 15, v1
	s_cbranch_vccz .LBB119_1804
; %bb.1800:
	global_load_u16 v0, v[5:6], off
	s_mov_b32 s7, 0
	s_mov_b32 s9, -1
	s_waitcnt vmcnt(0)
	v_and_b32_e32 v0, 0x7fff, v0
	s_delay_alu instid0(VALU_DEP_1)
	v_cmp_ne_u16_e32 vcc_lo, 0, v0
	s_and_b32 s8, vcc_lo, exec_lo
	s_branch .LBB119_1806
.LBB119_1801:
	s_mov_b32 s2, -1
	s_branch .LBB119_1805
.LBB119_1802:
	s_and_not1_saveexec_b32 s9, s9
	s_cbranch_execz .LBB119_1783
.LBB119_1803:
	v_cmp_ne_u16_e32 vcc_lo, 0, v0
	s_and_not1_b32 s2, s2, exec_lo
	s_and_not1_b32 s8, s8, exec_lo
	s_and_b32 s12, vcc_lo, exec_lo
	s_delay_alu instid0(SALU_CYCLE_1)
	s_or_b32 s2, s2, s12
	s_or_b32 exec_lo, exec_lo, s9
	s_and_saveexec_b32 s9, s2
	s_cbranch_execnz .LBB119_1784
	s_branch .LBB119_1785
.LBB119_1804:
	s_mov_b32 s7, -1
.LBB119_1805:
                                        ; implicit-def: $sgpr8
.LBB119_1806:
	s_and_b32 vcc_lo, exec_lo, s2
	s_mov_b32 s2, 0
	s_cbranch_vccz .LBB119_1335
; %bb.1807:
	v_cmp_ne_u16_e32 vcc_lo, 11, v1
	s_and_not1_b32 s7, s7, exec_lo
	s_mov_b32 s2, -1
	s_and_not1_b32 s8, s8, exec_lo
	s_and_b32 s12, vcc_lo, exec_lo
	s_delay_alu instid0(SALU_CYCLE_1)
	s_or_b32 s7, s7, s12
	s_branch .LBB119_1335
.LBB119_1808:
	s_mov_b32 s1, -1
.LBB119_1809:
                                        ; implicit-def: $sgpr11
.LBB119_1810:
	s_and_b32 vcc_lo, exec_lo, s13
	s_cbranch_vccz .LBB119_1812
; %bb.1811:
	v_cmp_ne_u16_e64 s1, 44, v16
	s_mov_b32 s12, -1
	s_or_b32 s11, s11, exec_lo
.LBB119_1812:
	s_mov_b32 s13, 0
.LBB119_1813:
	s_delay_alu instid0(SALU_CYCLE_1)
	s_and_b32 vcc_lo, exec_lo, s13
	s_cbranch_vccz .LBB119_1817
; %bb.1814:
	v_cmp_eq_u16_e32 vcc_lo, 29, v16
	s_cbranch_vccz .LBB119_1816
; %bb.1815:
	global_load_b64 v[18:19], v[13:14], off
	s_mov_b32 s1, 0
	s_mov_b32 s12, -1
	s_mov_b32 s13, 0
	s_waitcnt vmcnt(0)
	v_cmp_ne_u64_e32 vcc_lo, 0, v[18:19]
	s_and_b32 s11, vcc_lo, exec_lo
	s_branch .LBB119_1818
.LBB119_1816:
	s_mov_b32 s1, -1
                                        ; implicit-def: $sgpr11
.LBB119_1817:
	s_mov_b32 s13, 0
.LBB119_1818:
	s_delay_alu instid0(SALU_CYCLE_1)
	s_and_b32 vcc_lo, exec_lo, s13
	s_cbranch_vccz .LBB119_1836
; %bb.1819:
	v_cmp_gt_i16_e32 vcc_lo, 27, v16
	s_cbranch_vccnz .LBB119_1822
; %bb.1820:
	v_cmp_lt_i16_e32 vcc_lo, 27, v16
	s_cbranch_vccz .LBB119_1823
; %bb.1821:
	global_load_b32 v8, v[13:14], off
	s_mov_b32 s12, 0
	s_waitcnt vmcnt(0)
	v_cmp_ne_u32_e32 vcc_lo, 0, v8
	s_and_b32 s11, vcc_lo, exec_lo
	s_branch .LBB119_1824
.LBB119_1822:
	s_mov_b32 s12, -1
                                        ; implicit-def: $sgpr11
	s_branch .LBB119_1827
.LBB119_1823:
	s_mov_b32 s12, -1
                                        ; implicit-def: $sgpr11
.LBB119_1824:
	s_delay_alu instid0(SALU_CYCLE_1)
	s_and_not1_b32 vcc_lo, exec_lo, s12
	s_cbranch_vccnz .LBB119_1826
; %bb.1825:
	global_load_u16 v8, v[13:14], off
	s_and_not1_b32 s11, s11, exec_lo
	s_waitcnt vmcnt(0)
	v_cmp_ne_u16_e32 vcc_lo, 0, v8
	s_and_b32 s12, vcc_lo, exec_lo
	s_delay_alu instid0(SALU_CYCLE_1)
	s_or_b32 s11, s11, s12
.LBB119_1826:
	s_mov_b32 s12, 0
.LBB119_1827:
	s_delay_alu instid0(SALU_CYCLE_1)
	s_and_not1_b32 vcc_lo, exec_lo, s12
	s_cbranch_vccnz .LBB119_1835
; %bb.1828:
	global_load_u8 v8, v[13:14], off
	s_mov_b32 s12, 0
	s_mov_b32 s13, exec_lo
                                        ; implicit-def: $sgpr11
	s_waitcnt vmcnt(0)
	v_cmpx_lt_i16_e32 0x7f, v8
	s_xor_b32 s13, exec_lo, s13
	s_cbranch_execz .LBB119_1848
; %bb.1829:
	s_mov_b32 s12, -1
	s_mov_b32 s14, exec_lo
                                        ; implicit-def: $sgpr11
	v_cmpx_eq_u16_e32 0x80, v8
; %bb.1830:
	s_mov_b32 s11, -1
	s_xor_b32 s12, exec_lo, -1
; %bb.1831:
	s_or_b32 exec_lo, exec_lo, s14
	s_delay_alu instid0(SALU_CYCLE_1)
	s_and_b32 s12, s12, exec_lo
	s_and_not1_saveexec_b32 s13, s13
	s_cbranch_execnz .LBB119_1849
.LBB119_1832:
	s_or_b32 exec_lo, exec_lo, s13
	s_and_saveexec_b32 s13, s12
	s_cbranch_execz .LBB119_1834
.LBB119_1833:
	v_and_b32_e32 v8, 0xffff, v8
	s_and_not1_b32 s11, s11, exec_lo
	s_delay_alu instid0(VALU_DEP_1) | instskip(NEXT) | instid1(VALU_DEP_1)
	v_and_b32_e32 v15, 7, v8
	v_clz_i32_u32_e32 v18, v15
	s_delay_alu instid0(VALU_DEP_1) | instskip(NEXT) | instid1(VALU_DEP_1)
	v_min_u32_e32 v18, 32, v18
	v_subrev_nc_u32_e32 v19, 28, v18
	v_sub_nc_u32_e32 v18, 29, v18
	s_delay_alu instid0(VALU_DEP_2) | instskip(SKIP_1) | instid1(VALU_DEP_2)
	v_lshlrev_b32_e32 v19, v19, v8
	v_bfe_u32 v8, v8, 3, 4
	v_and_b32_e32 v19, 7, v19
	s_delay_alu instid0(VALU_DEP_2) | instskip(NEXT) | instid1(VALU_DEP_2)
	v_cmp_eq_u32_e32 vcc_lo, 0, v8
	v_dual_cndmask_b32 v8, v8, v18 :: v_dual_cndmask_b32 v15, v15, v19
	s_delay_alu instid0(VALU_DEP_1) | instskip(NEXT) | instid1(VALU_DEP_2)
	v_lshl_add_u32 v8, v8, 23, 0x3b800000
	v_lshlrev_b32_e32 v15, 20, v15
	s_delay_alu instid0(VALU_DEP_1) | instskip(NEXT) | instid1(VALU_DEP_1)
	v_and_or_b32 v8, 0x7f800000, v8, v15
	v_cmp_ne_u32_e32 vcc_lo, 0, v8
	s_and_b32 s12, vcc_lo, exec_lo
	s_delay_alu instid0(SALU_CYCLE_1)
	s_or_b32 s11, s11, s12
.LBB119_1834:
	s_or_b32 exec_lo, exec_lo, s13
.LBB119_1835:
	s_mov_b32 s12, -1
.LBB119_1836:
	s_branch .LBB119_1869
.LBB119_1837:
	v_cmp_lt_i16_e32 vcc_lo, 22, v16
	s_cbranch_vccz .LBB119_1847
; %bb.1838:
	v_cmp_gt_i16_e32 vcc_lo, 24, v16
	s_cbranch_vccnz .LBB119_1850
; %bb.1839:
	v_cmp_lt_i16_e32 vcc_lo, 24, v16
	s_cbranch_vccz .LBB119_1851
; %bb.1840:
	global_load_u8 v8, v[13:14], off
	s_mov_b32 s12, exec_lo
                                        ; implicit-def: $sgpr11
	s_waitcnt vmcnt(0)
	v_cmpx_lt_i16_e32 0x7f, v8
	s_xor_b32 s12, exec_lo, s12
	s_cbranch_execz .LBB119_1863
; %bb.1841:
	s_mov_b32 s0, -1
	s_mov_b32 s13, exec_lo
                                        ; implicit-def: $sgpr11
	v_cmpx_eq_u16_e32 0x80, v8
; %bb.1842:
	s_mov_b32 s11, -1
	s_xor_b32 s0, exec_lo, -1
; %bb.1843:
	s_or_b32 exec_lo, exec_lo, s13
	s_delay_alu instid0(SALU_CYCLE_1)
	s_and_b32 s0, s0, exec_lo
	s_and_not1_saveexec_b32 s12, s12
	s_cbranch_execnz .LBB119_1864
.LBB119_1844:
	s_or_b32 exec_lo, exec_lo, s12
	s_and_saveexec_b32 s12, s0
	s_cbranch_execz .LBB119_1846
.LBB119_1845:
	v_and_b32_e32 v8, 0xffff, v8
	s_and_not1_b32 s0, s11, exec_lo
	s_delay_alu instid0(VALU_DEP_1) | instskip(NEXT) | instid1(VALU_DEP_1)
	v_and_b32_e32 v15, 3, v8
	v_clz_i32_u32_e32 v18, v15
	s_delay_alu instid0(VALU_DEP_1) | instskip(NEXT) | instid1(VALU_DEP_1)
	v_min_u32_e32 v18, 32, v18
	v_subrev_nc_u32_e32 v19, 29, v18
	v_sub_nc_u32_e32 v18, 30, v18
	s_delay_alu instid0(VALU_DEP_2) | instskip(SKIP_1) | instid1(VALU_DEP_2)
	v_lshlrev_b32_e32 v19, v19, v8
	v_bfe_u32 v8, v8, 2, 5
	v_and_b32_e32 v19, 3, v19
	s_delay_alu instid0(VALU_DEP_2) | instskip(NEXT) | instid1(VALU_DEP_2)
	v_cmp_eq_u32_e32 vcc_lo, 0, v8
	v_dual_cndmask_b32 v8, v8, v18 :: v_dual_cndmask_b32 v15, v15, v19
	s_delay_alu instid0(VALU_DEP_1) | instskip(NEXT) | instid1(VALU_DEP_2)
	v_lshl_add_u32 v8, v8, 23, 0x37800000
	v_lshlrev_b32_e32 v15, 21, v15
	s_delay_alu instid0(VALU_DEP_1) | instskip(NEXT) | instid1(VALU_DEP_1)
	v_and_or_b32 v8, 0x7f800000, v8, v15
	v_cmp_ne_u32_e32 vcc_lo, 0, v8
	s_and_b32 s11, vcc_lo, exec_lo
	s_delay_alu instid0(SALU_CYCLE_1)
	s_or_b32 s11, s0, s11
.LBB119_1846:
	s_or_b32 exec_lo, exec_lo, s12
	s_mov_b32 s0, 0
	s_branch .LBB119_1852
.LBB119_1847:
	s_mov_b32 s0, -1
                                        ; implicit-def: $sgpr11
	s_branch .LBB119_1858
.LBB119_1848:
	s_and_not1_saveexec_b32 s13, s13
	s_cbranch_execz .LBB119_1832
.LBB119_1849:
	v_cmp_ne_u16_e32 vcc_lo, 0, v8
	s_and_not1_b32 s12, s12, exec_lo
	s_and_not1_b32 s11, s11, exec_lo
	s_and_b32 s14, vcc_lo, exec_lo
	s_delay_alu instid0(SALU_CYCLE_1)
	s_or_b32 s12, s12, s14
	s_or_b32 exec_lo, exec_lo, s13
	s_and_saveexec_b32 s13, s12
	s_cbranch_execnz .LBB119_1833
	s_branch .LBB119_1834
.LBB119_1850:
	s_mov_b32 s0, -1
                                        ; implicit-def: $sgpr11
	s_branch .LBB119_1855
.LBB119_1851:
	s_mov_b32 s0, -1
                                        ; implicit-def: $sgpr11
.LBB119_1852:
	s_delay_alu instid0(SALU_CYCLE_1)
	s_and_b32 vcc_lo, exec_lo, s0
	s_cbranch_vccz .LBB119_1854
; %bb.1853:
	global_load_u8 v8, v[13:14], off
	s_and_not1_b32 s11, s11, exec_lo
	s_waitcnt vmcnt(0)
	v_lshlrev_b32_e32 v8, 24, v8
	s_delay_alu instid0(VALU_DEP_1) | instskip(NEXT) | instid1(VALU_DEP_1)
	v_and_b32_e32 v8, 0x7f000000, v8
	v_clz_i32_u32_e32 v15, v8
	v_add_nc_u32_e32 v19, 0x1000000, v8
	v_cmp_ne_u32_e32 vcc_lo, 0, v8
	s_delay_alu instid0(VALU_DEP_3) | instskip(NEXT) | instid1(VALU_DEP_3)
	v_min_u32_e32 v15, 32, v15
	v_ashrrev_i32_e32 v19, 8, v19
	s_delay_alu instid0(VALU_DEP_2) | instskip(NEXT) | instid1(VALU_DEP_1)
	v_sub_nc_u32_e64 v15, v15, 4 clamp
	v_lshlrev_b32_e32 v18, v15, v8
	v_lshlrev_b32_e32 v15, 23, v15
	s_delay_alu instid0(VALU_DEP_2) | instskip(NEXT) | instid1(VALU_DEP_1)
	v_lshrrev_b32_e32 v18, 4, v18
	v_sub_nc_u32_e32 v15, v18, v15
	v_and_b32_e32 v18, 0x7f800000, v19
	s_delay_alu instid0(VALU_DEP_2) | instskip(NEXT) | instid1(VALU_DEP_1)
	v_add_nc_u32_e32 v15, 0x3c000000, v15
	v_and_or_b32 v15, 0x7ff00000, v15, v18
	s_delay_alu instid0(VALU_DEP_1) | instskip(NEXT) | instid1(VALU_DEP_1)
	v_cmp_ne_u32_e64 s0, 0, v15
	s_and_b32 s0, vcc_lo, s0
	s_delay_alu instid0(SALU_CYCLE_1) | instskip(NEXT) | instid1(SALU_CYCLE_1)
	s_and_b32 s0, s0, exec_lo
	s_or_b32 s11, s11, s0
.LBB119_1854:
	s_mov_b32 s0, 0
.LBB119_1855:
	s_delay_alu instid0(SALU_CYCLE_1)
	s_and_not1_b32 vcc_lo, exec_lo, s0
	s_cbranch_vccnz .LBB119_1857
; %bb.1856:
	global_load_u8 v8, v[13:14], off
	s_and_not1_b32 s0, s11, exec_lo
	s_waitcnt vmcnt(0)
	v_lshlrev_b32_e32 v15, 25, v8
	v_lshlrev_b32_e32 v8, 8, v8
	s_delay_alu instid0(VALU_DEP_2) | instskip(NEXT) | instid1(VALU_DEP_2)
	v_lshrrev_b32_e32 v18, 4, v15
	v_and_or_b32 v8, 0x7f00, v8, 0.5
	s_delay_alu instid0(VALU_DEP_2) | instskip(NEXT) | instid1(VALU_DEP_2)
	v_or_b32_e32 v18, 0x70000000, v18
	v_add_f32_e32 v8, -0.5, v8
	s_delay_alu instid0(VALU_DEP_2) | instskip(SKIP_1) | instid1(VALU_DEP_2)
	v_mul_f32_e32 v18, 0x7800000, v18
	v_cmp_gt_u32_e32 vcc_lo, 0x8000000, v15
	v_cndmask_b32_e32 v8, v18, v8, vcc_lo
	s_delay_alu instid0(VALU_DEP_1) | instskip(SKIP_1) | instid1(SALU_CYCLE_1)
	v_cmp_neq_f32_e32 vcc_lo, 0, v8
	s_and_b32 s11, vcc_lo, exec_lo
	s_or_b32 s11, s0, s11
.LBB119_1857:
	s_mov_b32 s0, 0
	s_mov_b32 s12, -1
.LBB119_1858:
	s_and_not1_b32 vcc_lo, exec_lo, s0
	s_mov_b32 s0, 0
	s_cbranch_vccnz .LBB119_1869
; %bb.1859:
	v_cmp_lt_i16_e32 vcc_lo, 14, v16
	s_cbranch_vccz .LBB119_1862
; %bb.1860:
	v_cmp_eq_u16_e32 vcc_lo, 15, v16
	s_cbranch_vccz .LBB119_1865
; %bb.1861:
	global_load_u16 v8, v[13:14], off
	s_mov_b32 s1, 0
	s_mov_b32 s12, -1
	s_waitcnt vmcnt(0)
	v_and_b32_e32 v8, 0x7fff, v8
	s_delay_alu instid0(VALU_DEP_1)
	v_cmp_ne_u16_e32 vcc_lo, 0, v8
	s_and_b32 s11, vcc_lo, exec_lo
	s_branch .LBB119_1867
.LBB119_1862:
	s_mov_b32 s0, -1
	s_branch .LBB119_1866
.LBB119_1863:
	s_and_not1_saveexec_b32 s12, s12
	s_cbranch_execz .LBB119_1844
.LBB119_1864:
	v_cmp_ne_u16_e32 vcc_lo, 0, v8
	s_and_not1_b32 s0, s0, exec_lo
	s_and_not1_b32 s11, s11, exec_lo
	s_and_b32 s13, vcc_lo, exec_lo
	s_delay_alu instid0(SALU_CYCLE_1)
	s_or_b32 s0, s0, s13
	s_or_b32 exec_lo, exec_lo, s12
	s_and_saveexec_b32 s12, s0
	s_cbranch_execnz .LBB119_1845
	s_branch .LBB119_1846
.LBB119_1865:
	s_mov_b32 s1, -1
.LBB119_1866:
                                        ; implicit-def: $sgpr11
.LBB119_1867:
	s_and_b32 vcc_lo, exec_lo, s0
	s_mov_b32 s0, 0
	s_cbranch_vccz .LBB119_1869
; %bb.1868:
	v_cmp_ne_u16_e64 s1, 11, v16
	s_mov_b32 s0, -1
	s_and_not1_b32 s11, s11, exec_lo
.LBB119_1869:
	s_delay_alu instid0(VALU_DEP_1)
	s_and_b32 vcc_lo, exec_lo, s1
	s_cbranch_vccnz .LBB119_1893
; %bb.1870:
	s_and_not1_b32 vcc_lo, exec_lo, s0
	s_cbranch_vccnz .LBB119_1872
.LBB119_1871:
	global_load_u8 v8, v[13:14], off
	s_and_not1_b32 s0, s11, exec_lo
	s_mov_b32 s12, -1
	s_waitcnt vmcnt(0)
	v_cmp_ne_u16_e32 vcc_lo, 0, v8
	s_and_b32 s1, vcc_lo, exec_lo
	s_delay_alu instid0(SALU_CYCLE_1)
	s_or_b32 s11, s0, s1
.LBB119_1872:
.LBB119_1873:
	s_and_not1_b32 vcc_lo, exec_lo, s12
	s_cbranch_vccnz .LBB119_3064
.LBB119_1874:
	v_cmp_gt_i16_e32 vcc_lo, 11, v17
	v_add_co_u32 v13, s0, s6, v7
	s_delay_alu instid0(VALU_DEP_1)
	v_add_co_ci_u32_e64 v14, null, s7, 0, s0
	s_mov_b32 s0, 0
	s_cbranch_vccnz .LBB119_1881
; %bb.1875:
	v_cmp_lt_i16_e32 vcc_lo, 25, v17
	s_mov_b32 s13, 0
	s_cbranch_vccz .LBB119_1887
; %bb.1876:
	v_cmp_lt_i16_e32 vcc_lo, 28, v17
	s_cbranch_vccz .LBB119_1889
; %bb.1877:
	v_cmp_lt_i16_e32 vcc_lo, 43, v17
	;; [unrolled: 3-line block ×3, first 2 shown]
	s_cbranch_vccz .LBB119_1897
; %bb.1879:
	v_cmp_eq_u16_e32 vcc_lo, 46, v17
	s_mov_b32 s1, 0
	s_cbranch_vccz .LBB119_1940
; %bb.1880:
	global_load_b32 v7, v[13:14], off
	s_mov_b32 s12, 0
	s_mov_b32 s0, -1
	s_waitcnt vmcnt(0)
	v_lshlrev_b32_e32 v7, 16, v7
	s_delay_alu instid0(VALU_DEP_1)
	v_cvt_f64_f32_e32 v[7:8], v7
	s_branch .LBB119_1942
.LBB119_1881:
                                        ; implicit-def: $vgpr7_vgpr8
	s_cbranch_execz .LBB119_2008
; %bb.1882:
	v_cmp_gt_i16_e32 vcc_lo, 5, v17
	s_cbranch_vccnz .LBB119_1888
; %bb.1883:
	v_cmp_gt_i16_e32 vcc_lo, 8, v17
	s_cbranch_vccnz .LBB119_1890
	;; [unrolled: 3-line block ×3, first 2 shown]
; %bb.1885:
	v_cmp_lt_i16_e32 vcc_lo, 9, v17
	s_cbranch_vccz .LBB119_1898
; %bb.1886:
	global_load_b64 v[7:8], v[13:14], off
	s_mov_b32 s0, 0
	s_branch .LBB119_1899
.LBB119_1887:
	s_mov_b32 s1, -1
	s_mov_b32 s12, 0
                                        ; implicit-def: $vgpr7_vgpr8
	s_branch .LBB119_1973
.LBB119_1888:
	s_mov_b32 s0, -1
                                        ; implicit-def: $vgpr7_vgpr8
	s_branch .LBB119_1917
.LBB119_1889:
	s_mov_b32 s1, -1
	s_mov_b32 s12, 0
                                        ; implicit-def: $vgpr7_vgpr8
	s_branch .LBB119_1952
.LBB119_1890:
	s_mov_b32 s0, -1
                                        ; implicit-def: $vgpr7_vgpr8
	s_branch .LBB119_1905
.LBB119_1891:
	s_mov_b32 s1, -1
	s_mov_b32 s12, 0
                                        ; implicit-def: $vgpr7_vgpr8
	s_branch .LBB119_1947
.LBB119_1892:
	s_mov_b32 s0, -1
                                        ; implicit-def: $vgpr7_vgpr8
	s_branch .LBB119_1902
.LBB119_1893:
	s_cbranch_execnz .LBB119_1938
; %bb.1894:
	s_mov_b32 s12, 0
	s_and_not1_b32 s11, s11, exec_lo
	s_or_b32 s10, s10, exec_lo
	s_cbranch_execz .LBB119_1871
	s_branch .LBB119_1872
.LBB119_1895:
	s_or_saveexec_b32 s8, s8
                                        ; implicit-def: $sgpr9
	s_delay_alu instid0(SALU_CYCLE_1)
	s_xor_b32 exec_lo, exec_lo, s8
	s_cbranch_execz .LBB119_1432
.LBB119_1896:
	v_add_f32_e64 v3, 0x42800000, |v2|
	s_and_not1_b32 s7, s7, exec_lo
	s_mov_b32 s9, 0
	s_delay_alu instid0(VALU_DEP_1) | instskip(NEXT) | instid1(VALU_DEP_1)
	v_and_b32_e32 v3, 0xff, v3
	v_cmp_ne_u32_e32 vcc_lo, 0, v3
	s_and_b32 s10, vcc_lo, exec_lo
	s_delay_alu instid0(SALU_CYCLE_1)
	s_or_b32 s7, s7, s10
	s_or_b32 exec_lo, exec_lo, s8
	v_mov_b32_e32 v4, s9
	s_and_saveexec_b32 s8, s7
	s_cbranch_execnz .LBB119_1433
	s_branch .LBB119_1434
.LBB119_1897:
	s_mov_b32 s1, -1
	s_mov_b32 s12, 0
	s_branch .LBB119_1941
.LBB119_1898:
	s_mov_b32 s0, -1
                                        ; implicit-def: $vgpr7_vgpr8
.LBB119_1899:
	s_delay_alu instid0(SALU_CYCLE_1)
	s_and_not1_b32 vcc_lo, exec_lo, s0
	s_cbranch_vccnz .LBB119_1901
; %bb.1900:
	global_load_b32 v7, v[13:14], off
	s_waitcnt vmcnt(0)
	v_cvt_f64_f32_e32 v[7:8], v7
.LBB119_1901:
	s_mov_b32 s0, 0
.LBB119_1902:
	s_delay_alu instid0(SALU_CYCLE_1)
	s_and_not1_b32 vcc_lo, exec_lo, s0
	s_cbranch_vccnz .LBB119_1904
; %bb.1903:
	global_load_b32 v7, v[13:14], off
	s_waitcnt vmcnt(0)
	v_cvt_f32_f16_e32 v7, v7
	s_delay_alu instid0(VALU_DEP_1)
	v_cvt_f64_f32_e32 v[7:8], v7
.LBB119_1904:
	s_mov_b32 s0, 0
.LBB119_1905:
	s_delay_alu instid0(SALU_CYCLE_1)
	s_and_not1_b32 vcc_lo, exec_lo, s0
	s_cbranch_vccnz .LBB119_1916
; %bb.1906:
	v_cmp_gt_i16_e32 vcc_lo, 6, v17
	s_cbranch_vccnz .LBB119_1909
; %bb.1907:
	v_cmp_lt_i16_e32 vcc_lo, 6, v17
	s_cbranch_vccz .LBB119_1910
; %bb.1908:
	global_load_b64 v[7:8], v[13:14], off
	s_mov_b32 s0, 0
	s_branch .LBB119_1911
.LBB119_1909:
	s_mov_b32 s0, -1
                                        ; implicit-def: $vgpr7_vgpr8
	s_branch .LBB119_1914
.LBB119_1910:
	s_mov_b32 s0, -1
                                        ; implicit-def: $vgpr7_vgpr8
.LBB119_1911:
	s_delay_alu instid0(SALU_CYCLE_1)
	s_and_not1_b32 vcc_lo, exec_lo, s0
	s_cbranch_vccnz .LBB119_1913
; %bb.1912:
	global_load_b32 v7, v[13:14], off
	s_waitcnt vmcnt(0)
	v_cvt_f64_f32_e32 v[7:8], v7
.LBB119_1913:
	s_mov_b32 s0, 0
.LBB119_1914:
	s_delay_alu instid0(SALU_CYCLE_1)
	s_and_not1_b32 vcc_lo, exec_lo, s0
	s_cbranch_vccnz .LBB119_1916
; %bb.1915:
	global_load_u16 v7, v[13:14], off
	s_waitcnt vmcnt(0)
	v_cvt_f32_f16_e32 v7, v7
	s_delay_alu instid0(VALU_DEP_1)
	v_cvt_f64_f32_e32 v[7:8], v7
.LBB119_1916:
	s_mov_b32 s0, 0
.LBB119_1917:
	s_delay_alu instid0(SALU_CYCLE_1)
	s_and_not1_b32 vcc_lo, exec_lo, s0
	s_cbranch_vccnz .LBB119_1937
; %bb.1918:
	v_cmp_gt_i16_e32 vcc_lo, 2, v17
	s_cbranch_vccnz .LBB119_1922
; %bb.1919:
	v_cmp_gt_i16_e32 vcc_lo, 3, v17
	s_cbranch_vccnz .LBB119_1923
; %bb.1920:
	v_cmp_lt_i16_e32 vcc_lo, 3, v17
	s_cbranch_vccz .LBB119_1924
; %bb.1921:
	global_load_b64 v[7:8], v[13:14], off
	s_mov_b32 s0, 0
	s_waitcnt vmcnt(0)
	v_cvt_f64_i32_e32 v[18:19], v8
	v_cvt_f64_u32_e32 v[7:8], v7
	s_delay_alu instid0(VALU_DEP_2) | instskip(NEXT) | instid1(VALU_DEP_1)
	v_ldexp_f64 v[18:19], v[18:19], 32
	v_add_f64 v[7:8], v[18:19], v[7:8]
	s_branch .LBB119_1925
.LBB119_1922:
	s_mov_b32 s0, -1
                                        ; implicit-def: $vgpr7_vgpr8
	s_branch .LBB119_1931
.LBB119_1923:
	s_mov_b32 s0, -1
                                        ; implicit-def: $vgpr7_vgpr8
	s_branch .LBB119_1928
.LBB119_1924:
	s_mov_b32 s0, -1
                                        ; implicit-def: $vgpr7_vgpr8
.LBB119_1925:
	s_delay_alu instid0(SALU_CYCLE_1)
	s_and_not1_b32 vcc_lo, exec_lo, s0
	s_cbranch_vccnz .LBB119_1927
; %bb.1926:
	global_load_b32 v7, v[13:14], off
	s_waitcnt vmcnt(0)
	v_cvt_f64_i32_e32 v[7:8], v7
.LBB119_1927:
	s_mov_b32 s0, 0
.LBB119_1928:
	s_delay_alu instid0(SALU_CYCLE_1)
	s_and_not1_b32 vcc_lo, exec_lo, s0
	s_cbranch_vccnz .LBB119_1930
; %bb.1929:
	global_load_i16 v7, v[13:14], off
	s_waitcnt vmcnt(0)
	v_cvt_f64_i32_e32 v[7:8], v7
.LBB119_1930:
	s_mov_b32 s0, 0
.LBB119_1931:
	s_delay_alu instid0(SALU_CYCLE_1)
	s_and_not1_b32 vcc_lo, exec_lo, s0
	s_cbranch_vccnz .LBB119_1937
; %bb.1932:
	v_cmp_lt_i16_e32 vcc_lo, 0, v17
	s_mov_b32 s0, 0
	s_cbranch_vccz .LBB119_1934
; %bb.1933:
	global_load_i8 v7, v[13:14], off
	s_waitcnt vmcnt(0)
	v_cvt_f64_i32_e32 v[7:8], v7
	s_branch .LBB119_1935
.LBB119_1934:
	s_mov_b32 s0, -1
                                        ; implicit-def: $vgpr7_vgpr8
.LBB119_1935:
	s_delay_alu instid0(SALU_CYCLE_1)
	s_and_not1_b32 vcc_lo, exec_lo, s0
	s_cbranch_vccnz .LBB119_1937
; %bb.1936:
	global_load_u8 v7, v[13:14], off
	s_waitcnt vmcnt(0)
	v_cvt_f64_u32_e32 v[7:8], v7
.LBB119_1937:
	s_branch .LBB119_2009
.LBB119_1938:
	s_trap 2
	s_sendmsg_rtn_b32 s0, sendmsg(MSG_RTN_GET_DOORBELL)
	s_mov_b32 ttmp2, m0
	s_waitcnt lgkmcnt(0)
	s_and_b32 s0, s0, 0x3ff
	s_delay_alu instid0(SALU_CYCLE_1) | instskip(NEXT) | instid1(SALU_CYCLE_1)
	s_bitset1_b32 s0, 10
	s_mov_b32 m0, s0
	s_sendmsg sendmsg(MSG_INTERRUPT)
	s_mov_b32 m0, ttmp2
.LBB119_1939:                           ; =>This Inner Loop Header: Depth=1
	s_sethalt 5
	s_branch .LBB119_1939
.LBB119_1940:
	s_mov_b32 s12, -1
.LBB119_1941:
                                        ; implicit-def: $vgpr7_vgpr8
.LBB119_1942:
	s_and_b32 vcc_lo, exec_lo, s1
	s_cbranch_vccz .LBB119_1946
; %bb.1943:
	v_cmp_eq_u16_e32 vcc_lo, 44, v17
	s_cbranch_vccz .LBB119_1945
; %bb.1944:
	global_load_u8 v15, v[13:14], off
	s_mov_b32 s12, 0
	s_mov_b32 s0, -1
	s_waitcnt vmcnt(0)
	v_cmp_ne_u32_e32 vcc_lo, 0xff, v15
	v_lshlrev_b32_e32 v7, 23, v15
	s_delay_alu instid0(VALU_DEP_1) | instskip(NEXT) | instid1(VALU_DEP_1)
	v_cvt_f64_f32_e32 v[7:8], v7
	v_cndmask_b32_e32 v8, 0x7ff80000, v8, vcc_lo
	s_delay_alu instid0(VALU_DEP_2) | instskip(SKIP_1) | instid1(VALU_DEP_3)
	v_cndmask_b32_e32 v7, 0x20000000, v7, vcc_lo
	v_cmp_ne_u32_e32 vcc_lo, 0, v15
	v_cndmask_b32_e32 v8, 0x38000000, v8, vcc_lo
	s_delay_alu instid0(VALU_DEP_3)
	v_cndmask_b32_e32 v7, 0, v7, vcc_lo
	s_branch .LBB119_1946
.LBB119_1945:
	s_mov_b32 s12, -1
                                        ; implicit-def: $vgpr7_vgpr8
.LBB119_1946:
	s_mov_b32 s1, 0
.LBB119_1947:
	s_delay_alu instid0(SALU_CYCLE_1)
	s_and_b32 vcc_lo, exec_lo, s1
	s_cbranch_vccz .LBB119_1951
; %bb.1948:
	v_cmp_eq_u16_e32 vcc_lo, 29, v17
	s_cbranch_vccz .LBB119_1950
; %bb.1949:
	global_load_b64 v[7:8], v[13:14], off
	s_mov_b32 s12, 0
	s_mov_b32 s0, -1
	s_mov_b32 s1, 0
	s_waitcnt vmcnt(0)
	v_cvt_f64_u32_e32 v[18:19], v8
	v_cvt_f64_u32_e32 v[7:8], v7
	s_delay_alu instid0(VALU_DEP_2) | instskip(NEXT) | instid1(VALU_DEP_1)
	v_ldexp_f64 v[18:19], v[18:19], 32
	v_add_f64 v[7:8], v[18:19], v[7:8]
	s_branch .LBB119_1952
.LBB119_1950:
	s_mov_b32 s12, -1
                                        ; implicit-def: $vgpr7_vgpr8
.LBB119_1951:
	s_mov_b32 s1, 0
.LBB119_1952:
	s_delay_alu instid0(SALU_CYCLE_1)
	s_and_b32 vcc_lo, exec_lo, s1
	s_cbranch_vccz .LBB119_1972
; %bb.1953:
	v_cmp_gt_i16_e32 vcc_lo, 27, v17
	s_cbranch_vccnz .LBB119_1956
; %bb.1954:
	v_cmp_lt_i16_e32 vcc_lo, 27, v17
	s_cbranch_vccz .LBB119_1957
; %bb.1955:
	global_load_b32 v7, v[13:14], off
	s_mov_b32 s0, 0
	s_waitcnt vmcnt(0)
	v_cvt_f64_u32_e32 v[7:8], v7
	s_branch .LBB119_1958
.LBB119_1956:
	s_mov_b32 s0, -1
                                        ; implicit-def: $vgpr7_vgpr8
	s_branch .LBB119_1961
.LBB119_1957:
	s_mov_b32 s0, -1
                                        ; implicit-def: $vgpr7_vgpr8
.LBB119_1958:
	s_delay_alu instid0(SALU_CYCLE_1)
	s_and_not1_b32 vcc_lo, exec_lo, s0
	s_cbranch_vccnz .LBB119_1960
; %bb.1959:
	global_load_u16 v7, v[13:14], off
	s_waitcnt vmcnt(0)
	v_cvt_f64_u32_e32 v[7:8], v7
.LBB119_1960:
	s_mov_b32 s0, 0
.LBB119_1961:
	s_delay_alu instid0(SALU_CYCLE_1)
	s_and_not1_b32 vcc_lo, exec_lo, s0
	s_cbranch_vccnz .LBB119_1971
; %bb.1962:
	global_load_u8 v15, v[13:14], off
	s_mov_b32 s14, 0
	s_mov_b32 s15, exec_lo
                                        ; implicit-def: $sgpr0_sgpr1
	s_waitcnt vmcnt(0)
	v_cmpx_lt_i16_e32 0x7f, v15
	s_xor_b32 s15, exec_lo, s15
	s_cbranch_execz .LBB119_1966
; %bb.1963:
	s_mov_b32 s16, -1
	s_mov_b32 s14, exec_lo
                                        ; implicit-def: $sgpr0_sgpr1
	v_cmpx_eq_u16_e32 0x80, v15
; %bb.1964:
	s_mov_b32 s1, 0x7ff80000
	s_brev_b32 s0, 4
	s_xor_b32 s16, exec_lo, -1
; %bb.1965:
	s_or_b32 exec_lo, exec_lo, s14
	s_delay_alu instid0(SALU_CYCLE_1)
	s_and_b32 s14, s16, exec_lo
.LBB119_1966:
	s_or_saveexec_b32 s15, s15
	v_dual_mov_b32 v8, s1 :: v_dual_mov_b32 v7, s0
	s_xor_b32 exec_lo, exec_lo, s15
; %bb.1967:
	v_cmp_ne_u16_e32 vcc_lo, 0, v15
	v_mov_b32_e32 v7, 0
	v_mov_b32_e32 v8, 0
	s_and_not1_b32 s0, s14, exec_lo
	s_and_b32 s1, vcc_lo, exec_lo
	s_delay_alu instid0(SALU_CYCLE_1)
	s_or_b32 s14, s0, s1
; %bb.1968:
	s_or_b32 exec_lo, exec_lo, s15
	s_and_saveexec_b32 s0, s14
	s_cbranch_execz .LBB119_1970
; %bb.1969:
	v_and_b32_e32 v7, 0xffff, v15
	v_lshlrev_b32_e32 v15, 24, v15
	s_delay_alu instid0(VALU_DEP_2) | instskip(NEXT) | instid1(VALU_DEP_2)
	v_and_b32_e32 v8, 7, v7
	v_and_b32_e32 v15, 0x80000000, v15
	s_delay_alu instid0(VALU_DEP_2) | instskip(NEXT) | instid1(VALU_DEP_1)
	v_clz_i32_u32_e32 v18, v8
	v_min_u32_e32 v18, 32, v18
	s_delay_alu instid0(VALU_DEP_1) | instskip(SKIP_1) | instid1(VALU_DEP_2)
	v_subrev_nc_u32_e32 v19, 28, v18
	v_sub_nc_u32_e32 v18, 29, v18
	v_lshlrev_b32_e32 v19, v19, v7
	v_bfe_u32 v7, v7, 3, 4
	s_delay_alu instid0(VALU_DEP_2) | instskip(NEXT) | instid1(VALU_DEP_2)
	v_and_b32_e32 v19, 7, v19
	v_cmp_eq_u32_e32 vcc_lo, 0, v7
	s_delay_alu instid0(VALU_DEP_2) | instskip(NEXT) | instid1(VALU_DEP_1)
	v_dual_cndmask_b32 v7, v7, v18 :: v_dual_cndmask_b32 v8, v8, v19
	v_lshl_add_u32 v7, v7, 23, 0x3b800000
	s_delay_alu instid0(VALU_DEP_2) | instskip(NEXT) | instid1(VALU_DEP_1)
	v_lshlrev_b32_e32 v8, 20, v8
	v_or3_b32 v7, v15, v7, v8
	s_delay_alu instid0(VALU_DEP_1)
	v_cvt_f64_f32_e32 v[7:8], v7
.LBB119_1970:
	s_or_b32 exec_lo, exec_lo, s0
.LBB119_1971:
	s_mov_b32 s0, -1
.LBB119_1972:
	s_mov_b32 s1, 0
.LBB119_1973:
	s_delay_alu instid0(SALU_CYCLE_1)
	s_and_b32 vcc_lo, exec_lo, s1
	s_cbranch_vccz .LBB119_2004
; %bb.1974:
	v_cmp_lt_i16_e32 vcc_lo, 22, v17
	s_cbranch_vccz .LBB119_1986
; %bb.1975:
	v_cmp_gt_i16_e32 vcc_lo, 24, v17
	s_cbranch_vccnz .LBB119_1987
; %bb.1976:
	v_cmp_lt_i16_e32 vcc_lo, 24, v17
	s_cbranch_vccz .LBB119_1988
; %bb.1977:
	global_load_u8 v15, v[13:14], off
	s_mov_b32 s14, exec_lo
                                        ; implicit-def: $sgpr0_sgpr1
	s_waitcnt vmcnt(0)
	v_cmpx_lt_i16_e32 0x7f, v15
	s_xor_b32 s14, exec_lo, s14
	s_cbranch_execz .LBB119_1981
; %bb.1978:
	s_mov_b32 s15, -1
	s_mov_b32 s13, exec_lo
                                        ; implicit-def: $sgpr0_sgpr1
	v_cmpx_eq_u16_e32 0x80, v15
; %bb.1979:
	s_mov_b32 s1, 0x7ff80000
	s_brev_b32 s0, 4
	s_xor_b32 s15, exec_lo, -1
; %bb.1980:
	s_or_b32 exec_lo, exec_lo, s13
	s_delay_alu instid0(SALU_CYCLE_1)
	s_and_b32 s13, s15, exec_lo
.LBB119_1981:
	s_or_saveexec_b32 s14, s14
	v_dual_mov_b32 v8, s1 :: v_dual_mov_b32 v7, s0
	s_xor_b32 exec_lo, exec_lo, s14
; %bb.1982:
	v_cmp_ne_u16_e32 vcc_lo, 0, v15
	v_mov_b32_e32 v7, 0
	v_mov_b32_e32 v8, 0
	s_and_not1_b32 s0, s13, exec_lo
	s_and_b32 s1, vcc_lo, exec_lo
	s_delay_alu instid0(SALU_CYCLE_1)
	s_or_b32 s13, s0, s1
; %bb.1983:
	s_or_b32 exec_lo, exec_lo, s14
	s_and_saveexec_b32 s0, s13
	s_cbranch_execz .LBB119_1985
; %bb.1984:
	v_and_b32_e32 v7, 0xffff, v15
	v_lshlrev_b32_e32 v15, 24, v15
	s_delay_alu instid0(VALU_DEP_2) | instskip(NEXT) | instid1(VALU_DEP_2)
	v_and_b32_e32 v8, 3, v7
	v_and_b32_e32 v15, 0x80000000, v15
	s_delay_alu instid0(VALU_DEP_2) | instskip(NEXT) | instid1(VALU_DEP_1)
	v_clz_i32_u32_e32 v18, v8
	v_min_u32_e32 v18, 32, v18
	s_delay_alu instid0(VALU_DEP_1) | instskip(SKIP_1) | instid1(VALU_DEP_2)
	v_subrev_nc_u32_e32 v19, 29, v18
	v_sub_nc_u32_e32 v18, 30, v18
	v_lshlrev_b32_e32 v19, v19, v7
	v_bfe_u32 v7, v7, 2, 5
	s_delay_alu instid0(VALU_DEP_2) | instskip(NEXT) | instid1(VALU_DEP_2)
	v_and_b32_e32 v19, 3, v19
	v_cmp_eq_u32_e32 vcc_lo, 0, v7
	s_delay_alu instid0(VALU_DEP_2) | instskip(NEXT) | instid1(VALU_DEP_1)
	v_dual_cndmask_b32 v7, v7, v18 :: v_dual_cndmask_b32 v8, v8, v19
	v_lshl_add_u32 v7, v7, 23, 0x37800000
	s_delay_alu instid0(VALU_DEP_2) | instskip(NEXT) | instid1(VALU_DEP_1)
	v_lshlrev_b32_e32 v8, 21, v8
	v_or3_b32 v7, v15, v7, v8
	s_delay_alu instid0(VALU_DEP_1)
	v_cvt_f64_f32_e32 v[7:8], v7
.LBB119_1985:
	s_or_b32 exec_lo, exec_lo, s0
	s_mov_b32 s0, 0
	s_branch .LBB119_1989
.LBB119_1986:
	s_mov_b32 s1, -1
                                        ; implicit-def: $vgpr7_vgpr8
	s_branch .LBB119_1995
.LBB119_1987:
	s_mov_b32 s0, -1
                                        ; implicit-def: $vgpr7_vgpr8
	s_branch .LBB119_1992
.LBB119_1988:
	s_mov_b32 s0, -1
                                        ; implicit-def: $vgpr7_vgpr8
.LBB119_1989:
	s_delay_alu instid0(SALU_CYCLE_1)
	s_and_b32 vcc_lo, exec_lo, s0
	s_cbranch_vccz .LBB119_1991
; %bb.1990:
	global_load_u8 v7, v[13:14], off
	s_waitcnt vmcnt(0)
	v_lshlrev_b32_e32 v7, 24, v7
	s_delay_alu instid0(VALU_DEP_1) | instskip(NEXT) | instid1(VALU_DEP_1)
	v_and_b32_e32 v8, 0x7f000000, v7
	v_clz_i32_u32_e32 v15, v8
	v_cmp_ne_u32_e32 vcc_lo, 0, v8
	v_add_nc_u32_e32 v19, 0x1000000, v8
	s_delay_alu instid0(VALU_DEP_3) | instskip(NEXT) | instid1(VALU_DEP_1)
	v_min_u32_e32 v15, 32, v15
	v_sub_nc_u32_e64 v15, v15, 4 clamp
	s_delay_alu instid0(VALU_DEP_1) | instskip(SKIP_1) | instid1(VALU_DEP_2)
	v_lshlrev_b32_e32 v18, v15, v8
	v_lshlrev_b32_e32 v15, 23, v15
	v_lshrrev_b32_e32 v18, 4, v18
	s_delay_alu instid0(VALU_DEP_1) | instskip(SKIP_1) | instid1(VALU_DEP_2)
	v_sub_nc_u32_e32 v15, v18, v15
	v_ashrrev_i32_e32 v18, 8, v19
	v_add_nc_u32_e32 v15, 0x3c000000, v15
	s_delay_alu instid0(VALU_DEP_1) | instskip(NEXT) | instid1(VALU_DEP_1)
	v_and_or_b32 v15, 0x7f800000, v18, v15
	v_cndmask_b32_e32 v8, 0, v15, vcc_lo
	s_delay_alu instid0(VALU_DEP_1) | instskip(NEXT) | instid1(VALU_DEP_1)
	v_and_or_b32 v7, 0x80000000, v7, v8
	v_cvt_f64_f32_e32 v[7:8], v7
.LBB119_1991:
	s_mov_b32 s0, 0
.LBB119_1992:
	s_delay_alu instid0(SALU_CYCLE_1)
	s_and_not1_b32 vcc_lo, exec_lo, s0
	s_cbranch_vccnz .LBB119_1994
; %bb.1993:
	global_load_u8 v7, v[13:14], off
	s_waitcnt vmcnt(0)
	v_lshlrev_b32_e32 v8, 25, v7
	v_lshlrev_b16 v7, 8, v7
	s_delay_alu instid0(VALU_DEP_2) | instskip(NEXT) | instid1(VALU_DEP_2)
	v_lshrrev_b32_e32 v15, 4, v8
	v_and_or_b32 v18, 0x7f00, v7, 0.5
	v_cmp_gt_u32_e32 vcc_lo, 0x8000000, v8
	v_bfe_i32 v7, v7, 0, 16
	s_delay_alu instid0(VALU_DEP_4) | instskip(NEXT) | instid1(VALU_DEP_1)
	v_or_b32_e32 v15, 0x70000000, v15
	v_dual_add_f32 v18, -0.5, v18 :: v_dual_mul_f32 v15, 0x7800000, v15
	s_delay_alu instid0(VALU_DEP_1) | instskip(NEXT) | instid1(VALU_DEP_1)
	v_cndmask_b32_e32 v8, v15, v18, vcc_lo
	v_and_or_b32 v7, 0x80000000, v7, v8
	s_delay_alu instid0(VALU_DEP_1)
	v_cvt_f64_f32_e32 v[7:8], v7
.LBB119_1994:
	s_mov_b32 s1, 0
	s_mov_b32 s0, -1
.LBB119_1995:
	s_and_not1_b32 vcc_lo, exec_lo, s1
	s_mov_b32 s13, 0
	s_cbranch_vccnz .LBB119_2004
; %bb.1996:
	v_cmp_lt_i16_e32 vcc_lo, 14, v17
	s_cbranch_vccz .LBB119_1999
; %bb.1997:
	v_cmp_eq_u16_e32 vcc_lo, 15, v17
	s_cbranch_vccz .LBB119_2000
; %bb.1998:
	global_load_u16 v7, v[13:14], off
	s_mov_b32 s12, 0
	s_mov_b32 s0, -1
	s_waitcnt vmcnt(0)
	v_lshlrev_b32_e32 v7, 16, v7
	s_delay_alu instid0(VALU_DEP_1)
	v_cvt_f64_f32_e32 v[7:8], v7
	s_branch .LBB119_2001
.LBB119_1999:
	s_mov_b32 s1, -1
                                        ; implicit-def: $vgpr7_vgpr8
	s_branch .LBB119_2002
.LBB119_2000:
	s_mov_b32 s12, -1
                                        ; implicit-def: $vgpr7_vgpr8
.LBB119_2001:
	s_mov_b32 s1, 0
.LBB119_2002:
	s_delay_alu instid0(SALU_CYCLE_1)
	s_and_b32 vcc_lo, exec_lo, s1
	s_cbranch_vccz .LBB119_2004
; %bb.2003:
	v_cmp_ne_u16_e64 s12, 11, v17
	s_mov_b32 s13, -1
                                        ; implicit-def: $vgpr7_vgpr8
.LBB119_2004:
	s_delay_alu instid0(VALU_DEP_1)
	s_and_b32 vcc_lo, exec_lo, s12
	s_cbranch_vccnz .LBB119_2020
; %bb.2005:
	s_and_not1_b32 vcc_lo, exec_lo, s13
	s_cbranch_vccnz .LBB119_2007
.LBB119_2006:
	global_load_u8 v7, v[13:14], off
	s_mov_b32 s0, -1
	s_waitcnt vmcnt(0)
	v_cmp_ne_u16_e32 vcc_lo, 0, v7
	v_mov_b32_e32 v7, 0
	v_cndmask_b32_e64 v8, 0, 0x3ff00000, vcc_lo
.LBB119_2007:
.LBB119_2008:
	s_and_not1_b32 vcc_lo, exec_lo, s0
	s_cbranch_vccnz .LBB119_3064
.LBB119_2009:
	v_cmp_gt_i16_e32 vcc_lo, 11, v16
	v_add_co_u32 v13, s0, s2, v11
	s_delay_alu instid0(VALU_DEP_1)
	v_add_co_ci_u32_e64 v14, null, s3, 0, s0
	s_mov_b32 s13, 0
	s_cbranch_vccnz .LBB119_2016
; %bb.2010:
	v_cmp_lt_i16_e32 vcc_lo, 25, v16
	s_mov_b32 s0, 0
	s_cbranch_vccz .LBB119_2017
; %bb.2011:
	v_cmp_lt_i16_e32 vcc_lo, 28, v16
	s_cbranch_vccz .LBB119_2018
; %bb.2012:
	v_cmp_lt_i16_e32 vcc_lo, 43, v16
	;; [unrolled: 3-line block ×3, first 2 shown]
	s_cbranch_vccz .LBB119_2022
; %bb.2014:
	v_cmp_eq_u16_e32 vcc_lo, 46, v16
	s_mov_b32 s14, 0
	s_cbranch_vccz .LBB119_2025
; %bb.2015:
	global_load_b32 v11, v[13:14], off
	s_mov_b32 s1, 0
	s_mov_b32 s13, -1
	s_waitcnt vmcnt(0)
	v_and_b32_e32 v11, 0x7fff7fff, v11
	s_delay_alu instid0(VALU_DEP_1)
	v_cmp_ne_u32_e32 vcc_lo, 0, v11
	s_and_b32 s12, vcc_lo, exec_lo
	s_branch .LBB119_2027
.LBB119_2016:
	s_mov_b32 s0, -1
                                        ; implicit-def: $sgpr12
	s_branch .LBB119_2091
.LBB119_2017:
	s_mov_b32 s14, -1
	s_mov_b32 s1, 0
                                        ; implicit-def: $sgpr12
	s_branch .LBB119_2054
.LBB119_2018:
	s_mov_b32 s14, -1
	s_mov_b32 s1, 0
                                        ; implicit-def: $sgpr12
	s_branch .LBB119_2035
.LBB119_2019:
	s_mov_b32 s14, -1
	s_mov_b32 s1, 0
                                        ; implicit-def: $sgpr12
	s_branch .LBB119_2030
.LBB119_2020:
	s_cbranch_execnz .LBB119_2023
; %bb.2021:
	s_or_b32 s10, s10, exec_lo
                                        ; implicit-def: $vgpr7_vgpr8
	s_cbranch_execz .LBB119_2006
	s_branch .LBB119_2007
.LBB119_2022:
	s_mov_b32 s14, -1
	s_mov_b32 s1, 0
	s_branch .LBB119_2026
.LBB119_2023:
	s_trap 2
	s_sendmsg_rtn_b32 s0, sendmsg(MSG_RTN_GET_DOORBELL)
	s_mov_b32 ttmp2, m0
	s_waitcnt lgkmcnt(0)
	s_and_b32 s0, s0, 0x3ff
	s_delay_alu instid0(SALU_CYCLE_1) | instskip(NEXT) | instid1(SALU_CYCLE_1)
	s_bitset1_b32 s0, 10
	s_mov_b32 m0, s0
	s_sendmsg sendmsg(MSG_INTERRUPT)
	s_mov_b32 m0, ttmp2
.LBB119_2024:                           ; =>This Inner Loop Header: Depth=1
	s_sethalt 5
	s_branch .LBB119_2024
.LBB119_2025:
	s_mov_b32 s1, -1
.LBB119_2026:
                                        ; implicit-def: $sgpr12
.LBB119_2027:
	s_and_b32 vcc_lo, exec_lo, s14
	s_cbranch_vccz .LBB119_2029
; %bb.2028:
	v_cmp_ne_u16_e64 s1, 44, v16
	s_mov_b32 s13, -1
	s_or_b32 s12, s12, exec_lo
.LBB119_2029:
	s_mov_b32 s14, 0
.LBB119_2030:
	s_delay_alu instid0(SALU_CYCLE_1)
	s_and_b32 vcc_lo, exec_lo, s14
	s_cbranch_vccz .LBB119_2034
; %bb.2031:
	v_cmp_eq_u16_e32 vcc_lo, 29, v16
	s_cbranch_vccz .LBB119_2033
; %bb.2032:
	global_load_b64 v[18:19], v[13:14], off
	s_mov_b32 s1, 0
	s_mov_b32 s13, -1
	s_mov_b32 s14, 0
	s_waitcnt vmcnt(0)
	v_cmp_ne_u64_e32 vcc_lo, 0, v[18:19]
	s_and_b32 s12, vcc_lo, exec_lo
	s_branch .LBB119_2035
.LBB119_2033:
	s_mov_b32 s1, -1
                                        ; implicit-def: $sgpr12
.LBB119_2034:
	s_mov_b32 s14, 0
.LBB119_2035:
	s_delay_alu instid0(SALU_CYCLE_1)
	s_and_b32 vcc_lo, exec_lo, s14
	s_cbranch_vccz .LBB119_2053
; %bb.2036:
	v_cmp_gt_i16_e32 vcc_lo, 27, v16
	s_cbranch_vccnz .LBB119_2039
; %bb.2037:
	v_cmp_lt_i16_e32 vcc_lo, 27, v16
	s_cbranch_vccz .LBB119_2040
; %bb.2038:
	global_load_b32 v11, v[13:14], off
	s_mov_b32 s13, 0
	s_waitcnt vmcnt(0)
	v_cmp_ne_u32_e32 vcc_lo, 0, v11
	s_and_b32 s12, vcc_lo, exec_lo
	s_branch .LBB119_2041
.LBB119_2039:
	s_mov_b32 s13, -1
                                        ; implicit-def: $sgpr12
	s_branch .LBB119_2044
.LBB119_2040:
	s_mov_b32 s13, -1
                                        ; implicit-def: $sgpr12
.LBB119_2041:
	s_delay_alu instid0(SALU_CYCLE_1)
	s_and_not1_b32 vcc_lo, exec_lo, s13
	s_cbranch_vccnz .LBB119_2043
; %bb.2042:
	global_load_u16 v11, v[13:14], off
	s_and_not1_b32 s12, s12, exec_lo
	s_waitcnt vmcnt(0)
	v_cmp_ne_u16_e32 vcc_lo, 0, v11
	s_and_b32 s13, vcc_lo, exec_lo
	s_delay_alu instid0(SALU_CYCLE_1)
	s_or_b32 s12, s12, s13
.LBB119_2043:
	s_mov_b32 s13, 0
.LBB119_2044:
	s_delay_alu instid0(SALU_CYCLE_1)
	s_and_not1_b32 vcc_lo, exec_lo, s13
	s_cbranch_vccnz .LBB119_2052
; %bb.2045:
	global_load_u8 v11, v[13:14], off
	s_mov_b32 s13, 0
	s_mov_b32 s14, exec_lo
                                        ; implicit-def: $sgpr12
	s_waitcnt vmcnt(0)
	v_cmpx_lt_i16_e32 0x7f, v11
	s_xor_b32 s14, exec_lo, s14
	s_cbranch_execz .LBB119_2066
; %bb.2046:
	s_mov_b32 s13, -1
	s_mov_b32 s15, exec_lo
                                        ; implicit-def: $sgpr12
	v_cmpx_eq_u16_e32 0x80, v11
; %bb.2047:
	s_mov_b32 s12, -1
	s_xor_b32 s13, exec_lo, -1
; %bb.2048:
	s_or_b32 exec_lo, exec_lo, s15
	s_delay_alu instid0(SALU_CYCLE_1)
	s_and_b32 s13, s13, exec_lo
	s_and_not1_saveexec_b32 s14, s14
	s_cbranch_execnz .LBB119_2067
.LBB119_2049:
	s_or_b32 exec_lo, exec_lo, s14
	s_and_saveexec_b32 s14, s13
	s_cbranch_execz .LBB119_2051
.LBB119_2050:
	v_and_b32_e32 v11, 0xffff, v11
	s_and_not1_b32 s12, s12, exec_lo
	s_delay_alu instid0(VALU_DEP_1) | instskip(NEXT) | instid1(VALU_DEP_1)
	v_and_b32_e32 v15, 7, v11
	v_clz_i32_u32_e32 v18, v15
	s_delay_alu instid0(VALU_DEP_1) | instskip(NEXT) | instid1(VALU_DEP_1)
	v_min_u32_e32 v18, 32, v18
	v_subrev_nc_u32_e32 v19, 28, v18
	v_sub_nc_u32_e32 v18, 29, v18
	s_delay_alu instid0(VALU_DEP_2) | instskip(SKIP_1) | instid1(VALU_DEP_2)
	v_lshlrev_b32_e32 v19, v19, v11
	v_bfe_u32 v11, v11, 3, 4
	v_and_b32_e32 v19, 7, v19
	s_delay_alu instid0(VALU_DEP_2) | instskip(SKIP_1) | instid1(VALU_DEP_3)
	v_cmp_eq_u32_e32 vcc_lo, 0, v11
	v_cndmask_b32_e32 v11, v11, v18, vcc_lo
	v_cndmask_b32_e32 v15, v15, v19, vcc_lo
	s_delay_alu instid0(VALU_DEP_2) | instskip(NEXT) | instid1(VALU_DEP_2)
	v_lshl_add_u32 v11, v11, 23, 0x3b800000
	v_lshlrev_b32_e32 v15, 20, v15
	s_delay_alu instid0(VALU_DEP_1) | instskip(NEXT) | instid1(VALU_DEP_1)
	v_and_or_b32 v11, 0x7f800000, v11, v15
	v_cmp_ne_u32_e32 vcc_lo, 0, v11
	s_and_b32 s13, vcc_lo, exec_lo
	s_delay_alu instid0(SALU_CYCLE_1)
	s_or_b32 s12, s12, s13
.LBB119_2051:
	s_or_b32 exec_lo, exec_lo, s14
.LBB119_2052:
	s_mov_b32 s13, -1
.LBB119_2053:
	s_mov_b32 s14, 0
.LBB119_2054:
	s_delay_alu instid0(SALU_CYCLE_1)
	s_and_b32 vcc_lo, exec_lo, s14
	s_cbranch_vccz .LBB119_2087
; %bb.2055:
	v_cmp_lt_i16_e32 vcc_lo, 22, v16
	s_cbranch_vccz .LBB119_2065
; %bb.2056:
	v_cmp_gt_i16_e32 vcc_lo, 24, v16
	s_cbranch_vccnz .LBB119_2068
; %bb.2057:
	v_cmp_lt_i16_e32 vcc_lo, 24, v16
	s_cbranch_vccz .LBB119_2069
; %bb.2058:
	global_load_u8 v11, v[13:14], off
	s_mov_b32 s13, exec_lo
                                        ; implicit-def: $sgpr12
	s_waitcnt vmcnt(0)
	v_cmpx_lt_i16_e32 0x7f, v11
	s_xor_b32 s13, exec_lo, s13
	s_cbranch_execz .LBB119_2081
; %bb.2059:
	s_mov_b32 s0, -1
	s_mov_b32 s14, exec_lo
                                        ; implicit-def: $sgpr12
	v_cmpx_eq_u16_e32 0x80, v11
; %bb.2060:
	s_mov_b32 s12, -1
	s_xor_b32 s0, exec_lo, -1
; %bb.2061:
	s_or_b32 exec_lo, exec_lo, s14
	s_delay_alu instid0(SALU_CYCLE_1)
	s_and_b32 s0, s0, exec_lo
	s_and_not1_saveexec_b32 s13, s13
	s_cbranch_execnz .LBB119_2082
.LBB119_2062:
	s_or_b32 exec_lo, exec_lo, s13
	s_and_saveexec_b32 s13, s0
	s_cbranch_execz .LBB119_2064
.LBB119_2063:
	v_and_b32_e32 v11, 0xffff, v11
	s_and_not1_b32 s0, s12, exec_lo
	s_delay_alu instid0(VALU_DEP_1) | instskip(NEXT) | instid1(VALU_DEP_1)
	v_and_b32_e32 v15, 3, v11
	v_clz_i32_u32_e32 v18, v15
	s_delay_alu instid0(VALU_DEP_1) | instskip(NEXT) | instid1(VALU_DEP_1)
	v_min_u32_e32 v18, 32, v18
	v_subrev_nc_u32_e32 v19, 29, v18
	v_sub_nc_u32_e32 v18, 30, v18
	s_delay_alu instid0(VALU_DEP_2) | instskip(SKIP_1) | instid1(VALU_DEP_2)
	v_lshlrev_b32_e32 v19, v19, v11
	v_bfe_u32 v11, v11, 2, 5
	v_and_b32_e32 v19, 3, v19
	s_delay_alu instid0(VALU_DEP_2) | instskip(SKIP_1) | instid1(VALU_DEP_3)
	v_cmp_eq_u32_e32 vcc_lo, 0, v11
	v_cndmask_b32_e32 v11, v11, v18, vcc_lo
	v_cndmask_b32_e32 v15, v15, v19, vcc_lo
	s_delay_alu instid0(VALU_DEP_2) | instskip(NEXT) | instid1(VALU_DEP_2)
	v_lshl_add_u32 v11, v11, 23, 0x37800000
	v_lshlrev_b32_e32 v15, 21, v15
	s_delay_alu instid0(VALU_DEP_1) | instskip(NEXT) | instid1(VALU_DEP_1)
	v_and_or_b32 v11, 0x7f800000, v11, v15
	v_cmp_ne_u32_e32 vcc_lo, 0, v11
	s_and_b32 s12, vcc_lo, exec_lo
	s_delay_alu instid0(SALU_CYCLE_1)
	s_or_b32 s12, s0, s12
.LBB119_2064:
	s_or_b32 exec_lo, exec_lo, s13
	s_mov_b32 s0, 0
	s_branch .LBB119_2070
.LBB119_2065:
	s_mov_b32 s0, -1
                                        ; implicit-def: $sgpr12
	s_branch .LBB119_2076
.LBB119_2066:
	s_and_not1_saveexec_b32 s14, s14
	s_cbranch_execz .LBB119_2049
.LBB119_2067:
	v_cmp_ne_u16_e32 vcc_lo, 0, v11
	s_and_not1_b32 s13, s13, exec_lo
	s_and_not1_b32 s12, s12, exec_lo
	s_and_b32 s15, vcc_lo, exec_lo
	s_delay_alu instid0(SALU_CYCLE_1)
	s_or_b32 s13, s13, s15
	s_or_b32 exec_lo, exec_lo, s14
	s_and_saveexec_b32 s14, s13
	s_cbranch_execnz .LBB119_2050
	s_branch .LBB119_2051
.LBB119_2068:
	s_mov_b32 s0, -1
                                        ; implicit-def: $sgpr12
	s_branch .LBB119_2073
.LBB119_2069:
	s_mov_b32 s0, -1
                                        ; implicit-def: $sgpr12
.LBB119_2070:
	s_delay_alu instid0(SALU_CYCLE_1)
	s_and_b32 vcc_lo, exec_lo, s0
	s_cbranch_vccz .LBB119_2072
; %bb.2071:
	global_load_u8 v11, v[13:14], off
	s_and_not1_b32 s12, s12, exec_lo
	s_waitcnt vmcnt(0)
	v_lshlrev_b32_e32 v11, 24, v11
	s_delay_alu instid0(VALU_DEP_1) | instskip(NEXT) | instid1(VALU_DEP_1)
	v_and_b32_e32 v11, 0x7f000000, v11
	v_clz_i32_u32_e32 v15, v11
	v_add_nc_u32_e32 v19, 0x1000000, v11
	v_cmp_ne_u32_e32 vcc_lo, 0, v11
	s_delay_alu instid0(VALU_DEP_3) | instskip(NEXT) | instid1(VALU_DEP_3)
	v_min_u32_e32 v15, 32, v15
	v_ashrrev_i32_e32 v19, 8, v19
	s_delay_alu instid0(VALU_DEP_2) | instskip(NEXT) | instid1(VALU_DEP_1)
	v_sub_nc_u32_e64 v15, v15, 4 clamp
	v_lshlrev_b32_e32 v18, v15, v11
	v_lshlrev_b32_e32 v15, 23, v15
	s_delay_alu instid0(VALU_DEP_2) | instskip(NEXT) | instid1(VALU_DEP_1)
	v_lshrrev_b32_e32 v18, 4, v18
	v_sub_nc_u32_e32 v15, v18, v15
	v_and_b32_e32 v18, 0x7f800000, v19
	s_delay_alu instid0(VALU_DEP_2) | instskip(NEXT) | instid1(VALU_DEP_1)
	v_add_nc_u32_e32 v15, 0x3c000000, v15
	v_and_or_b32 v15, 0x7ff00000, v15, v18
	s_delay_alu instid0(VALU_DEP_1) | instskip(NEXT) | instid1(VALU_DEP_1)
	v_cmp_ne_u32_e64 s0, 0, v15
	s_and_b32 s0, vcc_lo, s0
	s_delay_alu instid0(SALU_CYCLE_1) | instskip(NEXT) | instid1(SALU_CYCLE_1)
	s_and_b32 s0, s0, exec_lo
	s_or_b32 s12, s12, s0
.LBB119_2072:
	s_mov_b32 s0, 0
.LBB119_2073:
	s_delay_alu instid0(SALU_CYCLE_1)
	s_and_not1_b32 vcc_lo, exec_lo, s0
	s_cbranch_vccnz .LBB119_2075
; %bb.2074:
	global_load_u8 v11, v[13:14], off
	s_and_not1_b32 s0, s12, exec_lo
	s_waitcnt vmcnt(0)
	v_lshlrev_b32_e32 v15, 25, v11
	v_lshlrev_b32_e32 v11, 8, v11
	s_delay_alu instid0(VALU_DEP_2) | instskip(NEXT) | instid1(VALU_DEP_2)
	v_lshrrev_b32_e32 v18, 4, v15
	v_and_or_b32 v11, 0x7f00, v11, 0.5
	s_delay_alu instid0(VALU_DEP_2) | instskip(NEXT) | instid1(VALU_DEP_1)
	v_or_b32_e32 v18, 0x70000000, v18
	v_dual_add_f32 v11, -0.5, v11 :: v_dual_mul_f32 v18, 0x7800000, v18
	v_cmp_gt_u32_e32 vcc_lo, 0x8000000, v15
	s_delay_alu instid0(VALU_DEP_2) | instskip(NEXT) | instid1(VALU_DEP_1)
	v_cndmask_b32_e32 v11, v18, v11, vcc_lo
	v_cmp_neq_f32_e32 vcc_lo, 0, v11
	s_and_b32 s12, vcc_lo, exec_lo
	s_delay_alu instid0(SALU_CYCLE_1)
	s_or_b32 s12, s0, s12
.LBB119_2075:
	s_mov_b32 s0, 0
	s_mov_b32 s13, -1
.LBB119_2076:
	s_and_not1_b32 vcc_lo, exec_lo, s0
	s_mov_b32 s0, 0
	s_cbranch_vccnz .LBB119_2087
; %bb.2077:
	v_cmp_lt_i16_e32 vcc_lo, 14, v16
	s_cbranch_vccz .LBB119_2080
; %bb.2078:
	v_cmp_eq_u16_e32 vcc_lo, 15, v16
	s_cbranch_vccz .LBB119_2083
; %bb.2079:
	global_load_u16 v11, v[13:14], off
	s_mov_b32 s1, 0
	s_mov_b32 s13, -1
	s_waitcnt vmcnt(0)
	v_and_b32_e32 v11, 0x7fff, v11
	s_delay_alu instid0(VALU_DEP_1)
	v_cmp_ne_u16_e32 vcc_lo, 0, v11
	s_and_b32 s12, vcc_lo, exec_lo
	s_branch .LBB119_2085
.LBB119_2080:
	s_mov_b32 s0, -1
	s_branch .LBB119_2084
.LBB119_2081:
	s_and_not1_saveexec_b32 s13, s13
	s_cbranch_execz .LBB119_2062
.LBB119_2082:
	v_cmp_ne_u16_e32 vcc_lo, 0, v11
	s_and_not1_b32 s0, s0, exec_lo
	s_and_not1_b32 s12, s12, exec_lo
	s_and_b32 s14, vcc_lo, exec_lo
	s_delay_alu instid0(SALU_CYCLE_1)
	s_or_b32 s0, s0, s14
	s_or_b32 exec_lo, exec_lo, s13
	s_and_saveexec_b32 s13, s0
	s_cbranch_execnz .LBB119_2063
	s_branch .LBB119_2064
.LBB119_2083:
	s_mov_b32 s1, -1
.LBB119_2084:
                                        ; implicit-def: $sgpr12
.LBB119_2085:
	s_and_b32 vcc_lo, exec_lo, s0
	s_mov_b32 s0, 0
	s_cbranch_vccz .LBB119_2087
; %bb.2086:
	v_cmp_ne_u16_e64 s1, 11, v16
	s_mov_b32 s0, -1
	s_and_not1_b32 s12, s12, exec_lo
.LBB119_2087:
	s_delay_alu instid0(VALU_DEP_1)
	s_and_b32 vcc_lo, exec_lo, s1
	s_cbranch_vccnz .LBB119_2152
; %bb.2088:
	s_and_not1_b32 vcc_lo, exec_lo, s0
	s_cbranch_vccnz .LBB119_2090
.LBB119_2089:
	global_load_u8 v11, v[13:14], off
	s_and_not1_b32 s0, s12, exec_lo
	s_mov_b32 s13, -1
	s_waitcnt vmcnt(0)
	v_cmp_ne_u16_e32 vcc_lo, 0, v11
	s_and_b32 s1, vcc_lo, exec_lo
	s_delay_alu instid0(SALU_CYCLE_1)
	s_or_b32 s12, s0, s1
.LBB119_2090:
	s_mov_b32 s0, 0
.LBB119_2091:
	s_delay_alu instid0(SALU_CYCLE_1)
	s_and_b32 vcc_lo, exec_lo, s0
	s_cbranch_vccz .LBB119_2140
; %bb.2092:
	v_cmp_gt_i16_e32 vcc_lo, 5, v16
	s_cbranch_vccnz .LBB119_2097
; %bb.2093:
	v_cmp_gt_i16_e32 vcc_lo, 8, v16
	s_cbranch_vccnz .LBB119_2098
; %bb.2094:
	v_cmp_gt_i16_e32 vcc_lo, 9, v16
	s_cbranch_vccnz .LBB119_2099
; %bb.2095:
	v_cmp_lt_i16_e32 vcc_lo, 9, v16
	s_cbranch_vccz .LBB119_2100
; %bb.2096:
	global_load_b128 v[18:21], v[13:14], off
	s_waitcnt vmcnt(0)
	v_cmp_neq_f64_e32 vcc_lo, 0, v[18:19]
	v_cmp_neq_f64_e64 s0, 0, v[20:21]
	s_delay_alu instid0(VALU_DEP_1)
	s_or_b32 s1, vcc_lo, s0
	s_mov_b32 s0, 0
	s_and_b32 s12, s1, exec_lo
	s_branch .LBB119_2101
.LBB119_2097:
	s_mov_b32 s0, -1
                                        ; implicit-def: $sgpr12
	s_branch .LBB119_2119
.LBB119_2098:
	s_mov_b32 s0, -1
                                        ; implicit-def: $sgpr12
	s_branch .LBB119_2107
.LBB119_2099:
	s_mov_b32 s0, -1
                                        ; implicit-def: $sgpr12
	s_branch .LBB119_2104
.LBB119_2100:
	s_mov_b32 s0, -1
                                        ; implicit-def: $sgpr12
.LBB119_2101:
	s_delay_alu instid0(SALU_CYCLE_1)
	s_and_not1_b32 vcc_lo, exec_lo, s0
	s_cbranch_vccnz .LBB119_2103
; %bb.2102:
	global_load_b64 v[18:19], v[13:14], off
	s_and_not1_b32 s0, s12, exec_lo
	s_waitcnt vmcnt(0)
	v_or_b32_e32 v11, v18, v19
	s_delay_alu instid0(VALU_DEP_1) | instskip(NEXT) | instid1(VALU_DEP_1)
	v_and_b32_e32 v11, 0x7fffffff, v11
	v_cmp_ne_u32_e32 vcc_lo, 0, v11
	s_and_b32 s1, vcc_lo, exec_lo
	s_delay_alu instid0(SALU_CYCLE_1)
	s_or_b32 s12, s0, s1
.LBB119_2103:
	s_mov_b32 s0, 0
.LBB119_2104:
	s_delay_alu instid0(SALU_CYCLE_1)
	s_and_not1_b32 vcc_lo, exec_lo, s0
	s_cbranch_vccnz .LBB119_2106
; %bb.2105:
	global_load_b32 v11, v[13:14], off
	s_and_not1_b32 s0, s12, exec_lo
	s_waitcnt vmcnt(0)
	v_and_b32_e32 v11, 0x7fff7fff, v11
	s_delay_alu instid0(VALU_DEP_1) | instskip(SKIP_1) | instid1(SALU_CYCLE_1)
	v_cmp_ne_u32_e32 vcc_lo, 0, v11
	s_and_b32 s1, vcc_lo, exec_lo
	s_or_b32 s12, s0, s1
.LBB119_2106:
	s_mov_b32 s0, 0
.LBB119_2107:
	s_delay_alu instid0(SALU_CYCLE_1)
	s_and_not1_b32 vcc_lo, exec_lo, s0
	s_cbranch_vccnz .LBB119_2118
; %bb.2108:
	v_cmp_gt_i16_e32 vcc_lo, 6, v16
	s_cbranch_vccnz .LBB119_2111
; %bb.2109:
	v_cmp_lt_i16_e32 vcc_lo, 6, v16
	s_cbranch_vccz .LBB119_2112
; %bb.2110:
	global_load_b64 v[18:19], v[13:14], off
	s_mov_b32 s0, 0
	s_waitcnt vmcnt(0)
	v_cmp_neq_f64_e32 vcc_lo, 0, v[18:19]
	s_and_b32 s12, vcc_lo, exec_lo
	s_branch .LBB119_2113
.LBB119_2111:
	s_mov_b32 s0, -1
                                        ; implicit-def: $sgpr12
	s_branch .LBB119_2116
.LBB119_2112:
	s_mov_b32 s0, -1
                                        ; implicit-def: $sgpr12
.LBB119_2113:
	s_delay_alu instid0(SALU_CYCLE_1)
	s_and_not1_b32 vcc_lo, exec_lo, s0
	s_cbranch_vccnz .LBB119_2115
; %bb.2114:
	global_load_b32 v11, v[13:14], off
	s_and_not1_b32 s0, s12, exec_lo
	s_waitcnt vmcnt(0)
	v_cmp_neq_f32_e32 vcc_lo, 0, v11
	s_and_b32 s1, vcc_lo, exec_lo
	s_delay_alu instid0(SALU_CYCLE_1)
	s_or_b32 s12, s0, s1
.LBB119_2115:
	s_mov_b32 s0, 0
.LBB119_2116:
	s_delay_alu instid0(SALU_CYCLE_1)
	s_and_not1_b32 vcc_lo, exec_lo, s0
	s_cbranch_vccnz .LBB119_2118
; %bb.2117:
	global_load_u16 v11, v[13:14], off
	s_and_not1_b32 s0, s12, exec_lo
	s_waitcnt vmcnt(0)
	v_and_b32_e32 v11, 0x7fff, v11
	s_delay_alu instid0(VALU_DEP_1) | instskip(SKIP_1) | instid1(SALU_CYCLE_1)
	v_cmp_ne_u16_e32 vcc_lo, 0, v11
	s_and_b32 s1, vcc_lo, exec_lo
	s_or_b32 s12, s0, s1
.LBB119_2118:
	s_mov_b32 s0, 0
.LBB119_2119:
	s_delay_alu instid0(SALU_CYCLE_1)
	s_and_not1_b32 vcc_lo, exec_lo, s0
	s_cbranch_vccnz .LBB119_2139
; %bb.2120:
	v_cmp_gt_i16_e32 vcc_lo, 2, v16
	s_cbranch_vccnz .LBB119_2124
; %bb.2121:
	v_cmp_gt_i16_e32 vcc_lo, 3, v16
	s_cbranch_vccnz .LBB119_2125
; %bb.2122:
	v_cmp_lt_i16_e32 vcc_lo, 3, v16
	s_cbranch_vccz .LBB119_2126
; %bb.2123:
	global_load_b64 v[18:19], v[13:14], off
	s_mov_b32 s0, 0
	s_waitcnt vmcnt(0)
	v_cmp_ne_u64_e32 vcc_lo, 0, v[18:19]
	s_and_b32 s12, vcc_lo, exec_lo
	s_branch .LBB119_2127
.LBB119_2124:
	s_mov_b32 s0, -1
                                        ; implicit-def: $sgpr12
	s_branch .LBB119_2133
.LBB119_2125:
	s_mov_b32 s0, -1
                                        ; implicit-def: $sgpr12
	s_branch .LBB119_2130
.LBB119_2126:
	s_mov_b32 s0, -1
                                        ; implicit-def: $sgpr12
.LBB119_2127:
	s_delay_alu instid0(SALU_CYCLE_1)
	s_and_not1_b32 vcc_lo, exec_lo, s0
	s_cbranch_vccnz .LBB119_2129
; %bb.2128:
	global_load_b32 v11, v[13:14], off
	s_and_not1_b32 s0, s12, exec_lo
	s_waitcnt vmcnt(0)
	v_cmp_ne_u32_e32 vcc_lo, 0, v11
	s_and_b32 s1, vcc_lo, exec_lo
	s_delay_alu instid0(SALU_CYCLE_1)
	s_or_b32 s12, s0, s1
.LBB119_2129:
	s_mov_b32 s0, 0
.LBB119_2130:
	s_delay_alu instid0(SALU_CYCLE_1)
	s_and_not1_b32 vcc_lo, exec_lo, s0
	s_cbranch_vccnz .LBB119_2132
; %bb.2131:
	global_load_u16 v11, v[13:14], off
	s_and_not1_b32 s0, s12, exec_lo
	s_waitcnt vmcnt(0)
	v_cmp_ne_u16_e32 vcc_lo, 0, v11
	s_and_b32 s1, vcc_lo, exec_lo
	s_delay_alu instid0(SALU_CYCLE_1)
	s_or_b32 s12, s0, s1
.LBB119_2132:
	s_mov_b32 s0, 0
.LBB119_2133:
	s_delay_alu instid0(SALU_CYCLE_1)
	s_and_not1_b32 vcc_lo, exec_lo, s0
	s_cbranch_vccnz .LBB119_2139
; %bb.2134:
	v_cmp_lt_i16_e32 vcc_lo, 0, v16
	s_mov_b32 s0, 0
	s_cbranch_vccz .LBB119_2136
; %bb.2135:
	global_load_u8 v11, v[13:14], off
	s_waitcnt vmcnt(0)
	v_cmp_ne_u16_e32 vcc_lo, 0, v11
	s_and_b32 s12, vcc_lo, exec_lo
	s_branch .LBB119_2137
.LBB119_2136:
	s_mov_b32 s0, -1
                                        ; implicit-def: $sgpr12
.LBB119_2137:
	s_delay_alu instid0(SALU_CYCLE_1)
	s_and_not1_b32 vcc_lo, exec_lo, s0
	s_cbranch_vccnz .LBB119_2139
; %bb.2138:
	global_load_u8 v11, v[13:14], off
	s_and_not1_b32 s0, s12, exec_lo
	s_waitcnt vmcnt(0)
	v_cmp_ne_u16_e32 vcc_lo, 0, v11
	s_and_b32 s1, vcc_lo, exec_lo
	s_delay_alu instid0(SALU_CYCLE_1)
	s_or_b32 s12, s0, s1
.LBB119_2139:
	s_mov_b32 s13, -1
.LBB119_2140:
	s_delay_alu instid0(SALU_CYCLE_1)
	s_and_not1_b32 vcc_lo, exec_lo, s13
	s_cbranch_vccnz .LBB119_3064
; %bb.2141:
	v_cmp_gt_i16_e32 vcc_lo, 11, v17
	v_add_co_u32 v13, s0, s6, v10
	s_delay_alu instid0(VALU_DEP_1)
	v_add_co_ci_u32_e64 v14, null, s7, 0, s0
	s_mov_b32 s0, 0
	s_cbranch_vccnz .LBB119_2148
; %bb.2142:
	v_cmp_lt_i16_e32 vcc_lo, 25, v17
	s_mov_b32 s14, 0
	s_cbranch_vccz .LBB119_2149
; %bb.2143:
	v_cmp_lt_i16_e32 vcc_lo, 28, v17
	s_cbranch_vccz .LBB119_2150
; %bb.2144:
	v_cmp_lt_i16_e32 vcc_lo, 43, v17
	s_cbranch_vccz .LBB119_2151
; %bb.2145:
	v_cmp_lt_i16_e32 vcc_lo, 45, v17
	s_cbranch_vccz .LBB119_2154
; %bb.2146:
	v_cmp_eq_u16_e32 vcc_lo, 46, v17
	s_mov_b32 s1, 0
	s_cbranch_vccz .LBB119_2157
; %bb.2147:
	global_load_b32 v10, v[13:14], off
	s_mov_b32 s13, 0
	s_mov_b32 s0, -1
	s_waitcnt vmcnt(0)
	v_lshlrev_b32_e32 v10, 16, v10
	s_delay_alu instid0(VALU_DEP_1)
	v_cvt_f64_f32_e32 v[10:11], v10
	s_branch .LBB119_2159
.LBB119_2148:
	s_mov_b32 s1, -1
                                        ; implicit-def: $vgpr10_vgpr11
	s_branch .LBB119_2225
.LBB119_2149:
	s_mov_b32 s1, -1
	s_mov_b32 s13, 0
                                        ; implicit-def: $vgpr10_vgpr11
	s_branch .LBB119_2190
.LBB119_2150:
	s_mov_b32 s1, -1
	s_mov_b32 s13, 0
                                        ; implicit-def: $vgpr10_vgpr11
	s_branch .LBB119_2169
.LBB119_2151:
	s_mov_b32 s1, -1
	s_mov_b32 s13, 0
                                        ; implicit-def: $vgpr10_vgpr11
	s_branch .LBB119_2164
.LBB119_2152:
	s_cbranch_execnz .LBB119_2155
; %bb.2153:
	s_mov_b32 s13, 0
	s_and_not1_b32 s12, s12, exec_lo
	s_or_b32 s10, s10, exec_lo
	s_cbranch_execz .LBB119_2089
	s_branch .LBB119_2090
.LBB119_2154:
	s_mov_b32 s1, -1
	s_mov_b32 s13, 0
	s_branch .LBB119_2158
.LBB119_2155:
	s_trap 2
	s_sendmsg_rtn_b32 s0, sendmsg(MSG_RTN_GET_DOORBELL)
	s_mov_b32 ttmp2, m0
	s_waitcnt lgkmcnt(0)
	s_and_b32 s0, s0, 0x3ff
	s_delay_alu instid0(SALU_CYCLE_1) | instskip(NEXT) | instid1(SALU_CYCLE_1)
	s_bitset1_b32 s0, 10
	s_mov_b32 m0, s0
	s_sendmsg sendmsg(MSG_INTERRUPT)
	s_mov_b32 m0, ttmp2
.LBB119_2156:                           ; =>This Inner Loop Header: Depth=1
	s_sethalt 5
	s_branch .LBB119_2156
.LBB119_2157:
	s_mov_b32 s13, -1
.LBB119_2158:
                                        ; implicit-def: $vgpr10_vgpr11
.LBB119_2159:
	s_and_b32 vcc_lo, exec_lo, s1
	s_cbranch_vccz .LBB119_2163
; %bb.2160:
	v_cmp_eq_u16_e32 vcc_lo, 44, v17
	s_cbranch_vccz .LBB119_2162
; %bb.2161:
	global_load_u8 v15, v[13:14], off
	s_mov_b32 s13, 0
	s_mov_b32 s0, -1
	s_waitcnt vmcnt(0)
	v_lshlrev_b32_e32 v10, 23, v15
	v_cmp_ne_u32_e32 vcc_lo, 0xff, v15
	s_delay_alu instid0(VALU_DEP_2) | instskip(NEXT) | instid1(VALU_DEP_1)
	v_cvt_f64_f32_e32 v[10:11], v10
	v_cndmask_b32_e32 v10, 0x20000000, v10, vcc_lo
	s_delay_alu instid0(VALU_DEP_2) | instskip(SKIP_1) | instid1(VALU_DEP_2)
	v_cndmask_b32_e32 v11, 0x7ff80000, v11, vcc_lo
	v_cmp_ne_u32_e32 vcc_lo, 0, v15
	v_cndmask_b32_e32 v11, 0x38000000, v11, vcc_lo
	s_delay_alu instid0(VALU_DEP_4)
	v_cndmask_b32_e32 v10, 0, v10, vcc_lo
	s_branch .LBB119_2163
.LBB119_2162:
	s_mov_b32 s13, -1
                                        ; implicit-def: $vgpr10_vgpr11
.LBB119_2163:
	s_mov_b32 s1, 0
.LBB119_2164:
	s_delay_alu instid0(SALU_CYCLE_1)
	s_and_b32 vcc_lo, exec_lo, s1
	s_cbranch_vccz .LBB119_2168
; %bb.2165:
	v_cmp_eq_u16_e32 vcc_lo, 29, v17
	s_cbranch_vccz .LBB119_2167
; %bb.2166:
	global_load_b64 v[10:11], v[13:14], off
	s_mov_b32 s13, 0
	s_mov_b32 s0, -1
	s_mov_b32 s1, 0
	s_waitcnt vmcnt(0)
	v_cvt_f64_u32_e32 v[18:19], v11
	v_cvt_f64_u32_e32 v[10:11], v10
	s_delay_alu instid0(VALU_DEP_2) | instskip(NEXT) | instid1(VALU_DEP_1)
	v_ldexp_f64 v[18:19], v[18:19], 32
	v_add_f64 v[10:11], v[18:19], v[10:11]
	s_branch .LBB119_2169
.LBB119_2167:
	s_mov_b32 s13, -1
                                        ; implicit-def: $vgpr10_vgpr11
.LBB119_2168:
	s_mov_b32 s1, 0
.LBB119_2169:
	s_delay_alu instid0(SALU_CYCLE_1)
	s_and_b32 vcc_lo, exec_lo, s1
	s_cbranch_vccz .LBB119_2189
; %bb.2170:
	v_cmp_gt_i16_e32 vcc_lo, 27, v17
	s_cbranch_vccnz .LBB119_2173
; %bb.2171:
	v_cmp_lt_i16_e32 vcc_lo, 27, v17
	s_cbranch_vccz .LBB119_2174
; %bb.2172:
	global_load_b32 v10, v[13:14], off
	s_mov_b32 s0, 0
	s_waitcnt vmcnt(0)
	v_cvt_f64_u32_e32 v[10:11], v10
	s_branch .LBB119_2175
.LBB119_2173:
	s_mov_b32 s0, -1
                                        ; implicit-def: $vgpr10_vgpr11
	s_branch .LBB119_2178
.LBB119_2174:
	s_mov_b32 s0, -1
                                        ; implicit-def: $vgpr10_vgpr11
.LBB119_2175:
	s_delay_alu instid0(SALU_CYCLE_1)
	s_and_not1_b32 vcc_lo, exec_lo, s0
	s_cbranch_vccnz .LBB119_2177
; %bb.2176:
	global_load_u16 v10, v[13:14], off
	s_waitcnt vmcnt(0)
	v_cvt_f64_u32_e32 v[10:11], v10
.LBB119_2177:
	s_mov_b32 s0, 0
.LBB119_2178:
	s_delay_alu instid0(SALU_CYCLE_1)
	s_and_not1_b32 vcc_lo, exec_lo, s0
	s_cbranch_vccnz .LBB119_2188
; %bb.2179:
	global_load_u8 v15, v[13:14], off
	s_mov_b32 s15, 0
	s_mov_b32 s16, exec_lo
                                        ; implicit-def: $sgpr0_sgpr1
	s_waitcnt vmcnt(0)
	v_cmpx_lt_i16_e32 0x7f, v15
	s_xor_b32 s16, exec_lo, s16
	s_cbranch_execz .LBB119_2183
; %bb.2180:
	s_mov_b32 s17, -1
	s_mov_b32 s15, exec_lo
                                        ; implicit-def: $sgpr0_sgpr1
	v_cmpx_eq_u16_e32 0x80, v15
; %bb.2181:
	s_mov_b32 s1, 0x7ff80000
	s_brev_b32 s0, 4
	s_xor_b32 s17, exec_lo, -1
; %bb.2182:
	s_or_b32 exec_lo, exec_lo, s15
	s_delay_alu instid0(SALU_CYCLE_1)
	s_and_b32 s15, s17, exec_lo
.LBB119_2183:
	s_or_saveexec_b32 s16, s16
	v_dual_mov_b32 v11, s1 :: v_dual_mov_b32 v10, s0
	s_xor_b32 exec_lo, exec_lo, s16
; %bb.2184:
	v_cmp_ne_u16_e32 vcc_lo, 0, v15
	v_mov_b32_e32 v10, 0
	v_mov_b32_e32 v11, 0
	s_and_not1_b32 s0, s15, exec_lo
	s_and_b32 s1, vcc_lo, exec_lo
	s_delay_alu instid0(SALU_CYCLE_1)
	s_or_b32 s15, s0, s1
; %bb.2185:
	s_or_b32 exec_lo, exec_lo, s16
	s_and_saveexec_b32 s0, s15
	s_cbranch_execz .LBB119_2187
; %bb.2186:
	v_and_b32_e32 v10, 0xffff, v15
	v_lshlrev_b32_e32 v15, 24, v15
	s_delay_alu instid0(VALU_DEP_2) | instskip(NEXT) | instid1(VALU_DEP_2)
	v_and_b32_e32 v11, 7, v10
	v_and_b32_e32 v15, 0x80000000, v15
	s_delay_alu instid0(VALU_DEP_2) | instskip(NEXT) | instid1(VALU_DEP_1)
	v_clz_i32_u32_e32 v18, v11
	v_min_u32_e32 v18, 32, v18
	s_delay_alu instid0(VALU_DEP_1) | instskip(SKIP_1) | instid1(VALU_DEP_2)
	v_subrev_nc_u32_e32 v19, 28, v18
	v_sub_nc_u32_e32 v18, 29, v18
	v_lshlrev_b32_e32 v19, v19, v10
	v_bfe_u32 v10, v10, 3, 4
	s_delay_alu instid0(VALU_DEP_1) | instskip(NEXT) | instid1(VALU_DEP_3)
	v_cmp_eq_u32_e32 vcc_lo, 0, v10
	v_dual_cndmask_b32 v10, v10, v18 :: v_dual_and_b32 v19, 7, v19
	s_delay_alu instid0(VALU_DEP_1) | instskip(NEXT) | instid1(VALU_DEP_2)
	v_cndmask_b32_e32 v11, v11, v19, vcc_lo
	v_lshl_add_u32 v10, v10, 23, 0x3b800000
	s_delay_alu instid0(VALU_DEP_2) | instskip(NEXT) | instid1(VALU_DEP_1)
	v_lshlrev_b32_e32 v11, 20, v11
	v_or3_b32 v10, v15, v10, v11
	s_delay_alu instid0(VALU_DEP_1)
	v_cvt_f64_f32_e32 v[10:11], v10
.LBB119_2187:
	s_or_b32 exec_lo, exec_lo, s0
.LBB119_2188:
	s_mov_b32 s0, -1
.LBB119_2189:
	s_mov_b32 s1, 0
.LBB119_2190:
	s_delay_alu instid0(SALU_CYCLE_1)
	s_and_b32 vcc_lo, exec_lo, s1
	s_cbranch_vccz .LBB119_2221
; %bb.2191:
	v_cmp_lt_i16_e32 vcc_lo, 22, v17
	s_cbranch_vccz .LBB119_2203
; %bb.2192:
	v_cmp_gt_i16_e32 vcc_lo, 24, v17
	s_cbranch_vccnz .LBB119_2204
; %bb.2193:
	v_cmp_lt_i16_e32 vcc_lo, 24, v17
	s_cbranch_vccz .LBB119_2205
; %bb.2194:
	global_load_u8 v15, v[13:14], off
	s_mov_b32 s15, exec_lo
                                        ; implicit-def: $sgpr0_sgpr1
	s_waitcnt vmcnt(0)
	v_cmpx_lt_i16_e32 0x7f, v15
	s_xor_b32 s15, exec_lo, s15
	s_cbranch_execz .LBB119_2198
; %bb.2195:
	s_mov_b32 s16, -1
	s_mov_b32 s14, exec_lo
                                        ; implicit-def: $sgpr0_sgpr1
	v_cmpx_eq_u16_e32 0x80, v15
; %bb.2196:
	s_mov_b32 s1, 0x7ff80000
	s_brev_b32 s0, 4
	s_xor_b32 s16, exec_lo, -1
; %bb.2197:
	s_or_b32 exec_lo, exec_lo, s14
	s_delay_alu instid0(SALU_CYCLE_1)
	s_and_b32 s14, s16, exec_lo
.LBB119_2198:
	s_or_saveexec_b32 s15, s15
	v_dual_mov_b32 v11, s1 :: v_dual_mov_b32 v10, s0
	s_xor_b32 exec_lo, exec_lo, s15
; %bb.2199:
	v_cmp_ne_u16_e32 vcc_lo, 0, v15
	v_mov_b32_e32 v10, 0
	v_mov_b32_e32 v11, 0
	s_and_not1_b32 s0, s14, exec_lo
	s_and_b32 s1, vcc_lo, exec_lo
	s_delay_alu instid0(SALU_CYCLE_1)
	s_or_b32 s14, s0, s1
; %bb.2200:
	s_or_b32 exec_lo, exec_lo, s15
	s_and_saveexec_b32 s0, s14
	s_cbranch_execz .LBB119_2202
; %bb.2201:
	v_and_b32_e32 v10, 0xffff, v15
	v_lshlrev_b32_e32 v15, 24, v15
	s_delay_alu instid0(VALU_DEP_2) | instskip(NEXT) | instid1(VALU_DEP_2)
	v_and_b32_e32 v11, 3, v10
	v_and_b32_e32 v15, 0x80000000, v15
	s_delay_alu instid0(VALU_DEP_2) | instskip(NEXT) | instid1(VALU_DEP_1)
	v_clz_i32_u32_e32 v18, v11
	v_min_u32_e32 v18, 32, v18
	s_delay_alu instid0(VALU_DEP_1) | instskip(SKIP_1) | instid1(VALU_DEP_2)
	v_subrev_nc_u32_e32 v19, 29, v18
	v_sub_nc_u32_e32 v18, 30, v18
	v_lshlrev_b32_e32 v19, v19, v10
	v_bfe_u32 v10, v10, 2, 5
	s_delay_alu instid0(VALU_DEP_1) | instskip(NEXT) | instid1(VALU_DEP_3)
	v_cmp_eq_u32_e32 vcc_lo, 0, v10
	v_dual_cndmask_b32 v10, v10, v18 :: v_dual_and_b32 v19, 3, v19
	s_delay_alu instid0(VALU_DEP_1) | instskip(NEXT) | instid1(VALU_DEP_2)
	v_cndmask_b32_e32 v11, v11, v19, vcc_lo
	v_lshl_add_u32 v10, v10, 23, 0x37800000
	s_delay_alu instid0(VALU_DEP_2) | instskip(NEXT) | instid1(VALU_DEP_1)
	v_lshlrev_b32_e32 v11, 21, v11
	v_or3_b32 v10, v15, v10, v11
	s_delay_alu instid0(VALU_DEP_1)
	v_cvt_f64_f32_e32 v[10:11], v10
.LBB119_2202:
	s_or_b32 exec_lo, exec_lo, s0
	s_mov_b32 s0, 0
	s_branch .LBB119_2206
.LBB119_2203:
	s_mov_b32 s1, -1
                                        ; implicit-def: $vgpr10_vgpr11
	s_branch .LBB119_2212
.LBB119_2204:
	s_mov_b32 s0, -1
                                        ; implicit-def: $vgpr10_vgpr11
	s_branch .LBB119_2209
.LBB119_2205:
	s_mov_b32 s0, -1
                                        ; implicit-def: $vgpr10_vgpr11
.LBB119_2206:
	s_delay_alu instid0(SALU_CYCLE_1)
	s_and_b32 vcc_lo, exec_lo, s0
	s_cbranch_vccz .LBB119_2208
; %bb.2207:
	global_load_u8 v10, v[13:14], off
	s_waitcnt vmcnt(0)
	v_lshlrev_b32_e32 v10, 24, v10
	s_delay_alu instid0(VALU_DEP_1) | instskip(NEXT) | instid1(VALU_DEP_1)
	v_and_b32_e32 v11, 0x7f000000, v10
	v_clz_i32_u32_e32 v15, v11
	v_add_nc_u32_e32 v19, 0x1000000, v11
	v_cmp_ne_u32_e32 vcc_lo, 0, v11
	s_delay_alu instid0(VALU_DEP_3) | instskip(NEXT) | instid1(VALU_DEP_1)
	v_min_u32_e32 v15, 32, v15
	v_sub_nc_u32_e64 v15, v15, 4 clamp
	s_delay_alu instid0(VALU_DEP_1) | instskip(SKIP_1) | instid1(VALU_DEP_2)
	v_lshlrev_b32_e32 v18, v15, v11
	v_lshlrev_b32_e32 v15, 23, v15
	v_lshrrev_b32_e32 v18, 4, v18
	s_delay_alu instid0(VALU_DEP_1) | instskip(SKIP_1) | instid1(VALU_DEP_2)
	v_sub_nc_u32_e32 v15, v18, v15
	v_ashrrev_i32_e32 v18, 8, v19
	v_add_nc_u32_e32 v15, 0x3c000000, v15
	s_delay_alu instid0(VALU_DEP_1) | instskip(NEXT) | instid1(VALU_DEP_1)
	v_and_or_b32 v15, 0x7f800000, v18, v15
	v_cndmask_b32_e32 v11, 0, v15, vcc_lo
	s_delay_alu instid0(VALU_DEP_1) | instskip(NEXT) | instid1(VALU_DEP_1)
	v_and_or_b32 v10, 0x80000000, v10, v11
	v_cvt_f64_f32_e32 v[10:11], v10
.LBB119_2208:
	s_mov_b32 s0, 0
.LBB119_2209:
	s_delay_alu instid0(SALU_CYCLE_1)
	s_and_not1_b32 vcc_lo, exec_lo, s0
	s_cbranch_vccnz .LBB119_2211
; %bb.2210:
	global_load_u8 v10, v[13:14], off
	s_waitcnt vmcnt(0)
	v_lshlrev_b32_e32 v11, 25, v10
	v_lshlrev_b16 v10, 8, v10
	s_delay_alu instid0(VALU_DEP_2) | instskip(NEXT) | instid1(VALU_DEP_2)
	v_lshrrev_b32_e32 v15, 4, v11
	v_and_or_b32 v18, 0x7f00, v10, 0.5
	v_cmp_gt_u32_e32 vcc_lo, 0x8000000, v11
	v_bfe_i32 v10, v10, 0, 16
	s_delay_alu instid0(VALU_DEP_4) | instskip(NEXT) | instid1(VALU_DEP_1)
	v_or_b32_e32 v15, 0x70000000, v15
	v_dual_add_f32 v18, -0.5, v18 :: v_dual_mul_f32 v15, 0x7800000, v15
	s_delay_alu instid0(VALU_DEP_1) | instskip(NEXT) | instid1(VALU_DEP_1)
	v_cndmask_b32_e32 v11, v15, v18, vcc_lo
	v_and_or_b32 v10, 0x80000000, v10, v11
	s_delay_alu instid0(VALU_DEP_1)
	v_cvt_f64_f32_e32 v[10:11], v10
.LBB119_2211:
	s_mov_b32 s1, 0
	s_mov_b32 s0, -1
.LBB119_2212:
	s_and_not1_b32 vcc_lo, exec_lo, s1
	s_mov_b32 s14, 0
	s_cbranch_vccnz .LBB119_2221
; %bb.2213:
	v_cmp_lt_i16_e32 vcc_lo, 14, v17
	s_cbranch_vccz .LBB119_2216
; %bb.2214:
	v_cmp_eq_u16_e32 vcc_lo, 15, v17
	s_cbranch_vccz .LBB119_2217
; %bb.2215:
	global_load_u16 v10, v[13:14], off
	s_mov_b32 s13, 0
	s_mov_b32 s0, -1
	s_waitcnt vmcnt(0)
	v_lshlrev_b32_e32 v10, 16, v10
	s_delay_alu instid0(VALU_DEP_1)
	v_cvt_f64_f32_e32 v[10:11], v10
	s_branch .LBB119_2218
.LBB119_2216:
	s_mov_b32 s1, -1
                                        ; implicit-def: $vgpr10_vgpr11
	s_branch .LBB119_2219
.LBB119_2217:
	s_mov_b32 s13, -1
                                        ; implicit-def: $vgpr10_vgpr11
.LBB119_2218:
	s_mov_b32 s1, 0
.LBB119_2219:
	s_delay_alu instid0(SALU_CYCLE_1)
	s_and_b32 vcc_lo, exec_lo, s1
	s_cbranch_vccz .LBB119_2221
; %bb.2220:
	v_cmp_ne_u16_e64 s13, 11, v17
	s_mov_b32 s14, -1
                                        ; implicit-def: $vgpr10_vgpr11
.LBB119_2221:
	s_delay_alu instid0(VALU_DEP_1)
	s_and_b32 vcc_lo, exec_lo, s13
	s_cbranch_vccnz .LBB119_2286
; %bb.2222:
	s_and_not1_b32 vcc_lo, exec_lo, s14
	s_cbranch_vccnz .LBB119_2224
.LBB119_2223:
	global_load_u8 v10, v[13:14], off
	s_mov_b32 s0, -1
	s_waitcnt vmcnt(0)
	v_cmp_ne_u16_e32 vcc_lo, 0, v10
	v_mov_b32_e32 v10, 0
	v_cndmask_b32_e64 v11, 0, 0x3ff00000, vcc_lo
.LBB119_2224:
	s_mov_b32 s1, 0
.LBB119_2225:
	s_delay_alu instid0(SALU_CYCLE_1)
	s_and_b32 vcc_lo, exec_lo, s1
	s_cbranch_vccz .LBB119_2274
; %bb.2226:
	v_cmp_gt_i16_e32 vcc_lo, 5, v17
	s_cbranch_vccnz .LBB119_2231
; %bb.2227:
	v_cmp_gt_i16_e32 vcc_lo, 8, v17
	s_cbranch_vccnz .LBB119_2232
	;; [unrolled: 3-line block ×3, first 2 shown]
; %bb.2229:
	v_cmp_lt_i16_e32 vcc_lo, 9, v17
	s_cbranch_vccz .LBB119_2234
; %bb.2230:
	global_load_b64 v[10:11], v[13:14], off
	s_mov_b32 s0, 0
	s_branch .LBB119_2235
.LBB119_2231:
	s_mov_b32 s0, -1
                                        ; implicit-def: $vgpr10_vgpr11
	s_branch .LBB119_2253
.LBB119_2232:
	s_mov_b32 s0, -1
                                        ; implicit-def: $vgpr10_vgpr11
	s_branch .LBB119_2241
.LBB119_2233:
	s_mov_b32 s0, -1
                                        ; implicit-def: $vgpr10_vgpr11
	s_branch .LBB119_2238
.LBB119_2234:
	s_mov_b32 s0, -1
                                        ; implicit-def: $vgpr10_vgpr11
.LBB119_2235:
	s_delay_alu instid0(SALU_CYCLE_1)
	s_and_not1_b32 vcc_lo, exec_lo, s0
	s_cbranch_vccnz .LBB119_2237
; %bb.2236:
	global_load_b32 v10, v[13:14], off
	s_waitcnt vmcnt(0)
	v_cvt_f64_f32_e32 v[10:11], v10
.LBB119_2237:
	s_mov_b32 s0, 0
.LBB119_2238:
	s_delay_alu instid0(SALU_CYCLE_1)
	s_and_not1_b32 vcc_lo, exec_lo, s0
	s_cbranch_vccnz .LBB119_2240
; %bb.2239:
	global_load_b32 v10, v[13:14], off
	s_waitcnt vmcnt(0)
	v_cvt_f32_f16_e32 v10, v10
	s_delay_alu instid0(VALU_DEP_1)
	v_cvt_f64_f32_e32 v[10:11], v10
.LBB119_2240:
	s_mov_b32 s0, 0
.LBB119_2241:
	s_delay_alu instid0(SALU_CYCLE_1)
	s_and_not1_b32 vcc_lo, exec_lo, s0
	s_cbranch_vccnz .LBB119_2252
; %bb.2242:
	v_cmp_gt_i16_e32 vcc_lo, 6, v17
	s_cbranch_vccnz .LBB119_2245
; %bb.2243:
	v_cmp_lt_i16_e32 vcc_lo, 6, v17
	s_cbranch_vccz .LBB119_2246
; %bb.2244:
	global_load_b64 v[10:11], v[13:14], off
	s_mov_b32 s0, 0
	s_branch .LBB119_2247
.LBB119_2245:
	s_mov_b32 s0, -1
                                        ; implicit-def: $vgpr10_vgpr11
	s_branch .LBB119_2250
.LBB119_2246:
	s_mov_b32 s0, -1
                                        ; implicit-def: $vgpr10_vgpr11
.LBB119_2247:
	s_delay_alu instid0(SALU_CYCLE_1)
	s_and_not1_b32 vcc_lo, exec_lo, s0
	s_cbranch_vccnz .LBB119_2249
; %bb.2248:
	global_load_b32 v10, v[13:14], off
	s_waitcnt vmcnt(0)
	v_cvt_f64_f32_e32 v[10:11], v10
.LBB119_2249:
	s_mov_b32 s0, 0
.LBB119_2250:
	s_delay_alu instid0(SALU_CYCLE_1)
	s_and_not1_b32 vcc_lo, exec_lo, s0
	s_cbranch_vccnz .LBB119_2252
; %bb.2251:
	global_load_u16 v10, v[13:14], off
	s_waitcnt vmcnt(0)
	v_cvt_f32_f16_e32 v10, v10
	s_delay_alu instid0(VALU_DEP_1)
	v_cvt_f64_f32_e32 v[10:11], v10
.LBB119_2252:
	s_mov_b32 s0, 0
.LBB119_2253:
	s_delay_alu instid0(SALU_CYCLE_1)
	s_and_not1_b32 vcc_lo, exec_lo, s0
	s_cbranch_vccnz .LBB119_2273
; %bb.2254:
	v_cmp_gt_i16_e32 vcc_lo, 2, v17
	s_cbranch_vccnz .LBB119_2258
; %bb.2255:
	v_cmp_gt_i16_e32 vcc_lo, 3, v17
	s_cbranch_vccnz .LBB119_2259
; %bb.2256:
	v_cmp_lt_i16_e32 vcc_lo, 3, v17
	s_cbranch_vccz .LBB119_2260
; %bb.2257:
	global_load_b64 v[10:11], v[13:14], off
	s_mov_b32 s0, 0
	s_waitcnt vmcnt(0)
	v_cvt_f64_i32_e32 v[18:19], v11
	v_cvt_f64_u32_e32 v[10:11], v10
	s_delay_alu instid0(VALU_DEP_2) | instskip(NEXT) | instid1(VALU_DEP_1)
	v_ldexp_f64 v[18:19], v[18:19], 32
	v_add_f64 v[10:11], v[18:19], v[10:11]
	s_branch .LBB119_2261
.LBB119_2258:
	s_mov_b32 s0, -1
                                        ; implicit-def: $vgpr10_vgpr11
	s_branch .LBB119_2267
.LBB119_2259:
	s_mov_b32 s0, -1
                                        ; implicit-def: $vgpr10_vgpr11
	s_branch .LBB119_2264
.LBB119_2260:
	s_mov_b32 s0, -1
                                        ; implicit-def: $vgpr10_vgpr11
.LBB119_2261:
	s_delay_alu instid0(SALU_CYCLE_1)
	s_and_not1_b32 vcc_lo, exec_lo, s0
	s_cbranch_vccnz .LBB119_2263
; %bb.2262:
	global_load_b32 v10, v[13:14], off
	s_waitcnt vmcnt(0)
	v_cvt_f64_i32_e32 v[10:11], v10
.LBB119_2263:
	s_mov_b32 s0, 0
.LBB119_2264:
	s_delay_alu instid0(SALU_CYCLE_1)
	s_and_not1_b32 vcc_lo, exec_lo, s0
	s_cbranch_vccnz .LBB119_2266
; %bb.2265:
	global_load_i16 v10, v[13:14], off
	s_waitcnt vmcnt(0)
	v_cvt_f64_i32_e32 v[10:11], v10
.LBB119_2266:
	s_mov_b32 s0, 0
.LBB119_2267:
	s_delay_alu instid0(SALU_CYCLE_1)
	s_and_not1_b32 vcc_lo, exec_lo, s0
	s_cbranch_vccnz .LBB119_2273
; %bb.2268:
	v_cmp_lt_i16_e32 vcc_lo, 0, v17
	s_mov_b32 s0, 0
	s_cbranch_vccz .LBB119_2270
; %bb.2269:
	global_load_i8 v10, v[13:14], off
	s_waitcnt vmcnt(0)
	v_cvt_f64_i32_e32 v[10:11], v10
	s_branch .LBB119_2271
.LBB119_2270:
	s_mov_b32 s0, -1
                                        ; implicit-def: $vgpr10_vgpr11
.LBB119_2271:
	s_delay_alu instid0(SALU_CYCLE_1)
	s_and_not1_b32 vcc_lo, exec_lo, s0
	s_cbranch_vccnz .LBB119_2273
; %bb.2272:
	global_load_u8 v10, v[13:14], off
	s_waitcnt vmcnt(0)
	v_cvt_f64_u32_e32 v[10:11], v10
.LBB119_2273:
	s_mov_b32 s0, -1
.LBB119_2274:
	s_delay_alu instid0(SALU_CYCLE_1)
	s_and_not1_b32 vcc_lo, exec_lo, s0
	s_cbranch_vccnz .LBB119_3064
; %bb.2275:
	v_cmp_gt_i16_e32 vcc_lo, 11, v16
	v_add_co_u32 v12, s0, s2, v12
	s_delay_alu instid0(VALU_DEP_1)
	v_add_co_ci_u32_e64 v13, null, s3, 0, s0
	s_mov_b32 s14, 0
	s_cbranch_vccnz .LBB119_2282
; %bb.2276:
	v_cmp_lt_i16_e32 vcc_lo, 25, v16
	s_mov_b32 s0, 0
	s_cbranch_vccz .LBB119_2283
; %bb.2277:
	v_cmp_lt_i16_e32 vcc_lo, 28, v16
	s_cbranch_vccz .LBB119_2284
; %bb.2278:
	v_cmp_lt_i16_e32 vcc_lo, 43, v16
	;; [unrolled: 3-line block ×3, first 2 shown]
	s_cbranch_vccz .LBB119_2288
; %bb.2280:
	v_cmp_eq_u16_e32 vcc_lo, 46, v16
	s_mov_b32 s15, 0
	s_cbranch_vccz .LBB119_2293
; %bb.2281:
	global_load_b32 v14, v[12:13], off
	s_mov_b32 s1, 0
	s_mov_b32 s14, -1
	s_waitcnt vmcnt(0)
	v_and_b32_e32 v14, 0x7fff7fff, v14
	s_delay_alu instid0(VALU_DEP_1)
	v_cmp_ne_u32_e32 vcc_lo, 0, v14
	s_and_b32 s13, vcc_lo, exec_lo
	s_branch .LBB119_2295
.LBB119_2282:
	s_mov_b32 s0, -1
                                        ; implicit-def: $sgpr13
	s_branch .LBB119_2359
.LBB119_2283:
	s_mov_b32 s15, -1
	s_mov_b32 s1, 0
                                        ; implicit-def: $sgpr13
	s_branch .LBB119_2322
.LBB119_2284:
	s_mov_b32 s15, -1
	s_mov_b32 s1, 0
                                        ; implicit-def: $sgpr13
	s_branch .LBB119_2303
.LBB119_2285:
	s_mov_b32 s15, -1
	s_mov_b32 s1, 0
                                        ; implicit-def: $sgpr13
	s_branch .LBB119_2298
.LBB119_2286:
	s_cbranch_execnz .LBB119_2289
; %bb.2287:
	s_or_b32 s10, s10, exec_lo
                                        ; implicit-def: $vgpr10_vgpr11
	s_cbranch_execz .LBB119_2223
	s_branch .LBB119_2224
.LBB119_2288:
	s_mov_b32 s15, -1
	s_mov_b32 s1, 0
	s_branch .LBB119_2294
.LBB119_2289:
	s_trap 2
	s_sendmsg_rtn_b32 s0, sendmsg(MSG_RTN_GET_DOORBELL)
	s_mov_b32 ttmp2, m0
	s_waitcnt lgkmcnt(0)
	s_and_b32 s0, s0, 0x3ff
	s_delay_alu instid0(SALU_CYCLE_1) | instskip(NEXT) | instid1(SALU_CYCLE_1)
	s_bitset1_b32 s0, 10
	s_mov_b32 m0, s0
	s_sendmsg sendmsg(MSG_INTERRUPT)
	s_mov_b32 m0, ttmp2
.LBB119_2290:                           ; =>This Inner Loop Header: Depth=1
	s_sethalt 5
	s_branch .LBB119_2290
.LBB119_2291:
	s_or_saveexec_b32 s50, s50
                                        ; implicit-def: $sgpr51
	s_delay_alu instid0(SALU_CYCLE_1)
	s_xor_b32 exec_lo, exec_lo, s50
	s_cbranch_execz .LBB119_1167
.LBB119_2292:
	v_add_f32_e64 v3, 0x42800000, |v2|
	s_and_not1_b32 s49, s49, exec_lo
	s_mov_b32 s51, 0
	s_delay_alu instid0(VALU_DEP_1) | instskip(NEXT) | instid1(VALU_DEP_1)
	v_and_b32_e32 v3, 0xff, v3
	v_cmp_ne_u32_e32 vcc_lo, 0, v3
	s_and_b32 s52, vcc_lo, exec_lo
	s_delay_alu instid0(SALU_CYCLE_1)
	s_or_b32 s49, s49, s52
	s_or_b32 exec_lo, exec_lo, s50
	v_mov_b32_e32 v7, s51
	s_and_saveexec_b32 s50, s49
	s_cbranch_execnz .LBB119_1168
	s_branch .LBB119_1169
.LBB119_2293:
	s_mov_b32 s1, -1
.LBB119_2294:
                                        ; implicit-def: $sgpr13
.LBB119_2295:
	s_and_b32 vcc_lo, exec_lo, s15
	s_cbranch_vccz .LBB119_2297
; %bb.2296:
	v_cmp_ne_u16_e64 s1, 44, v16
	s_mov_b32 s14, -1
	s_or_b32 s13, s13, exec_lo
.LBB119_2297:
	s_mov_b32 s15, 0
.LBB119_2298:
	s_delay_alu instid0(SALU_CYCLE_1)
	s_and_b32 vcc_lo, exec_lo, s15
	s_cbranch_vccz .LBB119_2302
; %bb.2299:
	v_cmp_eq_u16_e32 vcc_lo, 29, v16
	s_cbranch_vccz .LBB119_2301
; %bb.2300:
	global_load_b64 v[14:15], v[12:13], off
	s_mov_b32 s1, 0
	s_mov_b32 s14, -1
	s_mov_b32 s15, 0
	s_waitcnt vmcnt(0)
	v_cmp_ne_u64_e32 vcc_lo, 0, v[14:15]
	s_and_b32 s13, vcc_lo, exec_lo
	s_branch .LBB119_2303
.LBB119_2301:
	s_mov_b32 s1, -1
                                        ; implicit-def: $sgpr13
.LBB119_2302:
	s_mov_b32 s15, 0
.LBB119_2303:
	s_delay_alu instid0(SALU_CYCLE_1)
	s_and_b32 vcc_lo, exec_lo, s15
	s_cbranch_vccz .LBB119_2321
; %bb.2304:
	v_cmp_gt_i16_e32 vcc_lo, 27, v16
	s_cbranch_vccnz .LBB119_2307
; %bb.2305:
	v_cmp_lt_i16_e32 vcc_lo, 27, v16
	s_cbranch_vccz .LBB119_2308
; %bb.2306:
	global_load_b32 v14, v[12:13], off
	s_mov_b32 s14, 0
	s_waitcnt vmcnt(0)
	v_cmp_ne_u32_e32 vcc_lo, 0, v14
	s_and_b32 s13, vcc_lo, exec_lo
	s_branch .LBB119_2309
.LBB119_2307:
	s_mov_b32 s14, -1
                                        ; implicit-def: $sgpr13
	s_branch .LBB119_2312
.LBB119_2308:
	s_mov_b32 s14, -1
                                        ; implicit-def: $sgpr13
.LBB119_2309:
	s_delay_alu instid0(SALU_CYCLE_1)
	s_and_not1_b32 vcc_lo, exec_lo, s14
	s_cbranch_vccnz .LBB119_2311
; %bb.2310:
	global_load_u16 v14, v[12:13], off
	s_and_not1_b32 s13, s13, exec_lo
	s_waitcnt vmcnt(0)
	v_cmp_ne_u16_e32 vcc_lo, 0, v14
	s_and_b32 s14, vcc_lo, exec_lo
	s_delay_alu instid0(SALU_CYCLE_1)
	s_or_b32 s13, s13, s14
.LBB119_2311:
	s_mov_b32 s14, 0
.LBB119_2312:
	s_delay_alu instid0(SALU_CYCLE_1)
	s_and_not1_b32 vcc_lo, exec_lo, s14
	s_cbranch_vccnz .LBB119_2320
; %bb.2313:
	global_load_u8 v14, v[12:13], off
	s_mov_b32 s14, 0
	s_mov_b32 s15, exec_lo
                                        ; implicit-def: $sgpr13
	s_waitcnt vmcnt(0)
	v_cmpx_lt_i16_e32 0x7f, v14
	s_xor_b32 s15, exec_lo, s15
	s_cbranch_execz .LBB119_2334
; %bb.2314:
	s_mov_b32 s14, -1
	s_mov_b32 s16, exec_lo
                                        ; implicit-def: $sgpr13
	v_cmpx_eq_u16_e32 0x80, v14
; %bb.2315:
	s_mov_b32 s13, -1
	s_xor_b32 s14, exec_lo, -1
; %bb.2316:
	s_or_b32 exec_lo, exec_lo, s16
	s_delay_alu instid0(SALU_CYCLE_1)
	s_and_b32 s14, s14, exec_lo
	s_and_not1_saveexec_b32 s15, s15
	s_cbranch_execnz .LBB119_2335
.LBB119_2317:
	s_or_b32 exec_lo, exec_lo, s15
	s_and_saveexec_b32 s15, s14
	s_cbranch_execz .LBB119_2319
.LBB119_2318:
	v_and_b32_e32 v14, 0xffff, v14
	s_and_not1_b32 s13, s13, exec_lo
	s_delay_alu instid0(VALU_DEP_1) | instskip(NEXT) | instid1(VALU_DEP_1)
	v_and_b32_e32 v15, 7, v14
	v_clz_i32_u32_e32 v18, v15
	s_delay_alu instid0(VALU_DEP_1) | instskip(NEXT) | instid1(VALU_DEP_1)
	v_min_u32_e32 v18, 32, v18
	v_subrev_nc_u32_e32 v19, 28, v18
	v_sub_nc_u32_e32 v18, 29, v18
	s_delay_alu instid0(VALU_DEP_2) | instskip(SKIP_1) | instid1(VALU_DEP_1)
	v_lshlrev_b32_e32 v19, v19, v14
	v_bfe_u32 v14, v14, 3, 4
	v_cmp_eq_u32_e32 vcc_lo, 0, v14
	s_delay_alu instid0(VALU_DEP_3) | instskip(NEXT) | instid1(VALU_DEP_1)
	v_dual_cndmask_b32 v14, v14, v18 :: v_dual_and_b32 v19, 7, v19
	v_cndmask_b32_e32 v15, v15, v19, vcc_lo
	s_delay_alu instid0(VALU_DEP_2) | instskip(NEXT) | instid1(VALU_DEP_2)
	v_lshl_add_u32 v14, v14, 23, 0x3b800000
	v_lshlrev_b32_e32 v15, 20, v15
	s_delay_alu instid0(VALU_DEP_1) | instskip(NEXT) | instid1(VALU_DEP_1)
	v_and_or_b32 v14, 0x7f800000, v14, v15
	v_cmp_ne_u32_e32 vcc_lo, 0, v14
	s_and_b32 s14, vcc_lo, exec_lo
	s_delay_alu instid0(SALU_CYCLE_1)
	s_or_b32 s13, s13, s14
.LBB119_2319:
	s_or_b32 exec_lo, exec_lo, s15
.LBB119_2320:
	s_mov_b32 s14, -1
.LBB119_2321:
	s_mov_b32 s15, 0
.LBB119_2322:
	s_delay_alu instid0(SALU_CYCLE_1)
	s_and_b32 vcc_lo, exec_lo, s15
	s_cbranch_vccz .LBB119_2355
; %bb.2323:
	v_cmp_lt_i16_e32 vcc_lo, 22, v16
	s_cbranch_vccz .LBB119_2333
; %bb.2324:
	v_cmp_gt_i16_e32 vcc_lo, 24, v16
	s_cbranch_vccnz .LBB119_2336
; %bb.2325:
	v_cmp_lt_i16_e32 vcc_lo, 24, v16
	s_cbranch_vccz .LBB119_2337
; %bb.2326:
	global_load_u8 v14, v[12:13], off
	s_mov_b32 s14, exec_lo
                                        ; implicit-def: $sgpr13
	s_waitcnt vmcnt(0)
	v_cmpx_lt_i16_e32 0x7f, v14
	s_xor_b32 s14, exec_lo, s14
	s_cbranch_execz .LBB119_2349
; %bb.2327:
	s_mov_b32 s0, -1
	s_mov_b32 s15, exec_lo
                                        ; implicit-def: $sgpr13
	v_cmpx_eq_u16_e32 0x80, v14
; %bb.2328:
	s_mov_b32 s13, -1
	s_xor_b32 s0, exec_lo, -1
; %bb.2329:
	s_or_b32 exec_lo, exec_lo, s15
	s_delay_alu instid0(SALU_CYCLE_1)
	s_and_b32 s0, s0, exec_lo
	s_and_not1_saveexec_b32 s14, s14
	s_cbranch_execnz .LBB119_2350
.LBB119_2330:
	s_or_b32 exec_lo, exec_lo, s14
	s_and_saveexec_b32 s14, s0
	s_cbranch_execz .LBB119_2332
.LBB119_2331:
	v_and_b32_e32 v14, 0xffff, v14
	s_and_not1_b32 s0, s13, exec_lo
	s_delay_alu instid0(VALU_DEP_1) | instskip(NEXT) | instid1(VALU_DEP_1)
	v_and_b32_e32 v15, 3, v14
	v_clz_i32_u32_e32 v18, v15
	s_delay_alu instid0(VALU_DEP_1) | instskip(NEXT) | instid1(VALU_DEP_1)
	v_min_u32_e32 v18, 32, v18
	v_subrev_nc_u32_e32 v19, 29, v18
	v_sub_nc_u32_e32 v18, 30, v18
	s_delay_alu instid0(VALU_DEP_2) | instskip(SKIP_1) | instid1(VALU_DEP_1)
	v_lshlrev_b32_e32 v19, v19, v14
	v_bfe_u32 v14, v14, 2, 5
	v_cmp_eq_u32_e32 vcc_lo, 0, v14
	s_delay_alu instid0(VALU_DEP_3) | instskip(NEXT) | instid1(VALU_DEP_1)
	v_dual_cndmask_b32 v14, v14, v18 :: v_dual_and_b32 v19, 3, v19
	v_cndmask_b32_e32 v15, v15, v19, vcc_lo
	s_delay_alu instid0(VALU_DEP_2) | instskip(NEXT) | instid1(VALU_DEP_2)
	v_lshl_add_u32 v14, v14, 23, 0x37800000
	v_lshlrev_b32_e32 v15, 21, v15
	s_delay_alu instid0(VALU_DEP_1) | instskip(NEXT) | instid1(VALU_DEP_1)
	v_and_or_b32 v14, 0x7f800000, v14, v15
	v_cmp_ne_u32_e32 vcc_lo, 0, v14
	s_and_b32 s13, vcc_lo, exec_lo
	s_delay_alu instid0(SALU_CYCLE_1)
	s_or_b32 s13, s0, s13
.LBB119_2332:
	s_or_b32 exec_lo, exec_lo, s14
	s_mov_b32 s0, 0
	s_branch .LBB119_2338
.LBB119_2333:
	s_mov_b32 s0, -1
                                        ; implicit-def: $sgpr13
	s_branch .LBB119_2344
.LBB119_2334:
	s_and_not1_saveexec_b32 s15, s15
	s_cbranch_execz .LBB119_2317
.LBB119_2335:
	v_cmp_ne_u16_e32 vcc_lo, 0, v14
	s_and_not1_b32 s14, s14, exec_lo
	s_and_not1_b32 s13, s13, exec_lo
	s_and_b32 s16, vcc_lo, exec_lo
	s_delay_alu instid0(SALU_CYCLE_1)
	s_or_b32 s14, s14, s16
	s_or_b32 exec_lo, exec_lo, s15
	s_and_saveexec_b32 s15, s14
	s_cbranch_execnz .LBB119_2318
	s_branch .LBB119_2319
.LBB119_2336:
	s_mov_b32 s0, -1
                                        ; implicit-def: $sgpr13
	s_branch .LBB119_2341
.LBB119_2337:
	s_mov_b32 s0, -1
                                        ; implicit-def: $sgpr13
.LBB119_2338:
	s_delay_alu instid0(SALU_CYCLE_1)
	s_and_b32 vcc_lo, exec_lo, s0
	s_cbranch_vccz .LBB119_2340
; %bb.2339:
	global_load_u8 v14, v[12:13], off
	s_and_not1_b32 s13, s13, exec_lo
	s_waitcnt vmcnt(0)
	v_lshlrev_b32_e32 v14, 24, v14
	s_delay_alu instid0(VALU_DEP_1) | instskip(NEXT) | instid1(VALU_DEP_1)
	v_and_b32_e32 v14, 0x7f000000, v14
	v_clz_i32_u32_e32 v15, v14
	v_add_nc_u32_e32 v19, 0x1000000, v14
	v_cmp_ne_u32_e32 vcc_lo, 0, v14
	s_delay_alu instid0(VALU_DEP_3) | instskip(NEXT) | instid1(VALU_DEP_3)
	v_min_u32_e32 v15, 32, v15
	v_ashrrev_i32_e32 v19, 8, v19
	s_delay_alu instid0(VALU_DEP_2) | instskip(NEXT) | instid1(VALU_DEP_1)
	v_sub_nc_u32_e64 v15, v15, 4 clamp
	v_lshlrev_b32_e32 v18, v15, v14
	v_lshlrev_b32_e32 v15, 23, v15
	s_delay_alu instid0(VALU_DEP_2) | instskip(NEXT) | instid1(VALU_DEP_1)
	v_lshrrev_b32_e32 v18, 4, v18
	v_sub_nc_u32_e32 v15, v18, v15
	v_and_b32_e32 v18, 0x7f800000, v19
	s_delay_alu instid0(VALU_DEP_2) | instskip(NEXT) | instid1(VALU_DEP_1)
	v_add_nc_u32_e32 v15, 0x3c000000, v15
	v_and_or_b32 v15, 0x7ff00000, v15, v18
	s_delay_alu instid0(VALU_DEP_1) | instskip(NEXT) | instid1(VALU_DEP_1)
	v_cmp_ne_u32_e64 s0, 0, v15
	s_and_b32 s0, vcc_lo, s0
	s_delay_alu instid0(SALU_CYCLE_1) | instskip(NEXT) | instid1(SALU_CYCLE_1)
	s_and_b32 s0, s0, exec_lo
	s_or_b32 s13, s13, s0
.LBB119_2340:
	s_mov_b32 s0, 0
.LBB119_2341:
	s_delay_alu instid0(SALU_CYCLE_1)
	s_and_not1_b32 vcc_lo, exec_lo, s0
	s_cbranch_vccnz .LBB119_2343
; %bb.2342:
	global_load_u8 v14, v[12:13], off
	s_and_not1_b32 s0, s13, exec_lo
	s_waitcnt vmcnt(0)
	v_lshlrev_b32_e32 v15, 25, v14
	v_lshlrev_b32_e32 v14, 8, v14
	s_delay_alu instid0(VALU_DEP_2) | instskip(NEXT) | instid1(VALU_DEP_2)
	v_lshrrev_b32_e32 v18, 4, v15
	v_and_or_b32 v14, 0x7f00, v14, 0.5
	v_cmp_gt_u32_e32 vcc_lo, 0x8000000, v15
	s_delay_alu instid0(VALU_DEP_3) | instskip(NEXT) | instid1(VALU_DEP_3)
	v_or_b32_e32 v18, 0x70000000, v18
	v_add_f32_e32 v14, -0.5, v14
	s_delay_alu instid0(VALU_DEP_2) | instskip(NEXT) | instid1(VALU_DEP_1)
	v_mul_f32_e32 v18, 0x7800000, v18
	v_cndmask_b32_e32 v14, v18, v14, vcc_lo
	s_delay_alu instid0(VALU_DEP_1) | instskip(SKIP_1) | instid1(SALU_CYCLE_1)
	v_cmp_neq_f32_e32 vcc_lo, 0, v14
	s_and_b32 s13, vcc_lo, exec_lo
	s_or_b32 s13, s0, s13
.LBB119_2343:
	s_mov_b32 s0, 0
	s_mov_b32 s14, -1
.LBB119_2344:
	s_and_not1_b32 vcc_lo, exec_lo, s0
	s_mov_b32 s0, 0
	s_cbranch_vccnz .LBB119_2355
; %bb.2345:
	v_cmp_lt_i16_e32 vcc_lo, 14, v16
	s_cbranch_vccz .LBB119_2348
; %bb.2346:
	v_cmp_eq_u16_e32 vcc_lo, 15, v16
	s_cbranch_vccz .LBB119_2351
; %bb.2347:
	global_load_u16 v14, v[12:13], off
	s_mov_b32 s1, 0
	s_mov_b32 s14, -1
	s_waitcnt vmcnt(0)
	v_and_b32_e32 v14, 0x7fff, v14
	s_delay_alu instid0(VALU_DEP_1)
	v_cmp_ne_u16_e32 vcc_lo, 0, v14
	s_and_b32 s13, vcc_lo, exec_lo
	s_branch .LBB119_2353
.LBB119_2348:
	s_mov_b32 s0, -1
	s_branch .LBB119_2352
.LBB119_2349:
	s_and_not1_saveexec_b32 s14, s14
	s_cbranch_execz .LBB119_2330
.LBB119_2350:
	v_cmp_ne_u16_e32 vcc_lo, 0, v14
	s_and_not1_b32 s0, s0, exec_lo
	s_and_not1_b32 s13, s13, exec_lo
	s_and_b32 s15, vcc_lo, exec_lo
	s_delay_alu instid0(SALU_CYCLE_1)
	s_or_b32 s0, s0, s15
	s_or_b32 exec_lo, exec_lo, s14
	s_and_saveexec_b32 s14, s0
	s_cbranch_execnz .LBB119_2331
	s_branch .LBB119_2332
.LBB119_2351:
	s_mov_b32 s1, -1
.LBB119_2352:
                                        ; implicit-def: $sgpr13
.LBB119_2353:
	s_and_b32 vcc_lo, exec_lo, s0
	s_mov_b32 s0, 0
	s_cbranch_vccz .LBB119_2355
; %bb.2354:
	v_cmp_ne_u16_e64 s1, 11, v16
	s_mov_b32 s0, -1
	s_and_not1_b32 s13, s13, exec_lo
.LBB119_2355:
	s_delay_alu instid0(VALU_DEP_1)
	s_and_b32 vcc_lo, exec_lo, s1
	s_cbranch_vccnz .LBB119_2420
; %bb.2356:
	s_and_not1_b32 vcc_lo, exec_lo, s0
	s_cbranch_vccnz .LBB119_2358
.LBB119_2357:
	global_load_u8 v14, v[12:13], off
	s_and_not1_b32 s0, s13, exec_lo
	s_mov_b32 s14, -1
	s_waitcnt vmcnt(0)
	v_cmp_ne_u16_e32 vcc_lo, 0, v14
	s_and_b32 s1, vcc_lo, exec_lo
	s_delay_alu instid0(SALU_CYCLE_1)
	s_or_b32 s13, s0, s1
.LBB119_2358:
	s_mov_b32 s0, 0
.LBB119_2359:
	s_delay_alu instid0(SALU_CYCLE_1)
	s_and_b32 vcc_lo, exec_lo, s0
	s_cbranch_vccz .LBB119_2408
; %bb.2360:
	v_cmp_gt_i16_e32 vcc_lo, 5, v16
	s_cbranch_vccnz .LBB119_2365
; %bb.2361:
	v_cmp_gt_i16_e32 vcc_lo, 8, v16
	s_cbranch_vccnz .LBB119_2366
	;; [unrolled: 3-line block ×3, first 2 shown]
; %bb.2363:
	v_cmp_lt_i16_e32 vcc_lo, 9, v16
	s_cbranch_vccz .LBB119_2368
; %bb.2364:
	global_load_b128 v[18:21], v[12:13], off
	s_waitcnt vmcnt(0)
	v_cmp_neq_f64_e32 vcc_lo, 0, v[18:19]
	v_cmp_neq_f64_e64 s0, 0, v[20:21]
	s_delay_alu instid0(VALU_DEP_1)
	s_or_b32 s1, vcc_lo, s0
	s_mov_b32 s0, 0
	s_and_b32 s13, s1, exec_lo
	s_branch .LBB119_2369
.LBB119_2365:
	s_mov_b32 s0, -1
                                        ; implicit-def: $sgpr13
	s_branch .LBB119_2387
.LBB119_2366:
	s_mov_b32 s0, -1
                                        ; implicit-def: $sgpr13
	s_branch .LBB119_2375
.LBB119_2367:
	s_mov_b32 s0, -1
                                        ; implicit-def: $sgpr13
	s_branch .LBB119_2372
.LBB119_2368:
	s_mov_b32 s0, -1
                                        ; implicit-def: $sgpr13
.LBB119_2369:
	s_delay_alu instid0(SALU_CYCLE_1)
	s_and_not1_b32 vcc_lo, exec_lo, s0
	s_cbranch_vccnz .LBB119_2371
; %bb.2370:
	global_load_b64 v[14:15], v[12:13], off
	s_and_not1_b32 s0, s13, exec_lo
	s_waitcnt vmcnt(0)
	v_or_b32_e32 v14, v14, v15
	s_delay_alu instid0(VALU_DEP_1) | instskip(NEXT) | instid1(VALU_DEP_1)
	v_and_b32_e32 v14, 0x7fffffff, v14
	v_cmp_ne_u32_e32 vcc_lo, 0, v14
	s_and_b32 s1, vcc_lo, exec_lo
	s_delay_alu instid0(SALU_CYCLE_1)
	s_or_b32 s13, s0, s1
.LBB119_2371:
	s_mov_b32 s0, 0
.LBB119_2372:
	s_delay_alu instid0(SALU_CYCLE_1)
	s_and_not1_b32 vcc_lo, exec_lo, s0
	s_cbranch_vccnz .LBB119_2374
; %bb.2373:
	global_load_b32 v14, v[12:13], off
	s_and_not1_b32 s0, s13, exec_lo
	s_waitcnt vmcnt(0)
	v_and_b32_e32 v14, 0x7fff7fff, v14
	s_delay_alu instid0(VALU_DEP_1) | instskip(SKIP_1) | instid1(SALU_CYCLE_1)
	v_cmp_ne_u32_e32 vcc_lo, 0, v14
	s_and_b32 s1, vcc_lo, exec_lo
	s_or_b32 s13, s0, s1
.LBB119_2374:
	s_mov_b32 s0, 0
.LBB119_2375:
	s_delay_alu instid0(SALU_CYCLE_1)
	s_and_not1_b32 vcc_lo, exec_lo, s0
	s_cbranch_vccnz .LBB119_2386
; %bb.2376:
	v_cmp_gt_i16_e32 vcc_lo, 6, v16
	s_cbranch_vccnz .LBB119_2379
; %bb.2377:
	v_cmp_lt_i16_e32 vcc_lo, 6, v16
	s_cbranch_vccz .LBB119_2380
; %bb.2378:
	global_load_b64 v[14:15], v[12:13], off
	s_mov_b32 s0, 0
	s_waitcnt vmcnt(0)
	v_cmp_neq_f64_e32 vcc_lo, 0, v[14:15]
	s_and_b32 s13, vcc_lo, exec_lo
	s_branch .LBB119_2381
.LBB119_2379:
	s_mov_b32 s0, -1
                                        ; implicit-def: $sgpr13
	s_branch .LBB119_2384
.LBB119_2380:
	s_mov_b32 s0, -1
                                        ; implicit-def: $sgpr13
.LBB119_2381:
	s_delay_alu instid0(SALU_CYCLE_1)
	s_and_not1_b32 vcc_lo, exec_lo, s0
	s_cbranch_vccnz .LBB119_2383
; %bb.2382:
	global_load_b32 v14, v[12:13], off
	s_and_not1_b32 s0, s13, exec_lo
	s_waitcnt vmcnt(0)
	v_cmp_neq_f32_e32 vcc_lo, 0, v14
	s_and_b32 s1, vcc_lo, exec_lo
	s_delay_alu instid0(SALU_CYCLE_1)
	s_or_b32 s13, s0, s1
.LBB119_2383:
	s_mov_b32 s0, 0
.LBB119_2384:
	s_delay_alu instid0(SALU_CYCLE_1)
	s_and_not1_b32 vcc_lo, exec_lo, s0
	s_cbranch_vccnz .LBB119_2386
; %bb.2385:
	global_load_u16 v14, v[12:13], off
	s_and_not1_b32 s0, s13, exec_lo
	s_waitcnt vmcnt(0)
	v_and_b32_e32 v14, 0x7fff, v14
	s_delay_alu instid0(VALU_DEP_1) | instskip(SKIP_1) | instid1(SALU_CYCLE_1)
	v_cmp_ne_u16_e32 vcc_lo, 0, v14
	s_and_b32 s1, vcc_lo, exec_lo
	s_or_b32 s13, s0, s1
.LBB119_2386:
	s_mov_b32 s0, 0
.LBB119_2387:
	s_delay_alu instid0(SALU_CYCLE_1)
	s_and_not1_b32 vcc_lo, exec_lo, s0
	s_cbranch_vccnz .LBB119_2407
; %bb.2388:
	v_cmp_gt_i16_e32 vcc_lo, 2, v16
	s_cbranch_vccnz .LBB119_2392
; %bb.2389:
	v_cmp_gt_i16_e32 vcc_lo, 3, v16
	s_cbranch_vccnz .LBB119_2393
; %bb.2390:
	v_cmp_lt_i16_e32 vcc_lo, 3, v16
	s_cbranch_vccz .LBB119_2394
; %bb.2391:
	global_load_b64 v[14:15], v[12:13], off
	s_mov_b32 s0, 0
	s_waitcnt vmcnt(0)
	v_cmp_ne_u64_e32 vcc_lo, 0, v[14:15]
	s_and_b32 s13, vcc_lo, exec_lo
	s_branch .LBB119_2395
.LBB119_2392:
	s_mov_b32 s0, -1
                                        ; implicit-def: $sgpr13
	s_branch .LBB119_2401
.LBB119_2393:
	s_mov_b32 s0, -1
                                        ; implicit-def: $sgpr13
	s_branch .LBB119_2398
.LBB119_2394:
	s_mov_b32 s0, -1
                                        ; implicit-def: $sgpr13
.LBB119_2395:
	s_delay_alu instid0(SALU_CYCLE_1)
	s_and_not1_b32 vcc_lo, exec_lo, s0
	s_cbranch_vccnz .LBB119_2397
; %bb.2396:
	global_load_b32 v14, v[12:13], off
	s_and_not1_b32 s0, s13, exec_lo
	s_waitcnt vmcnt(0)
	v_cmp_ne_u32_e32 vcc_lo, 0, v14
	s_and_b32 s1, vcc_lo, exec_lo
	s_delay_alu instid0(SALU_CYCLE_1)
	s_or_b32 s13, s0, s1
.LBB119_2397:
	s_mov_b32 s0, 0
.LBB119_2398:
	s_delay_alu instid0(SALU_CYCLE_1)
	s_and_not1_b32 vcc_lo, exec_lo, s0
	s_cbranch_vccnz .LBB119_2400
; %bb.2399:
	global_load_u16 v14, v[12:13], off
	s_and_not1_b32 s0, s13, exec_lo
	s_waitcnt vmcnt(0)
	v_cmp_ne_u16_e32 vcc_lo, 0, v14
	s_and_b32 s1, vcc_lo, exec_lo
	s_delay_alu instid0(SALU_CYCLE_1)
	s_or_b32 s13, s0, s1
.LBB119_2400:
	s_mov_b32 s0, 0
.LBB119_2401:
	s_delay_alu instid0(SALU_CYCLE_1)
	s_and_not1_b32 vcc_lo, exec_lo, s0
	s_cbranch_vccnz .LBB119_2407
; %bb.2402:
	v_cmp_lt_i16_e32 vcc_lo, 0, v16
	s_mov_b32 s0, 0
	s_cbranch_vccz .LBB119_2404
; %bb.2403:
	global_load_u8 v14, v[12:13], off
	s_waitcnt vmcnt(0)
	v_cmp_ne_u16_e32 vcc_lo, 0, v14
	s_and_b32 s13, vcc_lo, exec_lo
	s_branch .LBB119_2405
.LBB119_2404:
	s_mov_b32 s0, -1
                                        ; implicit-def: $sgpr13
.LBB119_2405:
	s_delay_alu instid0(SALU_CYCLE_1)
	s_and_not1_b32 vcc_lo, exec_lo, s0
	s_cbranch_vccnz .LBB119_2407
; %bb.2406:
	global_load_u8 v12, v[12:13], off
	s_and_not1_b32 s0, s13, exec_lo
	s_waitcnt vmcnt(0)
	v_cmp_ne_u16_e32 vcc_lo, 0, v12
	s_and_b32 s1, vcc_lo, exec_lo
	s_delay_alu instid0(SALU_CYCLE_1)
	s_or_b32 s13, s0, s1
.LBB119_2407:
	s_mov_b32 s14, -1
.LBB119_2408:
	s_delay_alu instid0(SALU_CYCLE_1)
	s_and_not1_b32 vcc_lo, exec_lo, s14
	s_cbranch_vccnz .LBB119_3064
; %bb.2409:
	v_cmp_gt_i16_e32 vcc_lo, 11, v17
	v_add_co_u32 v14, s0, s6, v9
	s_delay_alu instid0(VALU_DEP_1)
	v_add_co_ci_u32_e64 v15, null, s7, 0, s0
	s_mov_b32 s0, 0
	s_cbranch_vccnz .LBB119_2416
; %bb.2410:
	v_cmp_lt_i16_e32 vcc_lo, 25, v17
	s_mov_b32 s7, 0
	s_cbranch_vccz .LBB119_2417
; %bb.2411:
	v_cmp_lt_i16_e32 vcc_lo, 28, v17
	s_cbranch_vccz .LBB119_2418
; %bb.2412:
	v_cmp_lt_i16_e32 vcc_lo, 43, v17
	;; [unrolled: 3-line block ×3, first 2 shown]
	s_cbranch_vccz .LBB119_2422
; %bb.2414:
	v_cmp_eq_u16_e32 vcc_lo, 46, v17
	s_mov_b32 s1, 0
	s_cbranch_vccz .LBB119_2425
; %bb.2415:
	global_load_b32 v9, v[14:15], off
	s_mov_b32 s6, 0
	s_mov_b32 s0, -1
	s_waitcnt vmcnt(0)
	v_lshlrev_b32_e32 v9, 16, v9
	s_delay_alu instid0(VALU_DEP_1)
	v_cvt_f64_f32_e32 v[12:13], v9
	s_branch .LBB119_2427
.LBB119_2416:
	s_mov_b32 s1, -1
                                        ; implicit-def: $vgpr12_vgpr13
	s_branch .LBB119_2493
.LBB119_2417:
	s_mov_b32 s1, -1
	s_mov_b32 s6, 0
                                        ; implicit-def: $vgpr12_vgpr13
	s_branch .LBB119_2458
.LBB119_2418:
	s_mov_b32 s1, -1
	s_mov_b32 s6, 0
                                        ; implicit-def: $vgpr12_vgpr13
	s_branch .LBB119_2437
.LBB119_2419:
	s_mov_b32 s1, -1
	s_mov_b32 s6, 0
                                        ; implicit-def: $vgpr12_vgpr13
	s_branch .LBB119_2432
.LBB119_2420:
	s_cbranch_execnz .LBB119_2423
; %bb.2421:
	s_mov_b32 s14, 0
	s_and_not1_b32 s13, s13, exec_lo
	s_or_b32 s10, s10, exec_lo
	s_cbranch_execz .LBB119_2357
	s_branch .LBB119_2358
.LBB119_2422:
	s_mov_b32 s1, -1
	s_mov_b32 s6, 0
	s_branch .LBB119_2426
.LBB119_2423:
	s_trap 2
	s_sendmsg_rtn_b32 s0, sendmsg(MSG_RTN_GET_DOORBELL)
	s_mov_b32 ttmp2, m0
	s_waitcnt lgkmcnt(0)
	s_and_b32 s0, s0, 0x3ff
	s_delay_alu instid0(SALU_CYCLE_1) | instskip(NEXT) | instid1(SALU_CYCLE_1)
	s_bitset1_b32 s0, 10
	s_mov_b32 m0, s0
	s_sendmsg sendmsg(MSG_INTERRUPT)
	s_mov_b32 m0, ttmp2
.LBB119_2424:                           ; =>This Inner Loop Header: Depth=1
	s_sethalt 5
	s_branch .LBB119_2424
.LBB119_2425:
	s_mov_b32 s6, -1
.LBB119_2426:
                                        ; implicit-def: $vgpr12_vgpr13
.LBB119_2427:
	s_and_b32 vcc_lo, exec_lo, s1
	s_cbranch_vccz .LBB119_2431
; %bb.2428:
	v_cmp_eq_u16_e32 vcc_lo, 44, v17
	s_cbranch_vccz .LBB119_2430
; %bb.2429:
	global_load_u8 v9, v[14:15], off
	s_mov_b32 s6, 0
	s_mov_b32 s0, -1
	s_waitcnt vmcnt(0)
	v_lshlrev_b32_e32 v12, 23, v9
	v_cmp_ne_u32_e32 vcc_lo, 0xff, v9
	s_delay_alu instid0(VALU_DEP_2) | instskip(NEXT) | instid1(VALU_DEP_1)
	v_cvt_f64_f32_e32 v[12:13], v12
	v_cndmask_b32_e32 v12, 0x20000000, v12, vcc_lo
	s_delay_alu instid0(VALU_DEP_2) | instskip(SKIP_1) | instid1(VALU_DEP_2)
	v_cndmask_b32_e32 v13, 0x7ff80000, v13, vcc_lo
	v_cmp_ne_u32_e32 vcc_lo, 0, v9
	v_cndmask_b32_e32 v13, 0x38000000, v13, vcc_lo
	s_delay_alu instid0(VALU_DEP_4)
	v_cndmask_b32_e32 v12, 0, v12, vcc_lo
	s_branch .LBB119_2431
.LBB119_2430:
	s_mov_b32 s6, -1
                                        ; implicit-def: $vgpr12_vgpr13
.LBB119_2431:
	s_mov_b32 s1, 0
.LBB119_2432:
	s_delay_alu instid0(SALU_CYCLE_1)
	s_and_b32 vcc_lo, exec_lo, s1
	s_cbranch_vccz .LBB119_2436
; %bb.2433:
	v_cmp_eq_u16_e32 vcc_lo, 29, v17
	s_cbranch_vccz .LBB119_2435
; %bb.2434:
	global_load_b64 v[12:13], v[14:15], off
	s_mov_b32 s6, 0
	s_mov_b32 s0, -1
	s_mov_b32 s1, 0
	s_waitcnt vmcnt(0)
	v_cvt_f64_u32_e32 v[18:19], v13
	v_cvt_f64_u32_e32 v[12:13], v12
	s_delay_alu instid0(VALU_DEP_2) | instskip(NEXT) | instid1(VALU_DEP_1)
	v_ldexp_f64 v[18:19], v[18:19], 32
	v_add_f64 v[12:13], v[18:19], v[12:13]
	s_branch .LBB119_2437
.LBB119_2435:
	s_mov_b32 s6, -1
                                        ; implicit-def: $vgpr12_vgpr13
.LBB119_2436:
	s_mov_b32 s1, 0
.LBB119_2437:
	s_delay_alu instid0(SALU_CYCLE_1)
	s_and_b32 vcc_lo, exec_lo, s1
	s_cbranch_vccz .LBB119_2457
; %bb.2438:
	v_cmp_gt_i16_e32 vcc_lo, 27, v17
	s_cbranch_vccnz .LBB119_2441
; %bb.2439:
	v_cmp_lt_i16_e32 vcc_lo, 27, v17
	s_cbranch_vccz .LBB119_2442
; %bb.2440:
	global_load_b32 v9, v[14:15], off
	s_mov_b32 s0, 0
	s_waitcnt vmcnt(0)
	v_cvt_f64_u32_e32 v[12:13], v9
	s_branch .LBB119_2443
.LBB119_2441:
	s_mov_b32 s0, -1
                                        ; implicit-def: $vgpr12_vgpr13
	s_branch .LBB119_2446
.LBB119_2442:
	s_mov_b32 s0, -1
                                        ; implicit-def: $vgpr12_vgpr13
.LBB119_2443:
	s_delay_alu instid0(SALU_CYCLE_1)
	s_and_not1_b32 vcc_lo, exec_lo, s0
	s_cbranch_vccnz .LBB119_2445
; %bb.2444:
	global_load_u16 v9, v[14:15], off
	s_waitcnt vmcnt(0)
	v_cvt_f64_u32_e32 v[12:13], v9
.LBB119_2445:
	s_mov_b32 s0, 0
.LBB119_2446:
	s_delay_alu instid0(SALU_CYCLE_1)
	s_and_not1_b32 vcc_lo, exec_lo, s0
	s_cbranch_vccnz .LBB119_2456
; %bb.2447:
	global_load_u8 v9, v[14:15], off
	s_mov_b32 s14, 0
	s_mov_b32 s15, exec_lo
                                        ; implicit-def: $sgpr0_sgpr1
	s_waitcnt vmcnt(0)
	v_cmpx_lt_i16_e32 0x7f, v9
	s_xor_b32 s15, exec_lo, s15
	s_cbranch_execz .LBB119_2451
; %bb.2448:
	s_mov_b32 s16, -1
	s_mov_b32 s14, exec_lo
                                        ; implicit-def: $sgpr0_sgpr1
	v_cmpx_eq_u16_e32 0x80, v9
; %bb.2449:
	s_mov_b32 s1, 0x7ff80000
	s_brev_b32 s0, 4
	s_xor_b32 s16, exec_lo, -1
; %bb.2450:
	s_or_b32 exec_lo, exec_lo, s14
	s_delay_alu instid0(SALU_CYCLE_1)
	s_and_b32 s14, s16, exec_lo
.LBB119_2451:
	s_or_saveexec_b32 s15, s15
	v_dual_mov_b32 v13, s1 :: v_dual_mov_b32 v12, s0
	s_xor_b32 exec_lo, exec_lo, s15
; %bb.2452:
	v_cmp_ne_u16_e32 vcc_lo, 0, v9
	v_mov_b32_e32 v12, 0
	v_mov_b32_e32 v13, 0
	s_and_not1_b32 s0, s14, exec_lo
	s_and_b32 s1, vcc_lo, exec_lo
	s_delay_alu instid0(SALU_CYCLE_1)
	s_or_b32 s14, s0, s1
; %bb.2453:
	s_or_b32 exec_lo, exec_lo, s15
	s_and_saveexec_b32 s0, s14
	s_cbranch_execz .LBB119_2455
; %bb.2454:
	v_and_b32_e32 v12, 0xffff, v9
	v_lshlrev_b32_e32 v9, 24, v9
	s_delay_alu instid0(VALU_DEP_2) | instskip(NEXT) | instid1(VALU_DEP_2)
	v_and_b32_e32 v13, 7, v12
	v_and_b32_e32 v9, 0x80000000, v9
	s_delay_alu instid0(VALU_DEP_2) | instskip(NEXT) | instid1(VALU_DEP_1)
	v_clz_i32_u32_e32 v18, v13
	v_min_u32_e32 v18, 32, v18
	s_delay_alu instid0(VALU_DEP_1) | instskip(SKIP_1) | instid1(VALU_DEP_2)
	v_subrev_nc_u32_e32 v19, 28, v18
	v_sub_nc_u32_e32 v18, 29, v18
	v_lshlrev_b32_e32 v19, v19, v12
	v_bfe_u32 v12, v12, 3, 4
	s_delay_alu instid0(VALU_DEP_2) | instskip(NEXT) | instid1(VALU_DEP_2)
	v_and_b32_e32 v19, 7, v19
	v_cmp_eq_u32_e32 vcc_lo, 0, v12
	s_delay_alu instid0(VALU_DEP_2) | instskip(NEXT) | instid1(VALU_DEP_1)
	v_dual_cndmask_b32 v12, v12, v18 :: v_dual_cndmask_b32 v13, v13, v19
	v_lshl_add_u32 v12, v12, 23, 0x3b800000
	s_delay_alu instid0(VALU_DEP_2) | instskip(NEXT) | instid1(VALU_DEP_1)
	v_lshlrev_b32_e32 v13, 20, v13
	v_or3_b32 v9, v9, v12, v13
	s_delay_alu instid0(VALU_DEP_1)
	v_cvt_f64_f32_e32 v[12:13], v9
.LBB119_2455:
	s_or_b32 exec_lo, exec_lo, s0
.LBB119_2456:
	s_mov_b32 s0, -1
.LBB119_2457:
	s_mov_b32 s1, 0
.LBB119_2458:
	s_delay_alu instid0(SALU_CYCLE_1)
	s_and_b32 vcc_lo, exec_lo, s1
	s_cbranch_vccz .LBB119_2489
; %bb.2459:
	v_cmp_lt_i16_e32 vcc_lo, 22, v17
	s_cbranch_vccz .LBB119_2471
; %bb.2460:
	v_cmp_gt_i16_e32 vcc_lo, 24, v17
	s_cbranch_vccnz .LBB119_2472
; %bb.2461:
	v_cmp_lt_i16_e32 vcc_lo, 24, v17
	s_cbranch_vccz .LBB119_2473
; %bb.2462:
	global_load_u8 v9, v[14:15], off
	s_mov_b32 s14, exec_lo
                                        ; implicit-def: $sgpr0_sgpr1
	s_waitcnt vmcnt(0)
	v_cmpx_lt_i16_e32 0x7f, v9
	s_xor_b32 s14, exec_lo, s14
	s_cbranch_execz .LBB119_2466
; %bb.2463:
	s_mov_b32 s15, -1
	s_mov_b32 s7, exec_lo
                                        ; implicit-def: $sgpr0_sgpr1
	v_cmpx_eq_u16_e32 0x80, v9
; %bb.2464:
	s_mov_b32 s1, 0x7ff80000
	s_brev_b32 s0, 4
	s_xor_b32 s15, exec_lo, -1
; %bb.2465:
	s_or_b32 exec_lo, exec_lo, s7
	s_delay_alu instid0(SALU_CYCLE_1)
	s_and_b32 s7, s15, exec_lo
.LBB119_2466:
	s_or_saveexec_b32 s14, s14
	v_dual_mov_b32 v13, s1 :: v_dual_mov_b32 v12, s0
	s_xor_b32 exec_lo, exec_lo, s14
; %bb.2467:
	v_cmp_ne_u16_e32 vcc_lo, 0, v9
	v_mov_b32_e32 v12, 0
	v_mov_b32_e32 v13, 0
	s_and_not1_b32 s0, s7, exec_lo
	s_and_b32 s1, vcc_lo, exec_lo
	s_delay_alu instid0(SALU_CYCLE_1)
	s_or_b32 s7, s0, s1
; %bb.2468:
	s_or_b32 exec_lo, exec_lo, s14
	s_and_saveexec_b32 s0, s7
	s_cbranch_execz .LBB119_2470
; %bb.2469:
	v_and_b32_e32 v12, 0xffff, v9
	v_lshlrev_b32_e32 v9, 24, v9
	s_delay_alu instid0(VALU_DEP_2) | instskip(NEXT) | instid1(VALU_DEP_2)
	v_and_b32_e32 v13, 3, v12
	v_and_b32_e32 v9, 0x80000000, v9
	s_delay_alu instid0(VALU_DEP_2) | instskip(NEXT) | instid1(VALU_DEP_1)
	v_clz_i32_u32_e32 v18, v13
	v_min_u32_e32 v18, 32, v18
	s_delay_alu instid0(VALU_DEP_1) | instskip(SKIP_1) | instid1(VALU_DEP_2)
	v_subrev_nc_u32_e32 v19, 29, v18
	v_sub_nc_u32_e32 v18, 30, v18
	v_lshlrev_b32_e32 v19, v19, v12
	v_bfe_u32 v12, v12, 2, 5
	s_delay_alu instid0(VALU_DEP_2) | instskip(NEXT) | instid1(VALU_DEP_2)
	v_and_b32_e32 v19, 3, v19
	v_cmp_eq_u32_e32 vcc_lo, 0, v12
	s_delay_alu instid0(VALU_DEP_2) | instskip(NEXT) | instid1(VALU_DEP_1)
	v_dual_cndmask_b32 v12, v12, v18 :: v_dual_cndmask_b32 v13, v13, v19
	v_lshl_add_u32 v12, v12, 23, 0x37800000
	s_delay_alu instid0(VALU_DEP_2) | instskip(NEXT) | instid1(VALU_DEP_1)
	v_lshlrev_b32_e32 v13, 21, v13
	v_or3_b32 v9, v9, v12, v13
	s_delay_alu instid0(VALU_DEP_1)
	v_cvt_f64_f32_e32 v[12:13], v9
.LBB119_2470:
	s_or_b32 exec_lo, exec_lo, s0
	s_mov_b32 s0, 0
	s_branch .LBB119_2474
.LBB119_2471:
	s_mov_b32 s1, -1
                                        ; implicit-def: $vgpr12_vgpr13
	s_branch .LBB119_2480
.LBB119_2472:
	s_mov_b32 s0, -1
                                        ; implicit-def: $vgpr12_vgpr13
	s_branch .LBB119_2477
.LBB119_2473:
	s_mov_b32 s0, -1
                                        ; implicit-def: $vgpr12_vgpr13
.LBB119_2474:
	s_delay_alu instid0(SALU_CYCLE_1)
	s_and_b32 vcc_lo, exec_lo, s0
	s_cbranch_vccz .LBB119_2476
; %bb.2475:
	global_load_u8 v9, v[14:15], off
	s_waitcnt vmcnt(0)
	v_lshlrev_b32_e32 v9, 24, v9
	s_delay_alu instid0(VALU_DEP_1) | instskip(NEXT) | instid1(VALU_DEP_1)
	v_and_b32_e32 v12, 0x7f000000, v9
	v_clz_i32_u32_e32 v13, v12
	v_cmp_ne_u32_e32 vcc_lo, 0, v12
	v_add_nc_u32_e32 v19, 0x1000000, v12
	s_delay_alu instid0(VALU_DEP_3) | instskip(NEXT) | instid1(VALU_DEP_1)
	v_min_u32_e32 v13, 32, v13
	v_sub_nc_u32_e64 v13, v13, 4 clamp
	s_delay_alu instid0(VALU_DEP_1) | instskip(SKIP_1) | instid1(VALU_DEP_2)
	v_lshlrev_b32_e32 v18, v13, v12
	v_lshlrev_b32_e32 v13, 23, v13
	v_lshrrev_b32_e32 v18, 4, v18
	s_delay_alu instid0(VALU_DEP_1) | instskip(SKIP_1) | instid1(VALU_DEP_2)
	v_sub_nc_u32_e32 v13, v18, v13
	v_ashrrev_i32_e32 v18, 8, v19
	v_add_nc_u32_e32 v13, 0x3c000000, v13
	s_delay_alu instid0(VALU_DEP_1) | instskip(NEXT) | instid1(VALU_DEP_1)
	v_and_or_b32 v13, 0x7f800000, v18, v13
	v_cndmask_b32_e32 v12, 0, v13, vcc_lo
	s_delay_alu instid0(VALU_DEP_1) | instskip(NEXT) | instid1(VALU_DEP_1)
	v_and_or_b32 v9, 0x80000000, v9, v12
	v_cvt_f64_f32_e32 v[12:13], v9
.LBB119_2476:
	s_mov_b32 s0, 0
.LBB119_2477:
	s_delay_alu instid0(SALU_CYCLE_1)
	s_and_not1_b32 vcc_lo, exec_lo, s0
	s_cbranch_vccnz .LBB119_2479
; %bb.2478:
	global_load_u8 v9, v[14:15], off
	s_waitcnt vmcnt(0)
	v_lshlrev_b32_e32 v12, 25, v9
	v_lshlrev_b16 v9, 8, v9
	s_delay_alu instid0(VALU_DEP_2) | instskip(NEXT) | instid1(VALU_DEP_2)
	v_lshrrev_b32_e32 v13, 4, v12
	v_and_or_b32 v18, 0x7f00, v9, 0.5
	v_cmp_gt_u32_e32 vcc_lo, 0x8000000, v12
	v_bfe_i32 v9, v9, 0, 16
	s_delay_alu instid0(VALU_DEP_4) | instskip(NEXT) | instid1(VALU_DEP_1)
	v_or_b32_e32 v13, 0x70000000, v13
	v_dual_add_f32 v18, -0.5, v18 :: v_dual_mul_f32 v13, 0x7800000, v13
	s_delay_alu instid0(VALU_DEP_1) | instskip(NEXT) | instid1(VALU_DEP_1)
	v_cndmask_b32_e32 v12, v13, v18, vcc_lo
	v_and_or_b32 v9, 0x80000000, v9, v12
	s_delay_alu instid0(VALU_DEP_1)
	v_cvt_f64_f32_e32 v[12:13], v9
.LBB119_2479:
	s_mov_b32 s1, 0
	s_mov_b32 s0, -1
.LBB119_2480:
	s_and_not1_b32 vcc_lo, exec_lo, s1
	s_mov_b32 s7, 0
	s_cbranch_vccnz .LBB119_2489
; %bb.2481:
	v_cmp_lt_i16_e32 vcc_lo, 14, v17
	s_cbranch_vccz .LBB119_2484
; %bb.2482:
	v_cmp_eq_u16_e32 vcc_lo, 15, v17
	s_cbranch_vccz .LBB119_2485
; %bb.2483:
	global_load_u16 v9, v[14:15], off
	s_mov_b32 s6, 0
	s_mov_b32 s0, -1
	s_waitcnt vmcnt(0)
	v_lshlrev_b32_e32 v9, 16, v9
	s_delay_alu instid0(VALU_DEP_1)
	v_cvt_f64_f32_e32 v[12:13], v9
	s_branch .LBB119_2486
.LBB119_2484:
	s_mov_b32 s1, -1
                                        ; implicit-def: $vgpr12_vgpr13
	s_branch .LBB119_2487
.LBB119_2485:
	s_mov_b32 s6, -1
                                        ; implicit-def: $vgpr12_vgpr13
.LBB119_2486:
	s_mov_b32 s1, 0
.LBB119_2487:
	s_delay_alu instid0(SALU_CYCLE_1)
	s_and_b32 vcc_lo, exec_lo, s1
	s_cbranch_vccz .LBB119_2489
; %bb.2488:
	v_cmp_ne_u16_e64 s6, 11, v17
	s_mov_b32 s7, -1
                                        ; implicit-def: $vgpr12_vgpr13
.LBB119_2489:
	s_delay_alu instid0(VALU_DEP_1)
	s_and_b32 vcc_lo, exec_lo, s6
	s_cbranch_vccnz .LBB119_2554
; %bb.2490:
	s_and_not1_b32 vcc_lo, exec_lo, s7
	s_cbranch_vccnz .LBB119_2492
.LBB119_2491:
	global_load_u8 v9, v[14:15], off
	v_mov_b32_e32 v12, 0
	s_mov_b32 s0, -1
	s_waitcnt vmcnt(0)
	v_cmp_ne_u16_e32 vcc_lo, 0, v9
	v_cndmask_b32_e64 v13, 0, 0x3ff00000, vcc_lo
.LBB119_2492:
	s_mov_b32 s1, 0
.LBB119_2493:
	s_delay_alu instid0(SALU_CYCLE_1)
	s_and_b32 vcc_lo, exec_lo, s1
	s_cbranch_vccz .LBB119_2542
; %bb.2494:
	v_cmp_gt_i16_e32 vcc_lo, 5, v17
	s_cbranch_vccnz .LBB119_2499
; %bb.2495:
	v_cmp_gt_i16_e32 vcc_lo, 8, v17
	s_cbranch_vccnz .LBB119_2500
	;; [unrolled: 3-line block ×3, first 2 shown]
; %bb.2497:
	v_cmp_lt_i16_e32 vcc_lo, 9, v17
	s_cbranch_vccz .LBB119_2502
; %bb.2498:
	global_load_b64 v[12:13], v[14:15], off
	s_mov_b32 s0, 0
	s_branch .LBB119_2503
.LBB119_2499:
	s_mov_b32 s0, -1
                                        ; implicit-def: $vgpr12_vgpr13
	s_branch .LBB119_2521
.LBB119_2500:
	s_mov_b32 s0, -1
                                        ; implicit-def: $vgpr12_vgpr13
	s_branch .LBB119_2509
.LBB119_2501:
	s_mov_b32 s0, -1
                                        ; implicit-def: $vgpr12_vgpr13
	s_branch .LBB119_2506
.LBB119_2502:
	s_mov_b32 s0, -1
                                        ; implicit-def: $vgpr12_vgpr13
.LBB119_2503:
	s_delay_alu instid0(SALU_CYCLE_1)
	s_and_not1_b32 vcc_lo, exec_lo, s0
	s_cbranch_vccnz .LBB119_2505
; %bb.2504:
	global_load_b32 v9, v[14:15], off
	s_waitcnt vmcnt(0)
	v_cvt_f64_f32_e32 v[12:13], v9
.LBB119_2505:
	s_mov_b32 s0, 0
.LBB119_2506:
	s_delay_alu instid0(SALU_CYCLE_1)
	s_and_not1_b32 vcc_lo, exec_lo, s0
	s_cbranch_vccnz .LBB119_2508
; %bb.2507:
	global_load_b32 v9, v[14:15], off
	s_waitcnt vmcnt(0)
	v_cvt_f32_f16_e32 v9, v9
	s_delay_alu instid0(VALU_DEP_1)
	v_cvt_f64_f32_e32 v[12:13], v9
.LBB119_2508:
	s_mov_b32 s0, 0
.LBB119_2509:
	s_delay_alu instid0(SALU_CYCLE_1)
	s_and_not1_b32 vcc_lo, exec_lo, s0
	s_cbranch_vccnz .LBB119_2520
; %bb.2510:
	v_cmp_gt_i16_e32 vcc_lo, 6, v17
	s_cbranch_vccnz .LBB119_2513
; %bb.2511:
	v_cmp_lt_i16_e32 vcc_lo, 6, v17
	s_cbranch_vccz .LBB119_2514
; %bb.2512:
	global_load_b64 v[12:13], v[14:15], off
	s_mov_b32 s0, 0
	s_branch .LBB119_2515
.LBB119_2513:
	s_mov_b32 s0, -1
                                        ; implicit-def: $vgpr12_vgpr13
	s_branch .LBB119_2518
.LBB119_2514:
	s_mov_b32 s0, -1
                                        ; implicit-def: $vgpr12_vgpr13
.LBB119_2515:
	s_delay_alu instid0(SALU_CYCLE_1)
	s_and_not1_b32 vcc_lo, exec_lo, s0
	s_cbranch_vccnz .LBB119_2517
; %bb.2516:
	global_load_b32 v9, v[14:15], off
	s_waitcnt vmcnt(0)
	v_cvt_f64_f32_e32 v[12:13], v9
.LBB119_2517:
	s_mov_b32 s0, 0
.LBB119_2518:
	s_delay_alu instid0(SALU_CYCLE_1)
	s_and_not1_b32 vcc_lo, exec_lo, s0
	s_cbranch_vccnz .LBB119_2520
; %bb.2519:
	global_load_u16 v9, v[14:15], off
	s_waitcnt vmcnt(0)
	v_cvt_f32_f16_e32 v9, v9
	s_delay_alu instid0(VALU_DEP_1)
	v_cvt_f64_f32_e32 v[12:13], v9
.LBB119_2520:
	s_mov_b32 s0, 0
.LBB119_2521:
	s_delay_alu instid0(SALU_CYCLE_1)
	s_and_not1_b32 vcc_lo, exec_lo, s0
	s_cbranch_vccnz .LBB119_2541
; %bb.2522:
	v_cmp_gt_i16_e32 vcc_lo, 2, v17
	s_cbranch_vccnz .LBB119_2526
; %bb.2523:
	v_cmp_gt_i16_e32 vcc_lo, 3, v17
	s_cbranch_vccnz .LBB119_2527
; %bb.2524:
	v_cmp_lt_i16_e32 vcc_lo, 3, v17
	s_cbranch_vccz .LBB119_2528
; %bb.2525:
	global_load_b64 v[12:13], v[14:15], off
	s_mov_b32 s0, 0
	s_waitcnt vmcnt(0)
	v_cvt_f64_i32_e32 v[18:19], v13
	v_cvt_f64_u32_e32 v[12:13], v12
	s_delay_alu instid0(VALU_DEP_2) | instskip(NEXT) | instid1(VALU_DEP_1)
	v_ldexp_f64 v[18:19], v[18:19], 32
	v_add_f64 v[12:13], v[18:19], v[12:13]
	s_branch .LBB119_2529
.LBB119_2526:
	s_mov_b32 s0, -1
                                        ; implicit-def: $vgpr12_vgpr13
	s_branch .LBB119_2535
.LBB119_2527:
	s_mov_b32 s0, -1
                                        ; implicit-def: $vgpr12_vgpr13
	s_branch .LBB119_2532
.LBB119_2528:
	s_mov_b32 s0, -1
                                        ; implicit-def: $vgpr12_vgpr13
.LBB119_2529:
	s_delay_alu instid0(SALU_CYCLE_1)
	s_and_not1_b32 vcc_lo, exec_lo, s0
	s_cbranch_vccnz .LBB119_2531
; %bb.2530:
	global_load_b32 v9, v[14:15], off
	s_waitcnt vmcnt(0)
	v_cvt_f64_i32_e32 v[12:13], v9
.LBB119_2531:
	s_mov_b32 s0, 0
.LBB119_2532:
	s_delay_alu instid0(SALU_CYCLE_1)
	s_and_not1_b32 vcc_lo, exec_lo, s0
	s_cbranch_vccnz .LBB119_2534
; %bb.2533:
	global_load_i16 v9, v[14:15], off
	s_waitcnt vmcnt(0)
	v_cvt_f64_i32_e32 v[12:13], v9
.LBB119_2534:
	s_mov_b32 s0, 0
.LBB119_2535:
	s_delay_alu instid0(SALU_CYCLE_1)
	s_and_not1_b32 vcc_lo, exec_lo, s0
	s_cbranch_vccnz .LBB119_2541
; %bb.2536:
	v_cmp_lt_i16_e32 vcc_lo, 0, v17
	s_mov_b32 s0, 0
	s_cbranch_vccz .LBB119_2538
; %bb.2537:
	global_load_i8 v9, v[14:15], off
	s_waitcnt vmcnt(0)
	v_cvt_f64_i32_e32 v[12:13], v9
	s_branch .LBB119_2539
.LBB119_2538:
	s_mov_b32 s0, -1
                                        ; implicit-def: $vgpr12_vgpr13
.LBB119_2539:
	s_delay_alu instid0(SALU_CYCLE_1)
	s_and_not1_b32 vcc_lo, exec_lo, s0
	s_cbranch_vccnz .LBB119_2541
; %bb.2540:
	global_load_u8 v9, v[14:15], off
	s_waitcnt vmcnt(0)
	v_cvt_f64_u32_e32 v[12:13], v9
.LBB119_2541:
	s_mov_b32 s0, -1
.LBB119_2542:
	s_delay_alu instid0(SALU_CYCLE_1)
	s_and_not1_b32 vcc_lo, exec_lo, s0
	s_cbranch_vccnz .LBB119_3064
; %bb.2543:
	v_cmp_gt_i16_e32 vcc_lo, 11, v16
	v_add_co_u32 v14, s0, s2, v3
	s_delay_alu instid0(VALU_DEP_1)
	v_add_co_ci_u32_e64 v15, null, s3, 0, s0
	s_mov_b32 s3, 0
	s_cbranch_vccnz .LBB119_2550
; %bb.2544:
	v_cmp_lt_i16_e32 vcc_lo, 25, v16
	s_mov_b32 s0, 0
	s_cbranch_vccz .LBB119_2551
; %bb.2545:
	v_cmp_lt_i16_e32 vcc_lo, 28, v16
	s_cbranch_vccz .LBB119_2552
; %bb.2546:
	v_cmp_lt_i16_e32 vcc_lo, 43, v16
	;; [unrolled: 3-line block ×3, first 2 shown]
	s_cbranch_vccz .LBB119_2556
; %bb.2548:
	v_cmp_eq_u16_e32 vcc_lo, 46, v16
	s_mov_b32 s6, 0
	s_cbranch_vccz .LBB119_2559
; %bb.2549:
	global_load_b32 v3, v[14:15], off
	s_mov_b32 s2, 0
	s_mov_b32 s3, -1
	s_waitcnt vmcnt(0)
	v_and_b32_e32 v3, 0x7fff7fff, v3
	s_delay_alu instid0(VALU_DEP_1)
	v_cmp_ne_u32_e32 vcc_lo, 0, v3
	s_and_b32 s1, vcc_lo, exec_lo
	s_branch .LBB119_2561
.LBB119_2550:
	s_mov_b32 s0, -1
                                        ; implicit-def: $sgpr1
	s_branch .LBB119_2625
.LBB119_2551:
	s_mov_b32 s6, -1
	s_mov_b32 s2, 0
                                        ; implicit-def: $sgpr1
	s_branch .LBB119_2588
.LBB119_2552:
	s_mov_b32 s6, -1
	s_mov_b32 s2, 0
                                        ; implicit-def: $sgpr1
	s_branch .LBB119_2569
.LBB119_2553:
	s_mov_b32 s6, -1
	s_mov_b32 s2, 0
                                        ; implicit-def: $sgpr1
	s_branch .LBB119_2564
.LBB119_2554:
	s_cbranch_execnz .LBB119_2557
; %bb.2555:
	s_or_b32 s10, s10, exec_lo
                                        ; implicit-def: $vgpr12_vgpr13
	s_cbranch_execz .LBB119_2491
	s_branch .LBB119_2492
.LBB119_2556:
	s_mov_b32 s6, -1
	s_mov_b32 s2, 0
	s_branch .LBB119_2560
.LBB119_2557:
	s_trap 2
	s_sendmsg_rtn_b32 s0, sendmsg(MSG_RTN_GET_DOORBELL)
	s_mov_b32 ttmp2, m0
	s_waitcnt lgkmcnt(0)
	s_and_b32 s0, s0, 0x3ff
	s_delay_alu instid0(SALU_CYCLE_1) | instskip(NEXT) | instid1(SALU_CYCLE_1)
	s_bitset1_b32 s0, 10
	s_mov_b32 m0, s0
	s_sendmsg sendmsg(MSG_INTERRUPT)
	s_mov_b32 m0, ttmp2
.LBB119_2558:                           ; =>This Inner Loop Header: Depth=1
	s_sethalt 5
	s_branch .LBB119_2558
.LBB119_2559:
	s_mov_b32 s2, -1
.LBB119_2560:
                                        ; implicit-def: $sgpr1
.LBB119_2561:
	s_and_b32 vcc_lo, exec_lo, s6
	s_cbranch_vccz .LBB119_2563
; %bb.2562:
	v_cmp_ne_u16_e64 s2, 44, v16
	s_mov_b32 s3, -1
	s_or_b32 s1, s1, exec_lo
.LBB119_2563:
	s_mov_b32 s6, 0
.LBB119_2564:
	s_delay_alu instid0(SALU_CYCLE_1)
	s_and_b32 vcc_lo, exec_lo, s6
	s_cbranch_vccz .LBB119_2568
; %bb.2565:
	v_cmp_eq_u16_e32 vcc_lo, 29, v16
	s_cbranch_vccz .LBB119_2567
; %bb.2566:
	global_load_b64 v[17:18], v[14:15], off
	s_mov_b32 s2, 0
	s_mov_b32 s3, -1
	s_mov_b32 s6, 0
	s_waitcnt vmcnt(0)
	v_cmp_ne_u64_e32 vcc_lo, 0, v[17:18]
	s_and_b32 s1, vcc_lo, exec_lo
	s_branch .LBB119_2569
.LBB119_2567:
	s_mov_b32 s2, -1
                                        ; implicit-def: $sgpr1
.LBB119_2568:
	s_mov_b32 s6, 0
.LBB119_2569:
	s_delay_alu instid0(SALU_CYCLE_1)
	s_and_b32 vcc_lo, exec_lo, s6
	s_cbranch_vccz .LBB119_2587
; %bb.2570:
	v_cmp_gt_i16_e32 vcc_lo, 27, v16
	s_cbranch_vccnz .LBB119_2573
; %bb.2571:
	v_cmp_lt_i16_e32 vcc_lo, 27, v16
	s_cbranch_vccz .LBB119_2574
; %bb.2572:
	global_load_b32 v3, v[14:15], off
	s_mov_b32 s3, 0
	s_waitcnt vmcnt(0)
	v_cmp_ne_u32_e32 vcc_lo, 0, v3
	s_and_b32 s1, vcc_lo, exec_lo
	s_branch .LBB119_2575
.LBB119_2573:
	s_mov_b32 s3, -1
                                        ; implicit-def: $sgpr1
	s_branch .LBB119_2578
.LBB119_2574:
	s_mov_b32 s3, -1
                                        ; implicit-def: $sgpr1
.LBB119_2575:
	s_delay_alu instid0(SALU_CYCLE_1)
	s_and_not1_b32 vcc_lo, exec_lo, s3
	s_cbranch_vccnz .LBB119_2577
; %bb.2576:
	global_load_u16 v3, v[14:15], off
	s_and_not1_b32 s1, s1, exec_lo
	s_waitcnt vmcnt(0)
	v_cmp_ne_u16_e32 vcc_lo, 0, v3
	s_and_b32 s3, vcc_lo, exec_lo
	s_delay_alu instid0(SALU_CYCLE_1)
	s_or_b32 s1, s1, s3
.LBB119_2577:
	s_mov_b32 s3, 0
.LBB119_2578:
	s_delay_alu instid0(SALU_CYCLE_1)
	s_and_not1_b32 vcc_lo, exec_lo, s3
	s_cbranch_vccnz .LBB119_2586
; %bb.2579:
	global_load_u8 v3, v[14:15], off
	s_mov_b32 s3, 0
	s_mov_b32 s6, exec_lo
                                        ; implicit-def: $sgpr1
	s_waitcnt vmcnt(0)
	v_cmpx_lt_i16_e32 0x7f, v3
	s_xor_b32 s6, exec_lo, s6
	s_cbranch_execz .LBB119_2600
; %bb.2580:
	s_mov_b32 s3, -1
	s_mov_b32 s7, exec_lo
                                        ; implicit-def: $sgpr1
	v_cmpx_eq_u16_e32 0x80, v3
; %bb.2581:
	s_mov_b32 s1, -1
	s_xor_b32 s3, exec_lo, -1
; %bb.2582:
	s_or_b32 exec_lo, exec_lo, s7
	s_delay_alu instid0(SALU_CYCLE_1)
	s_and_b32 s3, s3, exec_lo
	s_and_not1_saveexec_b32 s6, s6
	s_cbranch_execnz .LBB119_2601
.LBB119_2583:
	s_or_b32 exec_lo, exec_lo, s6
	s_and_saveexec_b32 s6, s3
	s_cbranch_execz .LBB119_2585
.LBB119_2584:
	v_and_b32_e32 v3, 0xffff, v3
	s_and_not1_b32 s1, s1, exec_lo
	s_delay_alu instid0(VALU_DEP_1) | instskip(NEXT) | instid1(VALU_DEP_1)
	v_and_b32_e32 v9, 7, v3
	v_clz_i32_u32_e32 v17, v9
	s_delay_alu instid0(VALU_DEP_1) | instskip(NEXT) | instid1(VALU_DEP_1)
	v_min_u32_e32 v17, 32, v17
	v_subrev_nc_u32_e32 v18, 28, v17
	v_sub_nc_u32_e32 v17, 29, v17
	s_delay_alu instid0(VALU_DEP_2) | instskip(SKIP_1) | instid1(VALU_DEP_1)
	v_lshlrev_b32_e32 v18, v18, v3
	v_bfe_u32 v3, v3, 3, 4
	v_cmp_eq_u32_e32 vcc_lo, 0, v3
	s_delay_alu instid0(VALU_DEP_3) | instskip(NEXT) | instid1(VALU_DEP_1)
	v_dual_cndmask_b32 v3, v3, v17 :: v_dual_and_b32 v18, 7, v18
	v_lshl_add_u32 v3, v3, 23, 0x3b800000
	s_delay_alu instid0(VALU_DEP_2) | instskip(NEXT) | instid1(VALU_DEP_1)
	v_cndmask_b32_e32 v9, v9, v18, vcc_lo
	v_lshlrev_b32_e32 v9, 20, v9
	s_delay_alu instid0(VALU_DEP_1) | instskip(NEXT) | instid1(VALU_DEP_1)
	v_and_or_b32 v3, 0x7f800000, v3, v9
	v_cmp_ne_u32_e32 vcc_lo, 0, v3
	s_and_b32 s3, vcc_lo, exec_lo
	s_delay_alu instid0(SALU_CYCLE_1)
	s_or_b32 s1, s1, s3
.LBB119_2585:
	s_or_b32 exec_lo, exec_lo, s6
.LBB119_2586:
	s_mov_b32 s3, -1
.LBB119_2587:
	s_mov_b32 s6, 0
.LBB119_2588:
	s_delay_alu instid0(SALU_CYCLE_1)
	s_and_b32 vcc_lo, exec_lo, s6
	s_cbranch_vccz .LBB119_2621
; %bb.2589:
	v_cmp_lt_i16_e32 vcc_lo, 22, v16
	s_cbranch_vccz .LBB119_2599
; %bb.2590:
	v_cmp_gt_i16_e32 vcc_lo, 24, v16
	s_cbranch_vccnz .LBB119_2602
; %bb.2591:
	v_cmp_lt_i16_e32 vcc_lo, 24, v16
	s_cbranch_vccz .LBB119_2603
; %bb.2592:
	global_load_u8 v3, v[14:15], off
	s_mov_b32 s3, exec_lo
                                        ; implicit-def: $sgpr1
	s_waitcnt vmcnt(0)
	v_cmpx_lt_i16_e32 0x7f, v3
	s_xor_b32 s3, exec_lo, s3
	s_cbranch_execz .LBB119_2615
; %bb.2593:
	s_mov_b32 s0, -1
	s_mov_b32 s6, exec_lo
                                        ; implicit-def: $sgpr1
	v_cmpx_eq_u16_e32 0x80, v3
; %bb.2594:
	s_mov_b32 s1, -1
	s_xor_b32 s0, exec_lo, -1
; %bb.2595:
	s_or_b32 exec_lo, exec_lo, s6
	s_delay_alu instid0(SALU_CYCLE_1)
	s_and_b32 s0, s0, exec_lo
	s_and_not1_saveexec_b32 s3, s3
	s_cbranch_execnz .LBB119_2616
.LBB119_2596:
	s_or_b32 exec_lo, exec_lo, s3
	s_and_saveexec_b32 s3, s0
	s_cbranch_execz .LBB119_2598
.LBB119_2597:
	v_and_b32_e32 v3, 0xffff, v3
	s_and_not1_b32 s0, s1, exec_lo
	s_delay_alu instid0(VALU_DEP_1) | instskip(NEXT) | instid1(VALU_DEP_1)
	v_and_b32_e32 v9, 3, v3
	v_clz_i32_u32_e32 v17, v9
	s_delay_alu instid0(VALU_DEP_1) | instskip(NEXT) | instid1(VALU_DEP_1)
	v_min_u32_e32 v17, 32, v17
	v_subrev_nc_u32_e32 v18, 29, v17
	v_sub_nc_u32_e32 v17, 30, v17
	s_delay_alu instid0(VALU_DEP_2) | instskip(SKIP_1) | instid1(VALU_DEP_1)
	v_lshlrev_b32_e32 v18, v18, v3
	v_bfe_u32 v3, v3, 2, 5
	v_cmp_eq_u32_e32 vcc_lo, 0, v3
	s_delay_alu instid0(VALU_DEP_3) | instskip(NEXT) | instid1(VALU_DEP_1)
	v_dual_cndmask_b32 v3, v3, v17 :: v_dual_and_b32 v18, 3, v18
	v_lshl_add_u32 v3, v3, 23, 0x37800000
	s_delay_alu instid0(VALU_DEP_2) | instskip(NEXT) | instid1(VALU_DEP_1)
	v_cndmask_b32_e32 v9, v9, v18, vcc_lo
	v_lshlrev_b32_e32 v9, 21, v9
	s_delay_alu instid0(VALU_DEP_1) | instskip(NEXT) | instid1(VALU_DEP_1)
	v_and_or_b32 v3, 0x7f800000, v3, v9
	v_cmp_ne_u32_e32 vcc_lo, 0, v3
	s_and_b32 s1, vcc_lo, exec_lo
	s_delay_alu instid0(SALU_CYCLE_1)
	s_or_b32 s1, s0, s1
.LBB119_2598:
	s_or_b32 exec_lo, exec_lo, s3
	s_mov_b32 s0, 0
	s_branch .LBB119_2604
.LBB119_2599:
	s_mov_b32 s0, -1
                                        ; implicit-def: $sgpr1
	s_branch .LBB119_2610
.LBB119_2600:
	s_and_not1_saveexec_b32 s6, s6
	s_cbranch_execz .LBB119_2583
.LBB119_2601:
	v_cmp_ne_u16_e32 vcc_lo, 0, v3
	s_and_not1_b32 s3, s3, exec_lo
	s_and_not1_b32 s1, s1, exec_lo
	s_and_b32 s7, vcc_lo, exec_lo
	s_delay_alu instid0(SALU_CYCLE_1)
	s_or_b32 s3, s3, s7
	s_or_b32 exec_lo, exec_lo, s6
	s_and_saveexec_b32 s6, s3
	s_cbranch_execnz .LBB119_2584
	s_branch .LBB119_2585
.LBB119_2602:
	s_mov_b32 s0, -1
                                        ; implicit-def: $sgpr1
	s_branch .LBB119_2607
.LBB119_2603:
	s_mov_b32 s0, -1
                                        ; implicit-def: $sgpr1
.LBB119_2604:
	s_delay_alu instid0(SALU_CYCLE_1)
	s_and_b32 vcc_lo, exec_lo, s0
	s_cbranch_vccz .LBB119_2606
; %bb.2605:
	global_load_u8 v3, v[14:15], off
	s_and_not1_b32 s1, s1, exec_lo
	s_waitcnt vmcnt(0)
	v_lshlrev_b32_e32 v3, 24, v3
	s_delay_alu instid0(VALU_DEP_1) | instskip(NEXT) | instid1(VALU_DEP_1)
	v_and_b32_e32 v3, 0x7f000000, v3
	v_clz_i32_u32_e32 v9, v3
	v_add_nc_u32_e32 v18, 0x1000000, v3
	v_cmp_ne_u32_e32 vcc_lo, 0, v3
	s_delay_alu instid0(VALU_DEP_3) | instskip(NEXT) | instid1(VALU_DEP_3)
	v_min_u32_e32 v9, 32, v9
	v_ashrrev_i32_e32 v18, 8, v18
	s_delay_alu instid0(VALU_DEP_2) | instskip(NEXT) | instid1(VALU_DEP_1)
	v_sub_nc_u32_e64 v9, v9, 4 clamp
	v_lshlrev_b32_e32 v17, v9, v3
	v_lshlrev_b32_e32 v9, 23, v9
	s_delay_alu instid0(VALU_DEP_2) | instskip(NEXT) | instid1(VALU_DEP_1)
	v_lshrrev_b32_e32 v17, 4, v17
	v_sub_nc_u32_e32 v9, v17, v9
	v_and_b32_e32 v17, 0x7f800000, v18
	s_delay_alu instid0(VALU_DEP_2) | instskip(NEXT) | instid1(VALU_DEP_1)
	v_add_nc_u32_e32 v9, 0x3c000000, v9
	v_and_or_b32 v9, 0x7ff00000, v9, v17
	s_delay_alu instid0(VALU_DEP_1) | instskip(NEXT) | instid1(VALU_DEP_1)
	v_cmp_ne_u32_e64 s0, 0, v9
	s_and_b32 s0, vcc_lo, s0
	s_delay_alu instid0(SALU_CYCLE_1) | instskip(NEXT) | instid1(SALU_CYCLE_1)
	s_and_b32 s0, s0, exec_lo
	s_or_b32 s1, s1, s0
.LBB119_2606:
	s_mov_b32 s0, 0
.LBB119_2607:
	s_delay_alu instid0(SALU_CYCLE_1)
	s_and_not1_b32 vcc_lo, exec_lo, s0
	s_cbranch_vccnz .LBB119_2609
; %bb.2608:
	global_load_u8 v3, v[14:15], off
	s_and_not1_b32 s0, s1, exec_lo
	s_waitcnt vmcnt(0)
	v_lshlrev_b32_e32 v9, 25, v3
	v_lshlrev_b32_e32 v3, 8, v3
	s_delay_alu instid0(VALU_DEP_2) | instskip(NEXT) | instid1(VALU_DEP_2)
	v_lshrrev_b32_e32 v17, 4, v9
	v_and_or_b32 v3, 0x7f00, v3, 0.5
	v_cmp_gt_u32_e32 vcc_lo, 0x8000000, v9
	s_delay_alu instid0(VALU_DEP_3) | instskip(NEXT) | instid1(VALU_DEP_3)
	v_or_b32_e32 v17, 0x70000000, v17
	v_add_f32_e32 v3, -0.5, v3
	s_delay_alu instid0(VALU_DEP_2) | instskip(NEXT) | instid1(VALU_DEP_1)
	v_mul_f32_e32 v17, 0x7800000, v17
	v_cndmask_b32_e32 v3, v17, v3, vcc_lo
	s_delay_alu instid0(VALU_DEP_1) | instskip(SKIP_1) | instid1(SALU_CYCLE_1)
	v_cmp_neq_f32_e32 vcc_lo, 0, v3
	s_and_b32 s1, vcc_lo, exec_lo
	s_or_b32 s1, s0, s1
.LBB119_2609:
	s_mov_b32 s0, 0
	s_mov_b32 s3, -1
.LBB119_2610:
	s_and_not1_b32 vcc_lo, exec_lo, s0
	s_mov_b32 s0, 0
	s_cbranch_vccnz .LBB119_2621
; %bb.2611:
	v_cmp_lt_i16_e32 vcc_lo, 14, v16
	s_cbranch_vccz .LBB119_2614
; %bb.2612:
	v_cmp_eq_u16_e32 vcc_lo, 15, v16
	s_cbranch_vccz .LBB119_2617
; %bb.2613:
	global_load_u16 v3, v[14:15], off
	s_mov_b32 s2, 0
	s_mov_b32 s3, -1
	s_waitcnt vmcnt(0)
	v_and_b32_e32 v3, 0x7fff, v3
	s_delay_alu instid0(VALU_DEP_1)
	v_cmp_ne_u16_e32 vcc_lo, 0, v3
	s_and_b32 s1, vcc_lo, exec_lo
	s_branch .LBB119_2619
.LBB119_2614:
	s_mov_b32 s0, -1
	s_branch .LBB119_2618
.LBB119_2615:
	s_and_not1_saveexec_b32 s3, s3
	s_cbranch_execz .LBB119_2596
.LBB119_2616:
	v_cmp_ne_u16_e32 vcc_lo, 0, v3
	s_and_not1_b32 s0, s0, exec_lo
	s_and_not1_b32 s1, s1, exec_lo
	s_and_b32 s6, vcc_lo, exec_lo
	s_delay_alu instid0(SALU_CYCLE_1)
	s_or_b32 s0, s0, s6
	s_or_b32 exec_lo, exec_lo, s3
	s_and_saveexec_b32 s3, s0
	s_cbranch_execnz .LBB119_2597
	s_branch .LBB119_2598
.LBB119_2617:
	s_mov_b32 s2, -1
.LBB119_2618:
                                        ; implicit-def: $sgpr1
.LBB119_2619:
	s_and_b32 vcc_lo, exec_lo, s0
	s_mov_b32 s0, 0
	s_cbranch_vccz .LBB119_2621
; %bb.2620:
	v_cmp_ne_u16_e64 s2, 11, v16
	s_mov_b32 s0, -1
	s_and_not1_b32 s1, s1, exec_lo
.LBB119_2621:
	s_delay_alu instid0(VALU_DEP_1)
	s_and_b32 vcc_lo, exec_lo, s2
	s_cbranch_vccnz .LBB119_2684
; %bb.2622:
	s_and_not1_b32 vcc_lo, exec_lo, s0
	s_cbranch_vccnz .LBB119_2624
.LBB119_2623:
	global_load_u8 v3, v[14:15], off
	s_and_not1_b32 s0, s1, exec_lo
	s_mov_b32 s3, -1
	s_waitcnt vmcnt(0)
	v_cmp_ne_u16_e32 vcc_lo, 0, v3
	s_and_b32 s1, vcc_lo, exec_lo
	s_delay_alu instid0(SALU_CYCLE_1)
	s_or_b32 s1, s0, s1
.LBB119_2624:
	s_mov_b32 s0, 0
.LBB119_2625:
	s_delay_alu instid0(SALU_CYCLE_1)
	s_and_b32 vcc_lo, exec_lo, s0
	s_cbranch_vccz .LBB119_2674
; %bb.2626:
	v_cmp_gt_i16_e32 vcc_lo, 5, v16
	s_cbranch_vccnz .LBB119_2631
; %bb.2627:
	v_cmp_gt_i16_e32 vcc_lo, 8, v16
	s_cbranch_vccnz .LBB119_2632
	;; [unrolled: 3-line block ×3, first 2 shown]
; %bb.2629:
	v_cmp_lt_i16_e32 vcc_lo, 9, v16
	s_cbranch_vccz .LBB119_2634
; %bb.2630:
	global_load_b128 v[17:20], v[14:15], off
	s_waitcnt vmcnt(0)
	v_cmp_neq_f64_e32 vcc_lo, 0, v[17:18]
	v_cmp_neq_f64_e64 s0, 0, v[19:20]
	s_delay_alu instid0(VALU_DEP_1)
	s_or_b32 s1, vcc_lo, s0
	s_mov_b32 s0, 0
	s_and_b32 s1, s1, exec_lo
	s_branch .LBB119_2635
.LBB119_2631:
	s_mov_b32 s0, -1
                                        ; implicit-def: $sgpr1
	s_branch .LBB119_2653
.LBB119_2632:
	s_mov_b32 s0, -1
                                        ; implicit-def: $sgpr1
	s_branch .LBB119_2641
.LBB119_2633:
	s_mov_b32 s0, -1
                                        ; implicit-def: $sgpr1
	s_branch .LBB119_2638
.LBB119_2634:
	s_mov_b32 s0, -1
                                        ; implicit-def: $sgpr1
.LBB119_2635:
	s_delay_alu instid0(SALU_CYCLE_1)
	s_and_not1_b32 vcc_lo, exec_lo, s0
	s_cbranch_vccnz .LBB119_2637
; %bb.2636:
	global_load_b64 v[17:18], v[14:15], off
	s_and_not1_b32 s0, s1, exec_lo
	s_waitcnt vmcnt(0)
	v_or_b32_e32 v3, v17, v18
	s_delay_alu instid0(VALU_DEP_1) | instskip(NEXT) | instid1(VALU_DEP_1)
	v_and_b32_e32 v3, 0x7fffffff, v3
	v_cmp_ne_u32_e32 vcc_lo, 0, v3
	s_and_b32 s1, vcc_lo, exec_lo
	s_delay_alu instid0(SALU_CYCLE_1)
	s_or_b32 s1, s0, s1
.LBB119_2637:
	s_mov_b32 s0, 0
.LBB119_2638:
	s_delay_alu instid0(SALU_CYCLE_1)
	s_and_not1_b32 vcc_lo, exec_lo, s0
	s_cbranch_vccnz .LBB119_2640
; %bb.2639:
	global_load_b32 v3, v[14:15], off
	s_and_not1_b32 s0, s1, exec_lo
	s_waitcnt vmcnt(0)
	v_and_b32_e32 v3, 0x7fff7fff, v3
	s_delay_alu instid0(VALU_DEP_1) | instskip(SKIP_1) | instid1(SALU_CYCLE_1)
	v_cmp_ne_u32_e32 vcc_lo, 0, v3
	s_and_b32 s1, vcc_lo, exec_lo
	s_or_b32 s1, s0, s1
.LBB119_2640:
	s_mov_b32 s0, 0
.LBB119_2641:
	s_delay_alu instid0(SALU_CYCLE_1)
	s_and_not1_b32 vcc_lo, exec_lo, s0
	s_cbranch_vccnz .LBB119_2652
; %bb.2642:
	v_cmp_gt_i16_e32 vcc_lo, 6, v16
	s_cbranch_vccnz .LBB119_2645
; %bb.2643:
	v_cmp_lt_i16_e32 vcc_lo, 6, v16
	s_cbranch_vccz .LBB119_2646
; %bb.2644:
	global_load_b64 v[17:18], v[14:15], off
	s_mov_b32 s0, 0
	s_waitcnt vmcnt(0)
	v_cmp_neq_f64_e32 vcc_lo, 0, v[17:18]
	s_and_b32 s1, vcc_lo, exec_lo
	s_branch .LBB119_2647
.LBB119_2645:
	s_mov_b32 s0, -1
                                        ; implicit-def: $sgpr1
	s_branch .LBB119_2650
.LBB119_2646:
	s_mov_b32 s0, -1
                                        ; implicit-def: $sgpr1
.LBB119_2647:
	s_delay_alu instid0(SALU_CYCLE_1)
	s_and_not1_b32 vcc_lo, exec_lo, s0
	s_cbranch_vccnz .LBB119_2649
; %bb.2648:
	global_load_b32 v3, v[14:15], off
	s_and_not1_b32 s0, s1, exec_lo
	s_waitcnt vmcnt(0)
	v_cmp_neq_f32_e32 vcc_lo, 0, v3
	s_and_b32 s1, vcc_lo, exec_lo
	s_delay_alu instid0(SALU_CYCLE_1)
	s_or_b32 s1, s0, s1
.LBB119_2649:
	s_mov_b32 s0, 0
.LBB119_2650:
	s_delay_alu instid0(SALU_CYCLE_1)
	s_and_not1_b32 vcc_lo, exec_lo, s0
	s_cbranch_vccnz .LBB119_2652
; %bb.2651:
	global_load_u16 v3, v[14:15], off
	s_and_not1_b32 s0, s1, exec_lo
	s_waitcnt vmcnt(0)
	v_and_b32_e32 v3, 0x7fff, v3
	s_delay_alu instid0(VALU_DEP_1) | instskip(SKIP_1) | instid1(SALU_CYCLE_1)
	v_cmp_ne_u16_e32 vcc_lo, 0, v3
	s_and_b32 s1, vcc_lo, exec_lo
	s_or_b32 s1, s0, s1
.LBB119_2652:
	s_mov_b32 s0, 0
.LBB119_2653:
	s_delay_alu instid0(SALU_CYCLE_1)
	s_and_not1_b32 vcc_lo, exec_lo, s0
	s_cbranch_vccnz .LBB119_2673
; %bb.2654:
	v_cmp_gt_i16_e32 vcc_lo, 2, v16
	s_cbranch_vccnz .LBB119_2658
; %bb.2655:
	v_cmp_gt_i16_e32 vcc_lo, 3, v16
	s_cbranch_vccnz .LBB119_2659
; %bb.2656:
	v_cmp_lt_i16_e32 vcc_lo, 3, v16
	s_cbranch_vccz .LBB119_2660
; %bb.2657:
	global_load_b64 v[17:18], v[14:15], off
	s_mov_b32 s0, 0
	s_waitcnt vmcnt(0)
	v_cmp_ne_u64_e32 vcc_lo, 0, v[17:18]
	s_and_b32 s1, vcc_lo, exec_lo
	s_branch .LBB119_2661
.LBB119_2658:
	s_mov_b32 s0, -1
                                        ; implicit-def: $sgpr1
	s_branch .LBB119_2667
.LBB119_2659:
	s_mov_b32 s0, -1
                                        ; implicit-def: $sgpr1
	s_branch .LBB119_2664
.LBB119_2660:
	s_mov_b32 s0, -1
                                        ; implicit-def: $sgpr1
.LBB119_2661:
	s_delay_alu instid0(SALU_CYCLE_1)
	s_and_not1_b32 vcc_lo, exec_lo, s0
	s_cbranch_vccnz .LBB119_2663
; %bb.2662:
	global_load_b32 v3, v[14:15], off
	s_and_not1_b32 s0, s1, exec_lo
	s_waitcnt vmcnt(0)
	v_cmp_ne_u32_e32 vcc_lo, 0, v3
	s_and_b32 s1, vcc_lo, exec_lo
	s_delay_alu instid0(SALU_CYCLE_1)
	s_or_b32 s1, s0, s1
.LBB119_2663:
	s_mov_b32 s0, 0
.LBB119_2664:
	s_delay_alu instid0(SALU_CYCLE_1)
	s_and_not1_b32 vcc_lo, exec_lo, s0
	s_cbranch_vccnz .LBB119_2666
; %bb.2665:
	global_load_u16 v3, v[14:15], off
	s_and_not1_b32 s0, s1, exec_lo
	s_waitcnt vmcnt(0)
	v_cmp_ne_u16_e32 vcc_lo, 0, v3
	s_and_b32 s1, vcc_lo, exec_lo
	s_delay_alu instid0(SALU_CYCLE_1)
	s_or_b32 s1, s0, s1
.LBB119_2666:
	s_mov_b32 s0, 0
.LBB119_2667:
	s_delay_alu instid0(SALU_CYCLE_1)
	s_and_not1_b32 vcc_lo, exec_lo, s0
	s_cbranch_vccnz .LBB119_2673
; %bb.2668:
	v_cmp_lt_i16_e32 vcc_lo, 0, v16
	s_mov_b32 s0, 0
	s_cbranch_vccz .LBB119_2670
; %bb.2669:
	global_load_u8 v3, v[14:15], off
	s_waitcnt vmcnt(0)
	v_cmp_ne_u16_e32 vcc_lo, 0, v3
	s_and_b32 s1, vcc_lo, exec_lo
	s_branch .LBB119_2671
.LBB119_2670:
	s_mov_b32 s0, -1
                                        ; implicit-def: $sgpr1
.LBB119_2671:
	s_delay_alu instid0(SALU_CYCLE_1)
	s_and_not1_b32 vcc_lo, exec_lo, s0
	s_cbranch_vccnz .LBB119_2673
; %bb.2672:
	global_load_u8 v3, v[14:15], off
	s_and_not1_b32 s0, s1, exec_lo
	s_waitcnt vmcnt(0)
	v_cmp_ne_u16_e32 vcc_lo, 0, v3
	s_and_b32 s1, vcc_lo, exec_lo
	s_delay_alu instid0(SALU_CYCLE_1)
	s_or_b32 s1, s0, s1
.LBB119_2673:
	s_mov_b32 s3, -1
.LBB119_2674:
	s_delay_alu instid0(SALU_CYCLE_1)
	s_and_not1_b32 vcc_lo, exec_lo, s3
	s_cbranch_vccnz .LBB119_3064
; %bb.2675:
	v_cndmask_b32_e64 v3, 0, 1, s11
	s_clause 0x1
	s_load_b64 s[2:3], s[20:21], 0x1a0
	s_load_b32 s0, s[20:21], 0x1a8
	s_mov_b32 s11, 0
	v_cvt_f64_u32_e32 v[14:15], v3
	s_waitcnt lgkmcnt(0)
	s_and_b32 s6, s0, 0xff
	s_delay_alu instid0(SALU_CYCLE_1) | instskip(NEXT) | instid1(VALU_DEP_1)
	v_cmp_lt_i16_e64 s0, s6, 11
	s_and_b32 vcc_lo, exec_lo, s0
	s_mov_b32 s0, -1
	s_waitcnt vmcnt(0)
	s_delay_alu instid0(VALU_DEP_2) | instskip(SKIP_1) | instid1(VALU_DEP_1)
	v_mul_f64 v[0:1], v[0:1], v[14:15]
	v_add_co_u32 v14, s7, s4, v2
	v_add_co_ci_u32_e64 v15, null, s5, 0, s7
	s_delay_alu instid0(VALU_DEP_3)
	v_mul_f64 v[0:1], s[2:3], v[0:1]
	s_cbranch_vccnz .LBB119_2758
; %bb.2676:
	v_cmp_gt_i16_e64 s0, s6, 25
	s_mov_b32 s14, -1
	s_mov_b32 s7, 0
	s_delay_alu instid0(VALU_DEP_1)
	s_and_b32 vcc_lo, exec_lo, s0
	s_mov_b32 s0, 0
	s_cbranch_vccz .LBB119_2714
; %bb.2677:
	v_cmp_gt_i16_e64 s0, s6, 28
	s_delay_alu instid0(VALU_DEP_1)
	s_and_b32 vcc_lo, exec_lo, s0
	s_cbranch_vccz .LBB119_2682
; %bb.2678:
	v_cmp_gt_i16_e64 s0, s6, 43
	s_delay_alu instid0(VALU_DEP_1)
	s_and_b32 vcc_lo, exec_lo, s0
	s_cbranch_vccz .LBB119_2683
; %bb.2679:
	v_cmp_gt_i16_e64 s0, s6, 45
	s_delay_alu instid0(VALU_DEP_1)
	s_and_b32 vcc_lo, exec_lo, s0
	s_cbranch_vccz .LBB119_2686
; %bb.2680:
	v_cmp_eq_u16_e64 s11, s6, 46
	s_mov_b32 s0, -1
	s_mov_b32 s14, 0
	s_delay_alu instid0(VALU_DEP_1)
	s_and_b32 vcc_lo, exec_lo, s11
	s_mov_b32 s11, 0
	s_cbranch_vccz .LBB119_2687
; %bb.2681:
	v_cvt_f32_f64_e32 v2, v[0:1]
	s_mov_b32 s0, 0
	s_mov_b32 s11, -1
	s_delay_alu instid0(VALU_DEP_1) | instskip(SKIP_1) | instid1(VALU_DEP_2)
	v_bfe_u32 v3, v2, 16, 1
	v_cmp_o_f32_e32 vcc_lo, v2, v2
	v_add3_u32 v3, v2, v3, 0x7fff
	s_delay_alu instid0(VALU_DEP_1) | instskip(NEXT) | instid1(VALU_DEP_1)
	v_lshrrev_b32_e32 v3, 16, v3
	v_cndmask_b32_e32 v2, 0x7fc0, v3, vcc_lo
	global_store_b32 v[14:15], v2, off
	s_branch .LBB119_2687
.LBB119_2682:
	s_mov_b32 s0, 0
	s_branch .LBB119_2697
.LBB119_2683:
	s_mov_b32 s0, 0
	s_branch .LBB119_2693
.LBB119_2684:
	s_cbranch_execnz .LBB119_2809
; %bb.2685:
	s_mov_b32 s3, 0
	s_and_not1_b32 s1, s1, exec_lo
	s_or_b32 s10, s10, exec_lo
	s_cbranch_execz .LBB119_2623
	s_branch .LBB119_2624
.LBB119_2686:
	s_mov_b32 s0, 0
.LBB119_2687:
	s_and_b32 vcc_lo, exec_lo, s14
	s_cbranch_vccz .LBB119_2692
; %bb.2688:
	v_cmp_eq_u16_e64 s0, s6, 44
	s_delay_alu instid0(VALU_DEP_1)
	s_and_b32 vcc_lo, exec_lo, s0
	s_mov_b32 s0, -1
	s_cbranch_vccz .LBB119_2692
; %bb.2689:
	v_cvt_f32_f64_e32 v2, v[0:1]
	v_mov_b32_e32 v3, 0xff
	s_mov_b32 s11, exec_lo
	s_delay_alu instid0(VALU_DEP_2) | instskip(NEXT) | instid1(VALU_DEP_1)
	v_bfe_u32 v9, v2, 23, 8
	v_cmpx_ne_u32_e32 0xff, v9
; %bb.2690:
	v_and_b32_e32 v3, 0x400000, v2
	v_and_or_b32 v9, 0x3fffff, v2, v9
	v_lshrrev_b32_e32 v2, 23, v2
	s_delay_alu instid0(VALU_DEP_3) | instskip(NEXT) | instid1(VALU_DEP_3)
	v_cmp_ne_u32_e32 vcc_lo, 0, v3
	v_cmp_ne_u32_e64 s0, 0, v9
	s_delay_alu instid0(VALU_DEP_1) | instskip(NEXT) | instid1(SALU_CYCLE_1)
	s_and_b32 s0, vcc_lo, s0
	v_cndmask_b32_e64 v3, 0, 1, s0
	s_delay_alu instid0(VALU_DEP_1)
	v_add_nc_u32_e32 v3, v2, v3
; %bb.2691:
	s_or_b32 exec_lo, exec_lo, s11
	s_mov_b32 s0, 0
	s_mov_b32 s11, -1
	global_store_b8 v[14:15], v3, off
.LBB119_2692:
	s_mov_b32 s14, 0
.LBB119_2693:
	s_delay_alu instid0(SALU_CYCLE_1)
	s_and_b32 vcc_lo, exec_lo, s14
	s_cbranch_vccz .LBB119_2696
; %bb.2694:
	v_cmp_eq_u16_e64 s0, s6, 29
	s_delay_alu instid0(VALU_DEP_1)
	s_and_b32 vcc_lo, exec_lo, s0
	s_mov_b32 s0, -1
	s_cbranch_vccz .LBB119_2696
; %bb.2695:
	v_trunc_f64_e32 v[2:3], v[0:1]
	s_mov_b32 s0, 0
	s_mov_b32 s11, -1
	s_mov_b32 s14, 0
	s_delay_alu instid0(VALU_DEP_1) | instskip(NEXT) | instid1(VALU_DEP_1)
	v_ldexp_f64 v[16:17], v[2:3], 0xffffffe0
	v_floor_f64_e32 v[16:17], v[16:17]
	s_delay_alu instid0(VALU_DEP_1) | instskip(SKIP_1) | instid1(VALU_DEP_2)
	v_fma_f64 v[2:3], 0xc1f00000, v[16:17], v[2:3]
	v_cvt_u32_f64_e32 v17, v[16:17]
	v_cvt_u32_f64_e32 v16, v[2:3]
	global_store_b64 v[14:15], v[16:17], off
	s_branch .LBB119_2697
.LBB119_2696:
	s_mov_b32 s14, 0
.LBB119_2697:
	s_delay_alu instid0(SALU_CYCLE_1)
	s_and_b32 vcc_lo, exec_lo, s14
	s_cbranch_vccz .LBB119_2713
; %bb.2698:
	v_cmp_lt_i16_e64 s11, s6, 27
	s_delay_alu instid0(VALU_DEP_1)
	s_and_b32 vcc_lo, exec_lo, s11
	s_mov_b32 s11, -1
	s_cbranch_vccnz .LBB119_2704
; %bb.2699:
	s_delay_alu instid0(VALU_DEP_4) | instskip(SKIP_1) | instid1(VALU_DEP_1)
	v_cvt_u32_f64_e32 v2, v[0:1]
	v_cmp_gt_i16_e64 s11, s6, 27
	s_and_b32 vcc_lo, exec_lo, s11
	s_mov_b32 s11, -1
	s_cbranch_vccz .LBB119_2701
; %bb.2700:
	s_mov_b32 s11, 0
	global_store_b32 v[14:15], v2, off
.LBB119_2701:
	s_and_not1_b32 vcc_lo, exec_lo, s11
	s_cbranch_vccnz .LBB119_2703
; %bb.2702:
	global_store_b16 v[14:15], v2, off
.LBB119_2703:
	s_mov_b32 s11, 0
.LBB119_2704:
	s_delay_alu instid0(SALU_CYCLE_1)
	s_and_not1_b32 vcc_lo, exec_lo, s11
	s_cbranch_vccnz .LBB119_2712
; %bb.2705:
	s_delay_alu instid0(VALU_DEP_4) | instskip(SKIP_2) | instid1(VALU_DEP_2)
	v_cvt_f32_f64_e32 v2, v[0:1]
	v_mov_b32_e32 v9, 0x80
	s_mov_b32 s11, exec_lo
	v_and_b32_e32 v3, 0x7fffffff, v2
	s_delay_alu instid0(VALU_DEP_1)
	v_cmpx_gt_u32_e32 0x43800000, v3
	s_cbranch_execz .LBB119_2711
; %bb.2706:
	v_cmp_lt_u32_e32 vcc_lo, 0x3bffffff, v3
	s_mov_b32 s14, 0
                                        ; implicit-def: $vgpr3
	s_and_saveexec_b32 s15, vcc_lo
	s_delay_alu instid0(SALU_CYCLE_1)
	s_xor_b32 s15, exec_lo, s15
	s_cbranch_execz .LBB119_2806
; %bb.2707:
	v_bfe_u32 v3, v2, 20, 1
	s_mov_b32 s14, exec_lo
	s_delay_alu instid0(VALU_DEP_1) | instskip(NEXT) | instid1(VALU_DEP_1)
	v_add3_u32 v3, v2, v3, 0x487ffff
	v_lshrrev_b32_e32 v3, 20, v3
	s_or_saveexec_b32 s15, s15
                                        ; implicit-def: $sgpr16
	s_delay_alu instid0(SALU_CYCLE_1)
	s_xor_b32 exec_lo, exec_lo, s15
	s_cbranch_execnz .LBB119_2807
.LBB119_2708:
	s_or_b32 exec_lo, exec_lo, s15
	v_mov_b32_e32 v9, s16
	s_and_saveexec_b32 s15, s14
.LBB119_2709:
	v_lshrrev_b32_e32 v2, 24, v2
	s_delay_alu instid0(VALU_DEP_1)
	v_and_or_b32 v9, 0x80, v2, v3
.LBB119_2710:
	s_or_b32 exec_lo, exec_lo, s15
.LBB119_2711:
	s_delay_alu instid0(SALU_CYCLE_1)
	s_or_b32 exec_lo, exec_lo, s11
	global_store_b8 v[14:15], v9, off
.LBB119_2712:
	s_mov_b32 s11, -1
.LBB119_2713:
	s_mov_b32 s14, 0
.LBB119_2714:
	s_delay_alu instid0(SALU_CYCLE_1)
	s_and_b32 vcc_lo, exec_lo, s14
	s_cbranch_vccz .LBB119_2754
; %bb.2715:
	v_cmp_gt_i16_e64 s7, s6, 22
	s_delay_alu instid0(VALU_DEP_1)
	s_and_b32 vcc_lo, exec_lo, s7
	s_mov_b32 s7, -1
	s_cbranch_vccz .LBB119_2747
; %bb.2716:
	v_cmp_lt_i16_e64 s7, s6, 24
	s_delay_alu instid0(VALU_DEP_1)
	s_and_b32 vcc_lo, exec_lo, s7
	s_mov_b32 s7, -1
	s_cbranch_vccnz .LBB119_2736
; %bb.2717:
	v_cmp_gt_i16_e64 s7, s6, 24
	s_delay_alu instid0(VALU_DEP_1)
	s_and_b32 vcc_lo, exec_lo, s7
	s_mov_b32 s7, -1
	s_cbranch_vccz .LBB119_2725
; %bb.2718:
	v_cvt_f32_f64_e32 v2, v[0:1]
	v_mov_b32_e32 v9, 0x80
	s_mov_b32 s7, exec_lo
	s_delay_alu instid0(VALU_DEP_2) | instskip(NEXT) | instid1(VALU_DEP_1)
	v_and_b32_e32 v3, 0x7fffffff, v2
	v_cmpx_gt_u32_e32 0x47800000, v3
	s_cbranch_execz .LBB119_2724
; %bb.2719:
	v_cmp_lt_u32_e32 vcc_lo, 0x37ffffff, v3
	s_mov_b32 s11, 0
                                        ; implicit-def: $vgpr3
	s_and_saveexec_b32 s14, vcc_lo
	s_delay_alu instid0(SALU_CYCLE_1)
	s_xor_b32 s14, exec_lo, s14
	s_cbranch_execz .LBB119_2813
; %bb.2720:
	v_bfe_u32 v3, v2, 21, 1
	s_mov_b32 s11, exec_lo
	s_delay_alu instid0(VALU_DEP_1) | instskip(NEXT) | instid1(VALU_DEP_1)
	v_add3_u32 v3, v2, v3, 0x88fffff
	v_lshrrev_b32_e32 v3, 21, v3
	s_or_saveexec_b32 s14, s14
                                        ; implicit-def: $sgpr15
	s_delay_alu instid0(SALU_CYCLE_1)
	s_xor_b32 exec_lo, exec_lo, s14
	s_cbranch_execnz .LBB119_2814
.LBB119_2721:
	s_or_b32 exec_lo, exec_lo, s14
	v_mov_b32_e32 v9, s15
	s_and_saveexec_b32 s14, s11
.LBB119_2722:
	v_lshrrev_b32_e32 v2, 24, v2
	s_delay_alu instid0(VALU_DEP_1)
	v_and_or_b32 v9, 0x80, v2, v3
.LBB119_2723:
	s_or_b32 exec_lo, exec_lo, s14
.LBB119_2724:
	s_delay_alu instid0(SALU_CYCLE_1)
	s_or_b32 exec_lo, exec_lo, s7
	s_mov_b32 s7, 0
	global_store_b8 v[14:15], v9, off
.LBB119_2725:
	s_and_b32 vcc_lo, exec_lo, s7
	s_cbranch_vccz .LBB119_2735
; %bb.2726:
	v_cvt_f32_f64_e32 v2, v[0:1]
	s_mov_b32 s7, exec_lo
                                        ; implicit-def: $vgpr3
	s_delay_alu instid0(VALU_DEP_1) | instskip(NEXT) | instid1(VALU_DEP_1)
	v_and_b32_e32 v9, 0x7fffffff, v2
	v_cmpx_gt_u32_e32 0x43f00000, v9
	s_xor_b32 s7, exec_lo, s7
	s_cbranch_execz .LBB119_2732
; %bb.2727:
	s_mov_b32 s11, exec_lo
                                        ; implicit-def: $vgpr3
	v_cmpx_lt_u32_e32 0x3c7fffff, v9
	s_xor_b32 s11, exec_lo, s11
; %bb.2728:
	v_bfe_u32 v3, v2, 20, 1
	s_delay_alu instid0(VALU_DEP_1) | instskip(NEXT) | instid1(VALU_DEP_1)
	v_add3_u32 v3, v2, v3, 0x407ffff
	v_and_b32_e32 v9, 0xff00000, v3
	v_lshrrev_b32_e32 v3, 20, v3
	s_delay_alu instid0(VALU_DEP_2) | instskip(NEXT) | instid1(VALU_DEP_2)
	v_cmp_ne_u32_e32 vcc_lo, 0x7f00000, v9
	v_cndmask_b32_e32 v3, 0x7e, v3, vcc_lo
; %bb.2729:
	s_and_not1_saveexec_b32 s11, s11
; %bb.2730:
	v_add_f32_e64 v3, 0x46800000, |v2|
; %bb.2731:
	s_or_b32 exec_lo, exec_lo, s11
                                        ; implicit-def: $vgpr9
.LBB119_2732:
	s_and_not1_saveexec_b32 s7, s7
; %bb.2733:
	v_mov_b32_e32 v3, 0x7f
	v_cmp_lt_u32_e32 vcc_lo, 0x7f800000, v9
	s_delay_alu instid0(VALU_DEP_2)
	v_cndmask_b32_e32 v3, 0x7e, v3, vcc_lo
; %bb.2734:
	s_or_b32 exec_lo, exec_lo, s7
	v_lshrrev_b32_e32 v2, 24, v2
	s_delay_alu instid0(VALU_DEP_1)
	v_and_or_b32 v2, 0x80, v2, v3
	global_store_b8 v[14:15], v2, off
.LBB119_2735:
	s_mov_b32 s7, 0
.LBB119_2736:
	s_delay_alu instid0(SALU_CYCLE_1)
	s_and_not1_b32 vcc_lo, exec_lo, s7
	s_cbranch_vccnz .LBB119_2746
; %bb.2737:
	s_delay_alu instid0(VALU_DEP_4) | instskip(SKIP_1) | instid1(VALU_DEP_1)
	v_cvt_f32_f64_e32 v2, v[0:1]
	s_mov_b32 s7, exec_lo
                                        ; implicit-def: $vgpr3
	v_and_b32_e32 v9, 0x7fffffff, v2
	s_delay_alu instid0(VALU_DEP_1)
	v_cmpx_gt_u32_e32 0x47800000, v9
	s_xor_b32 s7, exec_lo, s7
	s_cbranch_execz .LBB119_2743
; %bb.2738:
	s_mov_b32 s11, exec_lo
                                        ; implicit-def: $vgpr3
	v_cmpx_lt_u32_e32 0x387fffff, v9
	s_xor_b32 s11, exec_lo, s11
; %bb.2739:
	v_bfe_u32 v3, v2, 21, 1
	s_delay_alu instid0(VALU_DEP_1) | instskip(NEXT) | instid1(VALU_DEP_1)
	v_add3_u32 v3, v2, v3, 0x80fffff
	v_lshrrev_b32_e32 v3, 21, v3
; %bb.2740:
	s_and_not1_saveexec_b32 s11, s11
; %bb.2741:
	v_add_f32_e64 v3, 0x43000000, |v2|
; %bb.2742:
	s_or_b32 exec_lo, exec_lo, s11
                                        ; implicit-def: $vgpr9
.LBB119_2743:
	s_and_not1_saveexec_b32 s7, s7
; %bb.2744:
	v_mov_b32_e32 v3, 0x7f
	v_cmp_lt_u32_e32 vcc_lo, 0x7f800000, v9
	s_delay_alu instid0(VALU_DEP_2)
	v_cndmask_b32_e32 v3, 0x7c, v3, vcc_lo
; %bb.2745:
	s_or_b32 exec_lo, exec_lo, s7
	v_lshrrev_b32_e32 v2, 24, v2
	s_delay_alu instid0(VALU_DEP_1)
	v_and_or_b32 v2, 0x80, v2, v3
	global_store_b8 v[14:15], v2, off
.LBB119_2746:
	s_mov_b32 s7, 0
	s_mov_b32 s11, -1
.LBB119_2747:
	s_and_not1_b32 vcc_lo, exec_lo, s7
	s_mov_b32 s7, 0
	s_cbranch_vccnz .LBB119_2754
; %bb.2748:
	v_cmp_gt_i16_e64 s7, s6, 14
	s_delay_alu instid0(VALU_DEP_1)
	s_and_b32 vcc_lo, exec_lo, s7
	s_mov_b32 s7, -1
	s_cbranch_vccz .LBB119_2752
; %bb.2749:
	v_cmp_eq_u16_e64 s0, s6, 15
	s_delay_alu instid0(VALU_DEP_1)
	s_and_b32 vcc_lo, exec_lo, s0
	s_mov_b32 s0, -1
	s_cbranch_vccz .LBB119_2751
; %bb.2750:
	v_cvt_f32_f64_e32 v2, v[0:1]
	s_mov_b32 s0, 0
	s_mov_b32 s11, -1
	s_delay_alu instid0(VALU_DEP_1) | instskip(SKIP_1) | instid1(VALU_DEP_2)
	v_bfe_u32 v3, v2, 16, 1
	v_cmp_o_f32_e32 vcc_lo, v2, v2
	v_add3_u32 v3, v2, v3, 0x7fff
	s_delay_alu instid0(VALU_DEP_1) | instskip(NEXT) | instid1(VALU_DEP_1)
	v_lshrrev_b32_e32 v3, 16, v3
	v_cndmask_b32_e32 v2, 0x7fc0, v3, vcc_lo
	global_store_b16 v[14:15], v2, off
.LBB119_2751:
	s_mov_b32 s7, 0
.LBB119_2752:
	s_delay_alu instid0(SALU_CYCLE_1)
	s_and_b32 vcc_lo, exec_lo, s7
	s_mov_b32 s7, 0
	s_cbranch_vccz .LBB119_2754
; %bb.2753:
	v_cmp_ne_u16_e64 s0, s6, 11
	s_mov_b32 s7, -1
.LBB119_2754:
	s_delay_alu instid0(VALU_DEP_1)
	s_and_b32 vcc_lo, exec_lo, s0
	s_cbranch_vccnz .LBB119_2811
; %bb.2755:
	s_and_not1_b32 vcc_lo, exec_lo, s7
	s_cbranch_vccnz .LBB119_2757
.LBB119_2756:
	s_delay_alu instid0(VALU_DEP_2)
	v_cmp_neq_f64_e32 vcc_lo, 0, v[0:1]
	s_mov_b32 s11, -1
	v_cndmask_b32_e64 v2, 0, 1, vcc_lo
	global_store_b8 v[14:15], v2, off
.LBB119_2757:
	s_mov_b32 s0, 0
.LBB119_2758:
	s_delay_alu instid0(SALU_CYCLE_1)
	s_and_b32 vcc_lo, exec_lo, s0
	s_cbranch_vccz .LBB119_2797
; %bb.2759:
	v_cmp_lt_i16_e64 s0, s6, 5
	s_delay_alu instid0(VALU_DEP_1)
	s_and_b32 vcc_lo, exec_lo, s0
	s_mov_b32 s0, -1
	s_cbranch_vccnz .LBB119_2780
; %bb.2760:
	v_cmp_lt_i16_e64 s0, s6, 8
	s_delay_alu instid0(VALU_DEP_1)
	s_and_b32 vcc_lo, exec_lo, s0
	s_mov_b32 s0, -1
	s_cbranch_vccnz .LBB119_2770
	;; [unrolled: 6-line block ×3, first 2 shown]
; %bb.2762:
	v_cmp_gt_i16_e64 s0, s6, 9
	s_delay_alu instid0(VALU_DEP_1)
	s_and_b32 vcc_lo, exec_lo, s0
	s_mov_b32 s0, -1
	s_cbranch_vccz .LBB119_2764
; %bb.2763:
	v_mov_b32_e32 v2, 0
	s_mov_b32 s0, 0
	s_delay_alu instid0(VALU_DEP_1)
	v_mov_b32_e32 v3, v2
	global_store_b128 v[14:15], v[0:3], off
.LBB119_2764:
	s_and_not1_b32 vcc_lo, exec_lo, s0
	s_cbranch_vccnz .LBB119_2766
; %bb.2765:
	v_cvt_f32_f64_e32 v2, v[0:1]
	v_mov_b32_e32 v3, 0
	global_store_b64 v[14:15], v[2:3], off
.LBB119_2766:
	s_mov_b32 s0, 0
.LBB119_2767:
	s_delay_alu instid0(SALU_CYCLE_1)
	s_and_not1_b32 vcc_lo, exec_lo, s0
	s_cbranch_vccnz .LBB119_2769
; %bb.2768:
	s_delay_alu instid0(VALU_DEP_4) | instskip(NEXT) | instid1(VALU_DEP_1)
	v_cvt_f32_f64_e32 v2, v[0:1]
	v_cvt_f16_f32_e32 v2, v2
	s_delay_alu instid0(VALU_DEP_1)
	v_and_b32_e32 v2, 0xffff, v2
	global_store_b32 v[14:15], v2, off
.LBB119_2769:
	s_mov_b32 s0, 0
.LBB119_2770:
	s_delay_alu instid0(SALU_CYCLE_1)
	s_and_not1_b32 vcc_lo, exec_lo, s0
	s_cbranch_vccnz .LBB119_2779
; %bb.2771:
	v_cmp_lt_i16_e64 s0, s6, 6
	s_delay_alu instid0(VALU_DEP_1)
	s_and_b32 vcc_lo, exec_lo, s0
	s_mov_b32 s0, -1
	s_cbranch_vccnz .LBB119_2777
; %bb.2772:
	v_cmp_gt_i16_e64 s0, s6, 6
	s_delay_alu instid0(VALU_DEP_1)
	s_and_b32 vcc_lo, exec_lo, s0
	s_mov_b32 s0, -1
	s_cbranch_vccz .LBB119_2774
; %bb.2773:
	s_mov_b32 s0, 0
	global_store_b64 v[14:15], v[0:1], off
.LBB119_2774:
	s_and_not1_b32 vcc_lo, exec_lo, s0
	s_cbranch_vccnz .LBB119_2776
; %bb.2775:
	v_cvt_f32_f64_e32 v2, v[0:1]
	global_store_b32 v[14:15], v2, off
.LBB119_2776:
	s_mov_b32 s0, 0
.LBB119_2777:
	s_delay_alu instid0(SALU_CYCLE_1)
	s_and_not1_b32 vcc_lo, exec_lo, s0
	s_cbranch_vccnz .LBB119_2779
; %bb.2778:
	s_delay_alu instid0(VALU_DEP_4) | instskip(NEXT) | instid1(VALU_DEP_1)
	v_cvt_f32_f64_e32 v2, v[0:1]
	v_cvt_f16_f32_e32 v2, v2
	global_store_b16 v[14:15], v2, off
.LBB119_2779:
	s_mov_b32 s0, 0
.LBB119_2780:
	s_delay_alu instid0(SALU_CYCLE_1)
	s_and_not1_b32 vcc_lo, exec_lo, s0
	s_cbranch_vccnz .LBB119_2796
; %bb.2781:
	v_cmp_lt_i16_e64 s0, s6, 2
	s_delay_alu instid0(VALU_DEP_1)
	s_and_b32 vcc_lo, exec_lo, s0
	s_mov_b32 s0, -1
	s_cbranch_vccnz .LBB119_2791
; %bb.2782:
	v_cmp_lt_i16_e64 s0, s6, 3
	s_delay_alu instid0(VALU_DEP_1)
	s_and_b32 vcc_lo, exec_lo, s0
	s_mov_b32 s0, -1
	s_cbranch_vccnz .LBB119_2788
; %bb.2783:
	v_cmp_gt_i16_e64 s0, s6, 3
	s_delay_alu instid0(VALU_DEP_1)
	s_and_b32 vcc_lo, exec_lo, s0
	s_mov_b32 s0, -1
	s_cbranch_vccz .LBB119_2785
; %bb.2784:
	v_trunc_f64_e32 v[2:3], v[0:1]
	s_mov_b32 s0, 0
	s_delay_alu instid0(VALU_DEP_1) | instskip(NEXT) | instid1(VALU_DEP_1)
	v_ldexp_f64 v[16:17], v[2:3], 0xffffffe0
	v_floor_f64_e32 v[16:17], v[16:17]
	s_delay_alu instid0(VALU_DEP_1) | instskip(SKIP_1) | instid1(VALU_DEP_2)
	v_fma_f64 v[2:3], 0xc1f00000, v[16:17], v[2:3]
	v_cvt_i32_f64_e32 v17, v[16:17]
	v_cvt_u32_f64_e32 v16, v[2:3]
	global_store_b64 v[14:15], v[16:17], off
.LBB119_2785:
	s_and_not1_b32 vcc_lo, exec_lo, s0
	s_cbranch_vccnz .LBB119_2787
; %bb.2786:
	v_cvt_i32_f64_e32 v2, v[0:1]
	global_store_b32 v[14:15], v2, off
.LBB119_2787:
	s_mov_b32 s0, 0
.LBB119_2788:
	s_delay_alu instid0(SALU_CYCLE_1)
	s_and_not1_b32 vcc_lo, exec_lo, s0
	s_cbranch_vccnz .LBB119_2790
; %bb.2789:
	s_delay_alu instid0(VALU_DEP_4)
	v_cvt_i32_f64_e32 v2, v[0:1]
	global_store_b16 v[14:15], v2, off
.LBB119_2790:
	s_mov_b32 s0, 0
.LBB119_2791:
	s_delay_alu instid0(SALU_CYCLE_1)
	s_and_not1_b32 vcc_lo, exec_lo, s0
	s_cbranch_vccnz .LBB119_2796
; %bb.2792:
	v_cmp_gt_i16_e64 s0, s6, 0
	s_delay_alu instid0(VALU_DEP_1)
	s_and_b32 vcc_lo, exec_lo, s0
	s_mov_b32 s0, -1
	s_cbranch_vccz .LBB119_2794
; %bb.2793:
	s_delay_alu instid0(VALU_DEP_4)
	v_cvt_i32_f64_e32 v2, v[0:1]
	s_mov_b32 s0, 0
	global_store_b8 v[14:15], v2, off
.LBB119_2794:
	s_and_not1_b32 vcc_lo, exec_lo, s0
	s_cbranch_vccnz .LBB119_2796
; %bb.2795:
	s_delay_alu instid0(VALU_DEP_4) | instskip(NEXT) | instid1(VALU_DEP_1)
	v_trunc_f64_e32 v[0:1], v[0:1]
	v_ldexp_f64 v[2:3], v[0:1], 0xffffffe0
	s_delay_alu instid0(VALU_DEP_1) | instskip(NEXT) | instid1(VALU_DEP_1)
	v_floor_f64_e32 v[2:3], v[2:3]
	v_fma_f64 v[0:1], 0xc1f00000, v[2:3], v[0:1]
	s_delay_alu instid0(VALU_DEP_1)
	v_cvt_u32_f64_e32 v0, v[0:1]
	global_store_b8 v[14:15], v0, off
.LBB119_2796:
	s_mov_b32 s11, -1
.LBB119_2797:
	s_delay_alu instid0(SALU_CYCLE_1)
	s_and_not1_b32 vcc_lo, exec_lo, s11
	s_cbranch_vccnz .LBB119_3064
; %bb.2798:
	v_cndmask_b32_e64 v0, 0, 1, s12
	v_cmp_lt_i16_e64 s0, s6, 11
	v_add_co_u32 v6, s7, s4, v6
	s_mov_b32 s11, 0
	s_delay_alu instid0(VALU_DEP_3) | instskip(NEXT) | instid1(VALU_DEP_3)
	v_cvt_f64_u32_e32 v[0:1], v0
	s_and_b32 vcc_lo, exec_lo, s0
	s_mov_b32 s0, -1
	s_delay_alu instid0(VALU_DEP_1) | instskip(SKIP_1) | instid1(VALU_DEP_2)
	v_mul_f64 v[0:1], v[7:8], v[0:1]
	v_add_co_ci_u32_e64 v7, null, s5, 0, s7
	v_mul_f64 v[0:1], s[2:3], v[0:1]
	s_cbranch_vccnz .LBB119_2887
; %bb.2799:
	v_cmp_gt_i16_e64 s0, s6, 25
	s_mov_b32 s12, -1
	s_mov_b32 s7, 0
	s_delay_alu instid0(VALU_DEP_1)
	s_and_b32 vcc_lo, exec_lo, s0
	s_mov_b32 s0, 0
	s_cbranch_vccz .LBB119_2843
; %bb.2800:
	v_cmp_gt_i16_e64 s0, s6, 28
	s_delay_alu instid0(VALU_DEP_1)
	s_and_b32 vcc_lo, exec_lo, s0
	s_cbranch_vccz .LBB119_2805
; %bb.2801:
	v_cmp_gt_i16_e64 s0, s6, 43
	s_delay_alu instid0(VALU_DEP_1)
	s_and_b32 vcc_lo, exec_lo, s0
	;; [unrolled: 5-line block ×3, first 2 shown]
	s_cbranch_vccz .LBB119_2815
; %bb.2803:
	v_cmp_eq_u16_e64 s11, s6, 46
	s_mov_b32 s0, -1
	s_mov_b32 s12, 0
	s_delay_alu instid0(VALU_DEP_1)
	s_and_b32 vcc_lo, exec_lo, s11
	s_mov_b32 s11, 0
	s_cbranch_vccz .LBB119_2816
; %bb.2804:
	v_cvt_f32_f64_e32 v2, v[0:1]
	s_mov_b32 s0, 0
	s_mov_b32 s11, -1
	s_delay_alu instid0(VALU_DEP_1) | instskip(SKIP_1) | instid1(VALU_DEP_2)
	v_bfe_u32 v3, v2, 16, 1
	v_cmp_o_f32_e32 vcc_lo, v2, v2
	v_add3_u32 v3, v2, v3, 0x7fff
	s_delay_alu instid0(VALU_DEP_1) | instskip(NEXT) | instid1(VALU_DEP_1)
	v_lshrrev_b32_e32 v3, 16, v3
	v_cndmask_b32_e32 v2, 0x7fc0, v3, vcc_lo
	global_store_b32 v[6:7], v2, off
	s_branch .LBB119_2816
.LBB119_2805:
	s_mov_b32 s0, 0
	s_branch .LBB119_2826
.LBB119_2806:
	s_or_saveexec_b32 s15, s15
                                        ; implicit-def: $sgpr16
	s_delay_alu instid0(SALU_CYCLE_1)
	s_xor_b32 exec_lo, exec_lo, s15
	s_cbranch_execz .LBB119_2708
.LBB119_2807:
	v_add_f32_e64 v3, 0x46000000, |v2|
	s_and_not1_b32 s14, s14, exec_lo
	s_mov_b32 s16, 0
	s_delay_alu instid0(VALU_DEP_1) | instskip(NEXT) | instid1(VALU_DEP_1)
	v_and_b32_e32 v3, 0xff, v3
	v_cmp_ne_u32_e32 vcc_lo, 0, v3
	s_and_b32 s17, vcc_lo, exec_lo
	s_delay_alu instid0(SALU_CYCLE_1)
	s_or_b32 s14, s14, s17
	s_or_b32 exec_lo, exec_lo, s15
	v_mov_b32_e32 v9, s16
	s_and_saveexec_b32 s15, s14
	s_cbranch_execnz .LBB119_2709
	s_branch .LBB119_2710
.LBB119_2808:
	s_mov_b32 s0, 0
	s_branch .LBB119_2822
.LBB119_2809:
	s_trap 2
	s_sendmsg_rtn_b32 s0, sendmsg(MSG_RTN_GET_DOORBELL)
	s_mov_b32 ttmp2, m0
	s_waitcnt lgkmcnt(0)
	s_and_b32 s0, s0, 0x3ff
	s_delay_alu instid0(SALU_CYCLE_1) | instskip(NEXT) | instid1(SALU_CYCLE_1)
	s_bitset1_b32 s0, 10
	s_mov_b32 m0, s0
	s_sendmsg sendmsg(MSG_INTERRUPT)
	s_mov_b32 m0, ttmp2
.LBB119_2810:                           ; =>This Inner Loop Header: Depth=1
	s_sethalt 5
	s_branch .LBB119_2810
.LBB119_2811:
	s_cbranch_execnz .LBB119_2938
; %bb.2812:
	s_or_b32 s10, s10, exec_lo
	s_cbranch_execz .LBB119_2756
	s_branch .LBB119_2757
.LBB119_2813:
	s_or_saveexec_b32 s14, s14
                                        ; implicit-def: $sgpr15
	s_delay_alu instid0(SALU_CYCLE_1)
	s_xor_b32 exec_lo, exec_lo, s14
	s_cbranch_execz .LBB119_2721
.LBB119_2814:
	v_add_f32_e64 v3, 0x42800000, |v2|
	s_and_not1_b32 s11, s11, exec_lo
	s_mov_b32 s15, 0
	s_delay_alu instid0(VALU_DEP_1) | instskip(NEXT) | instid1(VALU_DEP_1)
	v_and_b32_e32 v3, 0xff, v3
	v_cmp_ne_u32_e32 vcc_lo, 0, v3
	s_and_b32 s16, vcc_lo, exec_lo
	s_delay_alu instid0(SALU_CYCLE_1)
	s_or_b32 s11, s11, s16
	s_or_b32 exec_lo, exec_lo, s14
	v_mov_b32_e32 v9, s15
	s_and_saveexec_b32 s14, s11
	s_cbranch_execnz .LBB119_2722
	s_branch .LBB119_2723
.LBB119_2815:
	s_mov_b32 s0, 0
.LBB119_2816:
	s_and_b32 vcc_lo, exec_lo, s12
	s_cbranch_vccz .LBB119_2821
; %bb.2817:
	v_cmp_eq_u16_e64 s0, s6, 44
	s_delay_alu instid0(VALU_DEP_1)
	s_and_b32 vcc_lo, exec_lo, s0
	s_mov_b32 s0, -1
	s_cbranch_vccz .LBB119_2821
; %bb.2818:
	v_cvt_f32_f64_e32 v2, v[0:1]
	v_mov_b32_e32 v3, 0xff
	s_mov_b32 s11, exec_lo
	s_delay_alu instid0(VALU_DEP_2) | instskip(NEXT) | instid1(VALU_DEP_1)
	v_bfe_u32 v8, v2, 23, 8
	v_cmpx_ne_u32_e32 0xff, v8
; %bb.2819:
	v_and_b32_e32 v3, 0x400000, v2
	v_and_or_b32 v8, 0x3fffff, v2, v8
	v_lshrrev_b32_e32 v2, 23, v2
	s_delay_alu instid0(VALU_DEP_3) | instskip(NEXT) | instid1(VALU_DEP_3)
	v_cmp_ne_u32_e32 vcc_lo, 0, v3
	v_cmp_ne_u32_e64 s0, 0, v8
	s_delay_alu instid0(VALU_DEP_1) | instskip(NEXT) | instid1(SALU_CYCLE_1)
	s_and_b32 s0, vcc_lo, s0
	v_cndmask_b32_e64 v3, 0, 1, s0
	s_delay_alu instid0(VALU_DEP_1)
	v_add_nc_u32_e32 v3, v2, v3
; %bb.2820:
	s_or_b32 exec_lo, exec_lo, s11
	s_mov_b32 s0, 0
	s_mov_b32 s11, -1
	global_store_b8 v[6:7], v3, off
.LBB119_2821:
	s_mov_b32 s12, 0
.LBB119_2822:
	s_delay_alu instid0(SALU_CYCLE_1)
	s_and_b32 vcc_lo, exec_lo, s12
	s_cbranch_vccz .LBB119_2825
; %bb.2823:
	v_cmp_eq_u16_e64 s0, s6, 29
	s_delay_alu instid0(VALU_DEP_1)
	s_and_b32 vcc_lo, exec_lo, s0
	s_mov_b32 s0, -1
	s_cbranch_vccz .LBB119_2825
; %bb.2824:
	v_trunc_f64_e32 v[2:3], v[0:1]
	s_mov_b32 s0, 0
	s_mov_b32 s11, -1
	s_mov_b32 s12, 0
	s_delay_alu instid0(VALU_DEP_1) | instskip(NEXT) | instid1(VALU_DEP_1)
	v_ldexp_f64 v[8:9], v[2:3], 0xffffffe0
	v_floor_f64_e32 v[8:9], v[8:9]
	s_delay_alu instid0(VALU_DEP_1) | instskip(SKIP_1) | instid1(VALU_DEP_2)
	v_fma_f64 v[2:3], 0xc1f00000, v[8:9], v[2:3]
	v_cvt_u32_f64_e32 v9, v[8:9]
	v_cvt_u32_f64_e32 v8, v[2:3]
	global_store_b64 v[6:7], v[8:9], off
	s_branch .LBB119_2826
.LBB119_2825:
	s_mov_b32 s12, 0
.LBB119_2826:
	s_delay_alu instid0(SALU_CYCLE_1)
	s_and_b32 vcc_lo, exec_lo, s12
	s_cbranch_vccz .LBB119_2842
; %bb.2827:
	v_cmp_lt_i16_e64 s11, s6, 27
	s_delay_alu instid0(VALU_DEP_1)
	s_and_b32 vcc_lo, exec_lo, s11
	s_mov_b32 s11, -1
	s_cbranch_vccnz .LBB119_2833
; %bb.2828:
	s_delay_alu instid0(VALU_DEP_4) | instskip(SKIP_1) | instid1(VALU_DEP_1)
	v_cvt_u32_f64_e32 v2, v[0:1]
	v_cmp_gt_i16_e64 s11, s6, 27
	s_and_b32 vcc_lo, exec_lo, s11
	s_mov_b32 s11, -1
	s_cbranch_vccz .LBB119_2830
; %bb.2829:
	s_mov_b32 s11, 0
	global_store_b32 v[6:7], v2, off
.LBB119_2830:
	s_and_not1_b32 vcc_lo, exec_lo, s11
	s_cbranch_vccnz .LBB119_2832
; %bb.2831:
	global_store_b16 v[6:7], v2, off
.LBB119_2832:
	s_mov_b32 s11, 0
.LBB119_2833:
	s_delay_alu instid0(SALU_CYCLE_1)
	s_and_not1_b32 vcc_lo, exec_lo, s11
	s_cbranch_vccnz .LBB119_2841
; %bb.2834:
	s_delay_alu instid0(VALU_DEP_4) | instskip(SKIP_2) | instid1(VALU_DEP_2)
	v_cvt_f32_f64_e32 v2, v[0:1]
	v_mov_b32_e32 v8, 0x80
	s_mov_b32 s11, exec_lo
	v_and_b32_e32 v3, 0x7fffffff, v2
	s_delay_alu instid0(VALU_DEP_1)
	v_cmpx_gt_u32_e32 0x43800000, v3
	s_cbranch_execz .LBB119_2840
; %bb.2835:
	v_cmp_lt_u32_e32 vcc_lo, 0x3bffffff, v3
	s_mov_b32 s12, 0
                                        ; implicit-def: $vgpr3
	s_and_saveexec_b32 s14, vcc_lo
	s_delay_alu instid0(SALU_CYCLE_1)
	s_xor_b32 s14, exec_lo, s14
	s_cbranch_execz .LBB119_2935
; %bb.2836:
	v_bfe_u32 v3, v2, 20, 1
	s_mov_b32 s12, exec_lo
	s_delay_alu instid0(VALU_DEP_1) | instskip(NEXT) | instid1(VALU_DEP_1)
	v_add3_u32 v3, v2, v3, 0x487ffff
	v_lshrrev_b32_e32 v3, 20, v3
	s_or_saveexec_b32 s14, s14
                                        ; implicit-def: $sgpr15
	s_delay_alu instid0(SALU_CYCLE_1)
	s_xor_b32 exec_lo, exec_lo, s14
	s_cbranch_execnz .LBB119_2936
.LBB119_2837:
	s_or_b32 exec_lo, exec_lo, s14
	v_mov_b32_e32 v8, s15
	s_and_saveexec_b32 s14, s12
.LBB119_2838:
	v_lshrrev_b32_e32 v2, 24, v2
	s_delay_alu instid0(VALU_DEP_1)
	v_and_or_b32 v8, 0x80, v2, v3
.LBB119_2839:
	s_or_b32 exec_lo, exec_lo, s14
.LBB119_2840:
	s_delay_alu instid0(SALU_CYCLE_1)
	s_or_b32 exec_lo, exec_lo, s11
	global_store_b8 v[6:7], v8, off
.LBB119_2841:
	s_mov_b32 s11, -1
.LBB119_2842:
	s_mov_b32 s12, 0
.LBB119_2843:
	s_delay_alu instid0(SALU_CYCLE_1)
	s_and_b32 vcc_lo, exec_lo, s12
	s_cbranch_vccz .LBB119_2883
; %bb.2844:
	v_cmp_gt_i16_e64 s7, s6, 22
	s_delay_alu instid0(VALU_DEP_1)
	s_and_b32 vcc_lo, exec_lo, s7
	s_mov_b32 s7, -1
	s_cbranch_vccz .LBB119_2876
; %bb.2845:
	v_cmp_lt_i16_e64 s7, s6, 24
	s_delay_alu instid0(VALU_DEP_1)
	s_and_b32 vcc_lo, exec_lo, s7
	s_mov_b32 s7, -1
	s_cbranch_vccnz .LBB119_2865
; %bb.2846:
	v_cmp_gt_i16_e64 s7, s6, 24
	s_delay_alu instid0(VALU_DEP_1)
	s_and_b32 vcc_lo, exec_lo, s7
	s_mov_b32 s7, -1
	s_cbranch_vccz .LBB119_2854
; %bb.2847:
	v_cvt_f32_f64_e32 v2, v[0:1]
	v_mov_b32_e32 v8, 0x80
	s_mov_b32 s7, exec_lo
	s_delay_alu instid0(VALU_DEP_2) | instskip(NEXT) | instid1(VALU_DEP_1)
	v_and_b32_e32 v3, 0x7fffffff, v2
	v_cmpx_gt_u32_e32 0x47800000, v3
	s_cbranch_execz .LBB119_2853
; %bb.2848:
	v_cmp_lt_u32_e32 vcc_lo, 0x37ffffff, v3
	s_mov_b32 s11, 0
                                        ; implicit-def: $vgpr3
	s_and_saveexec_b32 s12, vcc_lo
	s_delay_alu instid0(SALU_CYCLE_1)
	s_xor_b32 s12, exec_lo, s12
	s_cbranch_execz .LBB119_2942
; %bb.2849:
	v_bfe_u32 v3, v2, 21, 1
	s_mov_b32 s11, exec_lo
	s_delay_alu instid0(VALU_DEP_1) | instskip(NEXT) | instid1(VALU_DEP_1)
	v_add3_u32 v3, v2, v3, 0x88fffff
	v_lshrrev_b32_e32 v3, 21, v3
	s_or_saveexec_b32 s12, s12
                                        ; implicit-def: $sgpr14
	s_delay_alu instid0(SALU_CYCLE_1)
	s_xor_b32 exec_lo, exec_lo, s12
	s_cbranch_execnz .LBB119_2943
.LBB119_2850:
	s_or_b32 exec_lo, exec_lo, s12
	v_mov_b32_e32 v8, s14
	s_and_saveexec_b32 s12, s11
.LBB119_2851:
	v_lshrrev_b32_e32 v2, 24, v2
	s_delay_alu instid0(VALU_DEP_1)
	v_and_or_b32 v8, 0x80, v2, v3
.LBB119_2852:
	s_or_b32 exec_lo, exec_lo, s12
.LBB119_2853:
	s_delay_alu instid0(SALU_CYCLE_1)
	s_or_b32 exec_lo, exec_lo, s7
	s_mov_b32 s7, 0
	global_store_b8 v[6:7], v8, off
.LBB119_2854:
	s_and_b32 vcc_lo, exec_lo, s7
	s_cbranch_vccz .LBB119_2864
; %bb.2855:
	v_cvt_f32_f64_e32 v2, v[0:1]
	s_mov_b32 s7, exec_lo
                                        ; implicit-def: $vgpr3
	s_delay_alu instid0(VALU_DEP_1) | instskip(NEXT) | instid1(VALU_DEP_1)
	v_and_b32_e32 v8, 0x7fffffff, v2
	v_cmpx_gt_u32_e32 0x43f00000, v8
	s_xor_b32 s7, exec_lo, s7
	s_cbranch_execz .LBB119_2861
; %bb.2856:
	s_mov_b32 s11, exec_lo
                                        ; implicit-def: $vgpr3
	v_cmpx_lt_u32_e32 0x3c7fffff, v8
	s_xor_b32 s11, exec_lo, s11
; %bb.2857:
	v_bfe_u32 v3, v2, 20, 1
	s_delay_alu instid0(VALU_DEP_1) | instskip(NEXT) | instid1(VALU_DEP_1)
	v_add3_u32 v3, v2, v3, 0x407ffff
	v_and_b32_e32 v8, 0xff00000, v3
	v_lshrrev_b32_e32 v3, 20, v3
	s_delay_alu instid0(VALU_DEP_2) | instskip(NEXT) | instid1(VALU_DEP_2)
	v_cmp_ne_u32_e32 vcc_lo, 0x7f00000, v8
	v_cndmask_b32_e32 v3, 0x7e, v3, vcc_lo
; %bb.2858:
	s_and_not1_saveexec_b32 s11, s11
; %bb.2859:
	v_add_f32_e64 v3, 0x46800000, |v2|
; %bb.2860:
	s_or_b32 exec_lo, exec_lo, s11
                                        ; implicit-def: $vgpr8
.LBB119_2861:
	s_and_not1_saveexec_b32 s7, s7
; %bb.2862:
	v_mov_b32_e32 v3, 0x7f
	v_cmp_lt_u32_e32 vcc_lo, 0x7f800000, v8
	s_delay_alu instid0(VALU_DEP_2)
	v_cndmask_b32_e32 v3, 0x7e, v3, vcc_lo
; %bb.2863:
	s_or_b32 exec_lo, exec_lo, s7
	v_lshrrev_b32_e32 v2, 24, v2
	s_delay_alu instid0(VALU_DEP_1)
	v_and_or_b32 v2, 0x80, v2, v3
	global_store_b8 v[6:7], v2, off
.LBB119_2864:
	s_mov_b32 s7, 0
.LBB119_2865:
	s_delay_alu instid0(SALU_CYCLE_1)
	s_and_not1_b32 vcc_lo, exec_lo, s7
	s_cbranch_vccnz .LBB119_2875
; %bb.2866:
	s_delay_alu instid0(VALU_DEP_4) | instskip(SKIP_1) | instid1(VALU_DEP_1)
	v_cvt_f32_f64_e32 v2, v[0:1]
	s_mov_b32 s7, exec_lo
                                        ; implicit-def: $vgpr3
	v_and_b32_e32 v8, 0x7fffffff, v2
	s_delay_alu instid0(VALU_DEP_1)
	v_cmpx_gt_u32_e32 0x47800000, v8
	s_xor_b32 s7, exec_lo, s7
	s_cbranch_execz .LBB119_2872
; %bb.2867:
	s_mov_b32 s11, exec_lo
                                        ; implicit-def: $vgpr3
	v_cmpx_lt_u32_e32 0x387fffff, v8
	s_xor_b32 s11, exec_lo, s11
; %bb.2868:
	v_bfe_u32 v3, v2, 21, 1
	s_delay_alu instid0(VALU_DEP_1) | instskip(NEXT) | instid1(VALU_DEP_1)
	v_add3_u32 v3, v2, v3, 0x80fffff
	v_lshrrev_b32_e32 v3, 21, v3
; %bb.2869:
	s_and_not1_saveexec_b32 s11, s11
; %bb.2870:
	v_add_f32_e64 v3, 0x43000000, |v2|
; %bb.2871:
	s_or_b32 exec_lo, exec_lo, s11
                                        ; implicit-def: $vgpr8
.LBB119_2872:
	s_and_not1_saveexec_b32 s7, s7
; %bb.2873:
	v_mov_b32_e32 v3, 0x7f
	v_cmp_lt_u32_e32 vcc_lo, 0x7f800000, v8
	s_delay_alu instid0(VALU_DEP_2)
	v_cndmask_b32_e32 v3, 0x7c, v3, vcc_lo
; %bb.2874:
	s_or_b32 exec_lo, exec_lo, s7
	v_lshrrev_b32_e32 v2, 24, v2
	s_delay_alu instid0(VALU_DEP_1)
	v_and_or_b32 v2, 0x80, v2, v3
	global_store_b8 v[6:7], v2, off
.LBB119_2875:
	s_mov_b32 s7, 0
	s_mov_b32 s11, -1
.LBB119_2876:
	s_and_not1_b32 vcc_lo, exec_lo, s7
	s_mov_b32 s7, 0
	s_cbranch_vccnz .LBB119_2883
; %bb.2877:
	v_cmp_gt_i16_e64 s7, s6, 14
	s_delay_alu instid0(VALU_DEP_1)
	s_and_b32 vcc_lo, exec_lo, s7
	s_mov_b32 s7, -1
	s_cbranch_vccz .LBB119_2881
; %bb.2878:
	v_cmp_eq_u16_e64 s0, s6, 15
	s_delay_alu instid0(VALU_DEP_1)
	s_and_b32 vcc_lo, exec_lo, s0
	s_mov_b32 s0, -1
	s_cbranch_vccz .LBB119_2880
; %bb.2879:
	v_cvt_f32_f64_e32 v2, v[0:1]
	s_mov_b32 s0, 0
	s_mov_b32 s11, -1
	s_delay_alu instid0(VALU_DEP_1) | instskip(SKIP_1) | instid1(VALU_DEP_2)
	v_bfe_u32 v3, v2, 16, 1
	v_cmp_o_f32_e32 vcc_lo, v2, v2
	v_add3_u32 v3, v2, v3, 0x7fff
	s_delay_alu instid0(VALU_DEP_1) | instskip(NEXT) | instid1(VALU_DEP_1)
	v_lshrrev_b32_e32 v3, 16, v3
	v_cndmask_b32_e32 v2, 0x7fc0, v3, vcc_lo
	global_store_b16 v[6:7], v2, off
.LBB119_2880:
	s_mov_b32 s7, 0
.LBB119_2881:
	s_delay_alu instid0(SALU_CYCLE_1)
	s_and_b32 vcc_lo, exec_lo, s7
	s_mov_b32 s7, 0
	s_cbranch_vccz .LBB119_2883
; %bb.2882:
	v_cmp_ne_u16_e64 s0, s6, 11
	s_mov_b32 s7, -1
.LBB119_2883:
	s_delay_alu instid0(VALU_DEP_1)
	s_and_b32 vcc_lo, exec_lo, s0
	s_cbranch_vccnz .LBB119_2940
; %bb.2884:
	s_and_not1_b32 vcc_lo, exec_lo, s7
	s_cbranch_vccnz .LBB119_2886
.LBB119_2885:
	s_delay_alu instid0(VALU_DEP_2)
	v_cmp_neq_f64_e32 vcc_lo, 0, v[0:1]
	s_mov_b32 s11, -1
	v_cndmask_b32_e64 v2, 0, 1, vcc_lo
	global_store_b8 v[6:7], v2, off
.LBB119_2886:
	s_mov_b32 s0, 0
.LBB119_2887:
	s_delay_alu instid0(SALU_CYCLE_1)
	s_and_b32 vcc_lo, exec_lo, s0
	s_cbranch_vccz .LBB119_2926
; %bb.2888:
	v_cmp_lt_i16_e64 s0, s6, 5
	s_delay_alu instid0(VALU_DEP_1)
	s_and_b32 vcc_lo, exec_lo, s0
	s_mov_b32 s0, -1
	s_cbranch_vccnz .LBB119_2909
; %bb.2889:
	v_cmp_lt_i16_e64 s0, s6, 8
	s_delay_alu instid0(VALU_DEP_1)
	s_and_b32 vcc_lo, exec_lo, s0
	s_mov_b32 s0, -1
	s_cbranch_vccnz .LBB119_2899
	;; [unrolled: 6-line block ×3, first 2 shown]
; %bb.2891:
	v_cmp_gt_i16_e64 s0, s6, 9
	s_delay_alu instid0(VALU_DEP_1)
	s_and_b32 vcc_lo, exec_lo, s0
	s_mov_b32 s0, -1
	s_cbranch_vccz .LBB119_2893
; %bb.2892:
	v_mov_b32_e32 v2, 0
	s_mov_b32 s0, 0
	s_delay_alu instid0(VALU_DEP_1)
	v_mov_b32_e32 v3, v2
	global_store_b128 v[6:7], v[0:3], off
.LBB119_2893:
	s_and_not1_b32 vcc_lo, exec_lo, s0
	s_cbranch_vccnz .LBB119_2895
; %bb.2894:
	v_cvt_f32_f64_e32 v2, v[0:1]
	v_mov_b32_e32 v3, 0
	global_store_b64 v[6:7], v[2:3], off
.LBB119_2895:
	s_mov_b32 s0, 0
.LBB119_2896:
	s_delay_alu instid0(SALU_CYCLE_1)
	s_and_not1_b32 vcc_lo, exec_lo, s0
	s_cbranch_vccnz .LBB119_2898
; %bb.2897:
	s_delay_alu instid0(VALU_DEP_4) | instskip(NEXT) | instid1(VALU_DEP_1)
	v_cvt_f32_f64_e32 v2, v[0:1]
	v_cvt_f16_f32_e32 v2, v2
	s_delay_alu instid0(VALU_DEP_1)
	v_and_b32_e32 v2, 0xffff, v2
	global_store_b32 v[6:7], v2, off
.LBB119_2898:
	s_mov_b32 s0, 0
.LBB119_2899:
	s_delay_alu instid0(SALU_CYCLE_1)
	s_and_not1_b32 vcc_lo, exec_lo, s0
	s_cbranch_vccnz .LBB119_2908
; %bb.2900:
	v_cmp_lt_i16_e64 s0, s6, 6
	s_delay_alu instid0(VALU_DEP_1)
	s_and_b32 vcc_lo, exec_lo, s0
	s_mov_b32 s0, -1
	s_cbranch_vccnz .LBB119_2906
; %bb.2901:
	v_cmp_gt_i16_e64 s0, s6, 6
	s_delay_alu instid0(VALU_DEP_1)
	s_and_b32 vcc_lo, exec_lo, s0
	s_mov_b32 s0, -1
	s_cbranch_vccz .LBB119_2903
; %bb.2902:
	s_mov_b32 s0, 0
	global_store_b64 v[6:7], v[0:1], off
.LBB119_2903:
	s_and_not1_b32 vcc_lo, exec_lo, s0
	s_cbranch_vccnz .LBB119_2905
; %bb.2904:
	v_cvt_f32_f64_e32 v2, v[0:1]
	global_store_b32 v[6:7], v2, off
.LBB119_2905:
	s_mov_b32 s0, 0
.LBB119_2906:
	s_delay_alu instid0(SALU_CYCLE_1)
	s_and_not1_b32 vcc_lo, exec_lo, s0
	s_cbranch_vccnz .LBB119_2908
; %bb.2907:
	s_delay_alu instid0(VALU_DEP_4) | instskip(NEXT) | instid1(VALU_DEP_1)
	v_cvt_f32_f64_e32 v2, v[0:1]
	v_cvt_f16_f32_e32 v2, v2
	global_store_b16 v[6:7], v2, off
.LBB119_2908:
	s_mov_b32 s0, 0
.LBB119_2909:
	s_delay_alu instid0(SALU_CYCLE_1)
	s_and_not1_b32 vcc_lo, exec_lo, s0
	s_cbranch_vccnz .LBB119_2925
; %bb.2910:
	v_cmp_lt_i16_e64 s0, s6, 2
	s_delay_alu instid0(VALU_DEP_1)
	s_and_b32 vcc_lo, exec_lo, s0
	s_mov_b32 s0, -1
	s_cbranch_vccnz .LBB119_2920
; %bb.2911:
	v_cmp_lt_i16_e64 s0, s6, 3
	s_delay_alu instid0(VALU_DEP_1)
	s_and_b32 vcc_lo, exec_lo, s0
	s_mov_b32 s0, -1
	s_cbranch_vccnz .LBB119_2917
; %bb.2912:
	v_cmp_gt_i16_e64 s0, s6, 3
	s_delay_alu instid0(VALU_DEP_1)
	s_and_b32 vcc_lo, exec_lo, s0
	s_mov_b32 s0, -1
	s_cbranch_vccz .LBB119_2914
; %bb.2913:
	v_trunc_f64_e32 v[2:3], v[0:1]
	s_mov_b32 s0, 0
	s_delay_alu instid0(VALU_DEP_1) | instskip(NEXT) | instid1(VALU_DEP_1)
	v_ldexp_f64 v[8:9], v[2:3], 0xffffffe0
	v_floor_f64_e32 v[8:9], v[8:9]
	s_delay_alu instid0(VALU_DEP_1) | instskip(SKIP_1) | instid1(VALU_DEP_2)
	v_fma_f64 v[2:3], 0xc1f00000, v[8:9], v[2:3]
	v_cvt_i32_f64_e32 v9, v[8:9]
	v_cvt_u32_f64_e32 v8, v[2:3]
	global_store_b64 v[6:7], v[8:9], off
.LBB119_2914:
	s_and_not1_b32 vcc_lo, exec_lo, s0
	s_cbranch_vccnz .LBB119_2916
; %bb.2915:
	v_cvt_i32_f64_e32 v2, v[0:1]
	global_store_b32 v[6:7], v2, off
.LBB119_2916:
	s_mov_b32 s0, 0
.LBB119_2917:
	s_delay_alu instid0(SALU_CYCLE_1)
	s_and_not1_b32 vcc_lo, exec_lo, s0
	s_cbranch_vccnz .LBB119_2919
; %bb.2918:
	s_delay_alu instid0(VALU_DEP_4)
	v_cvt_i32_f64_e32 v2, v[0:1]
	global_store_b16 v[6:7], v2, off
.LBB119_2919:
	s_mov_b32 s0, 0
.LBB119_2920:
	s_delay_alu instid0(SALU_CYCLE_1)
	s_and_not1_b32 vcc_lo, exec_lo, s0
	s_cbranch_vccnz .LBB119_2925
; %bb.2921:
	v_cmp_gt_i16_e64 s0, s6, 0
	s_delay_alu instid0(VALU_DEP_1)
	s_and_b32 vcc_lo, exec_lo, s0
	s_mov_b32 s0, -1
	s_cbranch_vccz .LBB119_2923
; %bb.2922:
	s_delay_alu instid0(VALU_DEP_4)
	v_cvt_i32_f64_e32 v2, v[0:1]
	s_mov_b32 s0, 0
	global_store_b8 v[6:7], v2, off
.LBB119_2923:
	s_and_not1_b32 vcc_lo, exec_lo, s0
	s_cbranch_vccnz .LBB119_2925
; %bb.2924:
	s_delay_alu instid0(VALU_DEP_4) | instskip(NEXT) | instid1(VALU_DEP_1)
	v_trunc_f64_e32 v[0:1], v[0:1]
	v_ldexp_f64 v[2:3], v[0:1], 0xffffffe0
	s_delay_alu instid0(VALU_DEP_1) | instskip(NEXT) | instid1(VALU_DEP_1)
	v_floor_f64_e32 v[2:3], v[2:3]
	v_fma_f64 v[0:1], 0xc1f00000, v[2:3], v[0:1]
	s_delay_alu instid0(VALU_DEP_1)
	v_cvt_u32_f64_e32 v0, v[0:1]
	global_store_b8 v[6:7], v0, off
.LBB119_2925:
	s_mov_b32 s11, -1
.LBB119_2926:
	s_delay_alu instid0(SALU_CYCLE_1)
	s_and_not1_b32 vcc_lo, exec_lo, s11
	s_cbranch_vccnz .LBB119_3064
; %bb.2927:
	v_cndmask_b32_e64 v0, 0, 1, s13
	v_cmp_lt_i16_e64 s0, s6, 11
	v_add_co_u32 v5, s7, s4, v5
	s_delay_alu instid0(VALU_DEP_1) | instskip(NEXT) | instid1(VALU_DEP_4)
	v_add_co_ci_u32_e64 v6, null, s5, 0, s7
	v_cvt_f64_u32_e32 v[0:1], v0
	s_mov_b32 s11, 0
	s_and_b32 vcc_lo, exec_lo, s0
	s_mov_b32 s0, -1
	s_delay_alu instid0(VALU_DEP_1) | instskip(NEXT) | instid1(VALU_DEP_1)
	v_mul_f64 v[0:1], v[10:11], v[0:1]
	v_mul_f64 v[0:1], s[2:3], v[0:1]
	s_cbranch_vccnz .LBB119_3016
; %bb.2928:
	v_cmp_gt_i16_e64 s0, s6, 25
	s_mov_b32 s12, -1
	s_mov_b32 s7, 0
	s_delay_alu instid0(VALU_DEP_1)
	s_and_b32 vcc_lo, exec_lo, s0
	s_mov_b32 s0, 0
	s_cbranch_vccz .LBB119_2972
; %bb.2929:
	v_cmp_gt_i16_e64 s0, s6, 28
	s_delay_alu instid0(VALU_DEP_1)
	s_and_b32 vcc_lo, exec_lo, s0
	s_cbranch_vccz .LBB119_2934
; %bb.2930:
	v_cmp_gt_i16_e64 s0, s6, 43
	s_delay_alu instid0(VALU_DEP_1)
	s_and_b32 vcc_lo, exec_lo, s0
	s_cbranch_vccz .LBB119_2937
; %bb.2931:
	v_cmp_gt_i16_e64 s0, s6, 45
	s_delay_alu instid0(VALU_DEP_1)
	s_and_b32 vcc_lo, exec_lo, s0
	s_cbranch_vccz .LBB119_2944
; %bb.2932:
	v_cmp_eq_u16_e64 s11, s6, 46
	s_mov_b32 s0, -1
	s_mov_b32 s12, 0
	s_delay_alu instid0(VALU_DEP_1)
	s_and_b32 vcc_lo, exec_lo, s11
	s_mov_b32 s11, 0
	s_cbranch_vccz .LBB119_2945
; %bb.2933:
	v_cvt_f32_f64_e32 v2, v[0:1]
	s_mov_b32 s0, 0
	s_mov_b32 s11, -1
	s_delay_alu instid0(VALU_DEP_1) | instskip(SKIP_1) | instid1(VALU_DEP_2)
	v_bfe_u32 v3, v2, 16, 1
	v_cmp_o_f32_e32 vcc_lo, v2, v2
	v_add3_u32 v3, v2, v3, 0x7fff
	s_delay_alu instid0(VALU_DEP_1) | instskip(NEXT) | instid1(VALU_DEP_1)
	v_lshrrev_b32_e32 v3, 16, v3
	v_cndmask_b32_e32 v2, 0x7fc0, v3, vcc_lo
	global_store_b32 v[5:6], v2, off
	s_branch .LBB119_2945
.LBB119_2934:
	s_mov_b32 s0, 0
	s_branch .LBB119_2955
.LBB119_2935:
	s_or_saveexec_b32 s14, s14
                                        ; implicit-def: $sgpr15
	s_delay_alu instid0(SALU_CYCLE_1)
	s_xor_b32 exec_lo, exec_lo, s14
	s_cbranch_execz .LBB119_2837
.LBB119_2936:
	v_add_f32_e64 v3, 0x46000000, |v2|
	s_and_not1_b32 s12, s12, exec_lo
	s_mov_b32 s15, 0
	s_delay_alu instid0(VALU_DEP_1) | instskip(NEXT) | instid1(VALU_DEP_1)
	v_and_b32_e32 v3, 0xff, v3
	v_cmp_ne_u32_e32 vcc_lo, 0, v3
	s_and_b32 s16, vcc_lo, exec_lo
	s_delay_alu instid0(SALU_CYCLE_1)
	s_or_b32 s12, s12, s16
	s_or_b32 exec_lo, exec_lo, s14
	v_mov_b32_e32 v8, s15
	s_and_saveexec_b32 s14, s12
	s_cbranch_execnz .LBB119_2838
	s_branch .LBB119_2839
.LBB119_2937:
	s_mov_b32 s0, 0
	s_branch .LBB119_2951
.LBB119_2938:
	s_trap 2
	s_sendmsg_rtn_b32 s0, sendmsg(MSG_RTN_GET_DOORBELL)
	s_mov_b32 ttmp2, m0
	s_waitcnt lgkmcnt(0)
	s_and_b32 s0, s0, 0x3ff
	s_delay_alu instid0(SALU_CYCLE_1) | instskip(NEXT) | instid1(SALU_CYCLE_1)
	s_bitset1_b32 s0, 10
	s_mov_b32 m0, s0
	s_sendmsg sendmsg(MSG_INTERRUPT)
	s_mov_b32 m0, ttmp2
.LBB119_2939:                           ; =>This Inner Loop Header: Depth=1
	s_sethalt 5
	s_branch .LBB119_2939
.LBB119_2940:
	s_cbranch_execnz .LBB119_3113
; %bb.2941:
	s_or_b32 s10, s10, exec_lo
	s_cbranch_execz .LBB119_2885
	s_branch .LBB119_2886
.LBB119_2942:
	s_or_saveexec_b32 s12, s12
                                        ; implicit-def: $sgpr14
	s_delay_alu instid0(SALU_CYCLE_1)
	s_xor_b32 exec_lo, exec_lo, s12
	s_cbranch_execz .LBB119_2850
.LBB119_2943:
	v_add_f32_e64 v3, 0x42800000, |v2|
	s_and_not1_b32 s11, s11, exec_lo
	s_mov_b32 s14, 0
	s_delay_alu instid0(VALU_DEP_1) | instskip(NEXT) | instid1(VALU_DEP_1)
	v_and_b32_e32 v3, 0xff, v3
	v_cmp_ne_u32_e32 vcc_lo, 0, v3
	s_and_b32 s15, vcc_lo, exec_lo
	s_delay_alu instid0(SALU_CYCLE_1)
	s_or_b32 s11, s11, s15
	s_or_b32 exec_lo, exec_lo, s12
	v_mov_b32_e32 v8, s14
	s_and_saveexec_b32 s12, s11
	s_cbranch_execnz .LBB119_2851
	s_branch .LBB119_2852
.LBB119_2944:
	s_mov_b32 s0, 0
.LBB119_2945:
	s_and_b32 vcc_lo, exec_lo, s12
	s_cbranch_vccz .LBB119_2950
; %bb.2946:
	v_cmp_eq_u16_e64 s0, s6, 44
	s_delay_alu instid0(VALU_DEP_1)
	s_and_b32 vcc_lo, exec_lo, s0
	s_mov_b32 s0, -1
	s_cbranch_vccz .LBB119_2950
; %bb.2947:
	v_cvt_f32_f64_e32 v2, v[0:1]
	v_mov_b32_e32 v3, 0xff
	s_mov_b32 s11, exec_lo
	s_delay_alu instid0(VALU_DEP_2) | instskip(NEXT) | instid1(VALU_DEP_1)
	v_bfe_u32 v7, v2, 23, 8
	v_cmpx_ne_u32_e32 0xff, v7
; %bb.2948:
	v_and_b32_e32 v3, 0x400000, v2
	v_and_or_b32 v7, 0x3fffff, v2, v7
	v_lshrrev_b32_e32 v2, 23, v2
	s_delay_alu instid0(VALU_DEP_3) | instskip(NEXT) | instid1(VALU_DEP_3)
	v_cmp_ne_u32_e32 vcc_lo, 0, v3
	v_cmp_ne_u32_e64 s0, 0, v7
	s_delay_alu instid0(VALU_DEP_1) | instskip(NEXT) | instid1(SALU_CYCLE_1)
	s_and_b32 s0, vcc_lo, s0
	v_cndmask_b32_e64 v3, 0, 1, s0
	s_delay_alu instid0(VALU_DEP_1)
	v_add_nc_u32_e32 v3, v2, v3
; %bb.2949:
	s_or_b32 exec_lo, exec_lo, s11
	s_mov_b32 s0, 0
	s_mov_b32 s11, -1
	global_store_b8 v[5:6], v3, off
.LBB119_2950:
	s_mov_b32 s12, 0
.LBB119_2951:
	s_delay_alu instid0(SALU_CYCLE_1)
	s_and_b32 vcc_lo, exec_lo, s12
	s_cbranch_vccz .LBB119_2954
; %bb.2952:
	v_cmp_eq_u16_e64 s0, s6, 29
	s_delay_alu instid0(VALU_DEP_1)
	s_and_b32 vcc_lo, exec_lo, s0
	s_mov_b32 s0, -1
	s_cbranch_vccz .LBB119_2954
; %bb.2953:
	v_trunc_f64_e32 v[2:3], v[0:1]
	s_mov_b32 s0, 0
	s_mov_b32 s11, -1
	s_mov_b32 s12, 0
	s_delay_alu instid0(VALU_DEP_1) | instskip(NEXT) | instid1(VALU_DEP_1)
	v_ldexp_f64 v[7:8], v[2:3], 0xffffffe0
	v_floor_f64_e32 v[7:8], v[7:8]
	s_delay_alu instid0(VALU_DEP_1) | instskip(SKIP_1) | instid1(VALU_DEP_2)
	v_fma_f64 v[2:3], 0xc1f00000, v[7:8], v[2:3]
	v_cvt_u32_f64_e32 v8, v[7:8]
	v_cvt_u32_f64_e32 v7, v[2:3]
	global_store_b64 v[5:6], v[7:8], off
	s_branch .LBB119_2955
.LBB119_2954:
	s_mov_b32 s12, 0
.LBB119_2955:
	s_delay_alu instid0(SALU_CYCLE_1)
	s_and_b32 vcc_lo, exec_lo, s12
	s_cbranch_vccz .LBB119_2971
; %bb.2956:
	v_cmp_lt_i16_e64 s11, s6, 27
	s_delay_alu instid0(VALU_DEP_1)
	s_and_b32 vcc_lo, exec_lo, s11
	s_mov_b32 s11, -1
	s_cbranch_vccnz .LBB119_2962
; %bb.2957:
	v_cmp_gt_i16_e64 s11, s6, 27
	s_delay_alu instid0(VALU_DEP_1)
	s_and_b32 vcc_lo, exec_lo, s11
	s_mov_b32 s11, -1
	s_cbranch_vccz .LBB119_2959
; %bb.2958:
	v_cvt_u32_f64_e32 v2, v[0:1]
	s_mov_b32 s11, 0
	global_store_b32 v[5:6], v2, off
.LBB119_2959:
	s_and_not1_b32 vcc_lo, exec_lo, s11
	s_cbranch_vccnz .LBB119_2961
; %bb.2960:
	v_cvt_u32_f64_e32 v2, v[0:1]
	global_store_b16 v[5:6], v2, off
.LBB119_2961:
	s_mov_b32 s11, 0
.LBB119_2962:
	s_delay_alu instid0(SALU_CYCLE_1)
	s_and_not1_b32 vcc_lo, exec_lo, s11
	s_cbranch_vccnz .LBB119_2970
; %bb.2963:
	s_delay_alu instid0(VALU_DEP_4) | instskip(SKIP_2) | instid1(VALU_DEP_2)
	v_cvt_f32_f64_e32 v2, v[0:1]
	v_mov_b32_e32 v7, 0x80
	s_mov_b32 s11, exec_lo
	v_and_b32_e32 v3, 0x7fffffff, v2
	s_delay_alu instid0(VALU_DEP_1)
	v_cmpx_gt_u32_e32 0x43800000, v3
	s_cbranch_execz .LBB119_2969
; %bb.2964:
	v_cmp_lt_u32_e32 vcc_lo, 0x3bffffff, v3
	s_mov_b32 s12, 0
                                        ; implicit-def: $vgpr3
	s_and_saveexec_b32 s13, vcc_lo
	s_delay_alu instid0(SALU_CYCLE_1)
	s_xor_b32 s13, exec_lo, s13
	s_cbranch_execz .LBB119_3110
; %bb.2965:
	v_bfe_u32 v3, v2, 20, 1
	s_mov_b32 s12, exec_lo
	s_delay_alu instid0(VALU_DEP_1) | instskip(NEXT) | instid1(VALU_DEP_1)
	v_add3_u32 v3, v2, v3, 0x487ffff
	v_lshrrev_b32_e32 v3, 20, v3
	s_or_saveexec_b32 s13, s13
                                        ; implicit-def: $sgpr14
	s_delay_alu instid0(SALU_CYCLE_1)
	s_xor_b32 exec_lo, exec_lo, s13
	s_cbranch_execnz .LBB119_3111
.LBB119_2966:
	s_or_b32 exec_lo, exec_lo, s13
	v_mov_b32_e32 v7, s14
	s_and_saveexec_b32 s13, s12
.LBB119_2967:
	v_lshrrev_b32_e32 v2, 24, v2
	s_delay_alu instid0(VALU_DEP_1)
	v_and_or_b32 v7, 0x80, v2, v3
.LBB119_2968:
	s_or_b32 exec_lo, exec_lo, s13
.LBB119_2969:
	s_delay_alu instid0(SALU_CYCLE_1)
	s_or_b32 exec_lo, exec_lo, s11
	global_store_b8 v[5:6], v7, off
.LBB119_2970:
	s_mov_b32 s11, -1
.LBB119_2971:
	s_mov_b32 s12, 0
.LBB119_2972:
	s_delay_alu instid0(SALU_CYCLE_1)
	s_and_b32 vcc_lo, exec_lo, s12
	s_cbranch_vccz .LBB119_3012
; %bb.2973:
	v_cmp_gt_i16_e64 s7, s6, 22
	s_delay_alu instid0(VALU_DEP_1)
	s_and_b32 vcc_lo, exec_lo, s7
	s_mov_b32 s7, -1
	s_cbranch_vccz .LBB119_3005
; %bb.2974:
	v_cmp_lt_i16_e64 s7, s6, 24
	s_delay_alu instid0(VALU_DEP_1)
	s_and_b32 vcc_lo, exec_lo, s7
	s_mov_b32 s7, -1
	s_cbranch_vccnz .LBB119_2994
; %bb.2975:
	v_cmp_gt_i16_e64 s7, s6, 24
	s_delay_alu instid0(VALU_DEP_1)
	s_and_b32 vcc_lo, exec_lo, s7
	s_mov_b32 s7, -1
	s_cbranch_vccz .LBB119_2983
; %bb.2976:
	v_cvt_f32_f64_e32 v2, v[0:1]
	v_mov_b32_e32 v7, 0x80
	s_mov_b32 s7, exec_lo
	s_delay_alu instid0(VALU_DEP_2) | instskip(NEXT) | instid1(VALU_DEP_1)
	v_and_b32_e32 v3, 0x7fffffff, v2
	v_cmpx_gt_u32_e32 0x47800000, v3
	s_cbranch_execz .LBB119_2982
; %bb.2977:
	v_cmp_lt_u32_e32 vcc_lo, 0x37ffffff, v3
	s_mov_b32 s11, 0
                                        ; implicit-def: $vgpr3
	s_and_saveexec_b32 s12, vcc_lo
	s_delay_alu instid0(SALU_CYCLE_1)
	s_xor_b32 s12, exec_lo, s12
	s_cbranch_execz .LBB119_3117
; %bb.2978:
	v_bfe_u32 v3, v2, 21, 1
	s_mov_b32 s11, exec_lo
	s_delay_alu instid0(VALU_DEP_1) | instskip(NEXT) | instid1(VALU_DEP_1)
	v_add3_u32 v3, v2, v3, 0x88fffff
	v_lshrrev_b32_e32 v3, 21, v3
	s_or_saveexec_b32 s12, s12
                                        ; implicit-def: $sgpr13
	s_delay_alu instid0(SALU_CYCLE_1)
	s_xor_b32 exec_lo, exec_lo, s12
	s_cbranch_execnz .LBB119_3118
.LBB119_2979:
	s_or_b32 exec_lo, exec_lo, s12
	v_mov_b32_e32 v7, s13
	s_and_saveexec_b32 s12, s11
.LBB119_2980:
	v_lshrrev_b32_e32 v2, 24, v2
	s_delay_alu instid0(VALU_DEP_1)
	v_and_or_b32 v7, 0x80, v2, v3
.LBB119_2981:
	s_or_b32 exec_lo, exec_lo, s12
.LBB119_2982:
	s_delay_alu instid0(SALU_CYCLE_1)
	s_or_b32 exec_lo, exec_lo, s7
	s_mov_b32 s7, 0
	global_store_b8 v[5:6], v7, off
.LBB119_2983:
	s_and_b32 vcc_lo, exec_lo, s7
	s_cbranch_vccz .LBB119_2993
; %bb.2984:
	v_cvt_f32_f64_e32 v2, v[0:1]
	s_mov_b32 s7, exec_lo
                                        ; implicit-def: $vgpr3
	s_delay_alu instid0(VALU_DEP_1) | instskip(NEXT) | instid1(VALU_DEP_1)
	v_and_b32_e32 v7, 0x7fffffff, v2
	v_cmpx_gt_u32_e32 0x43f00000, v7
	s_xor_b32 s7, exec_lo, s7
	s_cbranch_execz .LBB119_2990
; %bb.2985:
	s_mov_b32 s11, exec_lo
                                        ; implicit-def: $vgpr3
	v_cmpx_lt_u32_e32 0x3c7fffff, v7
	s_xor_b32 s11, exec_lo, s11
; %bb.2986:
	v_bfe_u32 v3, v2, 20, 1
	s_delay_alu instid0(VALU_DEP_1) | instskip(NEXT) | instid1(VALU_DEP_1)
	v_add3_u32 v3, v2, v3, 0x407ffff
	v_and_b32_e32 v7, 0xff00000, v3
	v_lshrrev_b32_e32 v3, 20, v3
	s_delay_alu instid0(VALU_DEP_2) | instskip(NEXT) | instid1(VALU_DEP_2)
	v_cmp_ne_u32_e32 vcc_lo, 0x7f00000, v7
	v_cndmask_b32_e32 v3, 0x7e, v3, vcc_lo
; %bb.2987:
	s_and_not1_saveexec_b32 s11, s11
; %bb.2988:
	v_add_f32_e64 v3, 0x46800000, |v2|
; %bb.2989:
	s_or_b32 exec_lo, exec_lo, s11
                                        ; implicit-def: $vgpr7
.LBB119_2990:
	s_and_not1_saveexec_b32 s7, s7
; %bb.2991:
	v_mov_b32_e32 v3, 0x7f
	v_cmp_lt_u32_e32 vcc_lo, 0x7f800000, v7
	s_delay_alu instid0(VALU_DEP_2)
	v_cndmask_b32_e32 v3, 0x7e, v3, vcc_lo
; %bb.2992:
	s_or_b32 exec_lo, exec_lo, s7
	v_lshrrev_b32_e32 v2, 24, v2
	s_delay_alu instid0(VALU_DEP_1)
	v_and_or_b32 v2, 0x80, v2, v3
	global_store_b8 v[5:6], v2, off
.LBB119_2993:
	s_mov_b32 s7, 0
.LBB119_2994:
	s_delay_alu instid0(SALU_CYCLE_1)
	s_and_not1_b32 vcc_lo, exec_lo, s7
	s_cbranch_vccnz .LBB119_3004
; %bb.2995:
	s_delay_alu instid0(VALU_DEP_4) | instskip(SKIP_1) | instid1(VALU_DEP_1)
	v_cvt_f32_f64_e32 v2, v[0:1]
	s_mov_b32 s7, exec_lo
                                        ; implicit-def: $vgpr3
	v_and_b32_e32 v7, 0x7fffffff, v2
	s_delay_alu instid0(VALU_DEP_1)
	v_cmpx_gt_u32_e32 0x47800000, v7
	s_xor_b32 s7, exec_lo, s7
	s_cbranch_execz .LBB119_3001
; %bb.2996:
	s_mov_b32 s11, exec_lo
                                        ; implicit-def: $vgpr3
	v_cmpx_lt_u32_e32 0x387fffff, v7
	s_xor_b32 s11, exec_lo, s11
; %bb.2997:
	v_bfe_u32 v3, v2, 21, 1
	s_delay_alu instid0(VALU_DEP_1) | instskip(NEXT) | instid1(VALU_DEP_1)
	v_add3_u32 v3, v2, v3, 0x80fffff
	v_lshrrev_b32_e32 v3, 21, v3
; %bb.2998:
	s_and_not1_saveexec_b32 s11, s11
; %bb.2999:
	v_add_f32_e64 v3, 0x43000000, |v2|
; %bb.3000:
	s_or_b32 exec_lo, exec_lo, s11
                                        ; implicit-def: $vgpr7
.LBB119_3001:
	s_and_not1_saveexec_b32 s7, s7
; %bb.3002:
	v_mov_b32_e32 v3, 0x7f
	v_cmp_lt_u32_e32 vcc_lo, 0x7f800000, v7
	s_delay_alu instid0(VALU_DEP_2)
	v_cndmask_b32_e32 v3, 0x7c, v3, vcc_lo
; %bb.3003:
	s_or_b32 exec_lo, exec_lo, s7
	v_lshrrev_b32_e32 v2, 24, v2
	s_delay_alu instid0(VALU_DEP_1)
	v_and_or_b32 v2, 0x80, v2, v3
	global_store_b8 v[5:6], v2, off
.LBB119_3004:
	s_mov_b32 s7, 0
	s_mov_b32 s11, -1
.LBB119_3005:
	s_and_not1_b32 vcc_lo, exec_lo, s7
	s_mov_b32 s7, 0
	s_cbranch_vccnz .LBB119_3012
; %bb.3006:
	v_cmp_gt_i16_e64 s7, s6, 14
	s_delay_alu instid0(VALU_DEP_1)
	s_and_b32 vcc_lo, exec_lo, s7
	s_mov_b32 s7, -1
	s_cbranch_vccz .LBB119_3010
; %bb.3007:
	v_cmp_eq_u16_e64 s0, s6, 15
	s_delay_alu instid0(VALU_DEP_1)
	s_and_b32 vcc_lo, exec_lo, s0
	s_mov_b32 s0, -1
	s_cbranch_vccz .LBB119_3009
; %bb.3008:
	v_cvt_f32_f64_e32 v2, v[0:1]
	s_mov_b32 s0, 0
	s_mov_b32 s11, -1
	s_delay_alu instid0(VALU_DEP_1) | instskip(SKIP_1) | instid1(VALU_DEP_2)
	v_bfe_u32 v3, v2, 16, 1
	v_cmp_o_f32_e32 vcc_lo, v2, v2
	v_add3_u32 v3, v2, v3, 0x7fff
	s_delay_alu instid0(VALU_DEP_1) | instskip(NEXT) | instid1(VALU_DEP_1)
	v_lshrrev_b32_e32 v3, 16, v3
	v_cndmask_b32_e32 v2, 0x7fc0, v3, vcc_lo
	global_store_b16 v[5:6], v2, off
.LBB119_3009:
	s_mov_b32 s7, 0
.LBB119_3010:
	s_delay_alu instid0(SALU_CYCLE_1)
	s_and_b32 vcc_lo, exec_lo, s7
	s_mov_b32 s7, 0
	s_cbranch_vccz .LBB119_3012
; %bb.3011:
	v_cmp_ne_u16_e64 s0, s6, 11
	s_mov_b32 s7, -1
.LBB119_3012:
	s_delay_alu instid0(VALU_DEP_1)
	s_and_b32 vcc_lo, exec_lo, s0
	s_cbranch_vccnz .LBB119_3115
; %bb.3013:
	s_and_not1_b32 vcc_lo, exec_lo, s7
	s_cbranch_vccnz .LBB119_3015
.LBB119_3014:
	s_delay_alu instid0(VALU_DEP_2)
	v_cmp_neq_f64_e32 vcc_lo, 0, v[0:1]
	s_mov_b32 s11, -1
	v_cndmask_b32_e64 v2, 0, 1, vcc_lo
	global_store_b8 v[5:6], v2, off
.LBB119_3015:
	s_mov_b32 s0, 0
.LBB119_3016:
	s_delay_alu instid0(SALU_CYCLE_1)
	s_and_b32 vcc_lo, exec_lo, s0
	s_cbranch_vccz .LBB119_3055
; %bb.3017:
	v_cmp_lt_i16_e64 s0, s6, 5
	s_delay_alu instid0(VALU_DEP_1)
	s_and_b32 vcc_lo, exec_lo, s0
	s_mov_b32 s0, -1
	s_cbranch_vccnz .LBB119_3038
; %bb.3018:
	v_cmp_lt_i16_e64 s0, s6, 8
	s_delay_alu instid0(VALU_DEP_1)
	s_and_b32 vcc_lo, exec_lo, s0
	s_mov_b32 s0, -1
	s_cbranch_vccnz .LBB119_3028
	;; [unrolled: 6-line block ×3, first 2 shown]
; %bb.3020:
	v_cmp_gt_i16_e64 s0, s6, 9
	s_delay_alu instid0(VALU_DEP_1)
	s_and_b32 vcc_lo, exec_lo, s0
	s_mov_b32 s0, -1
	s_cbranch_vccz .LBB119_3022
; %bb.3021:
	v_mov_b32_e32 v2, 0
	s_mov_b32 s0, 0
	s_delay_alu instid0(VALU_DEP_1)
	v_mov_b32_e32 v3, v2
	global_store_b128 v[5:6], v[0:3], off
.LBB119_3022:
	s_and_not1_b32 vcc_lo, exec_lo, s0
	s_cbranch_vccnz .LBB119_3024
; %bb.3023:
	v_cvt_f32_f64_e32 v2, v[0:1]
	v_mov_b32_e32 v3, 0
	global_store_b64 v[5:6], v[2:3], off
.LBB119_3024:
	s_mov_b32 s0, 0
.LBB119_3025:
	s_delay_alu instid0(SALU_CYCLE_1)
	s_and_not1_b32 vcc_lo, exec_lo, s0
	s_cbranch_vccnz .LBB119_3027
; %bb.3026:
	s_delay_alu instid0(VALU_DEP_4) | instskip(NEXT) | instid1(VALU_DEP_1)
	v_cvt_f32_f64_e32 v2, v[0:1]
	v_cvt_f16_f32_e32 v2, v2
	s_delay_alu instid0(VALU_DEP_1)
	v_and_b32_e32 v2, 0xffff, v2
	global_store_b32 v[5:6], v2, off
.LBB119_3027:
	s_mov_b32 s0, 0
.LBB119_3028:
	s_delay_alu instid0(SALU_CYCLE_1)
	s_and_not1_b32 vcc_lo, exec_lo, s0
	s_cbranch_vccnz .LBB119_3037
; %bb.3029:
	v_cmp_lt_i16_e64 s0, s6, 6
	s_delay_alu instid0(VALU_DEP_1)
	s_and_b32 vcc_lo, exec_lo, s0
	s_mov_b32 s0, -1
	s_cbranch_vccnz .LBB119_3035
; %bb.3030:
	v_cmp_gt_i16_e64 s0, s6, 6
	s_delay_alu instid0(VALU_DEP_1)
	s_and_b32 vcc_lo, exec_lo, s0
	s_mov_b32 s0, -1
	s_cbranch_vccz .LBB119_3032
; %bb.3031:
	s_mov_b32 s0, 0
	global_store_b64 v[5:6], v[0:1], off
.LBB119_3032:
	s_and_not1_b32 vcc_lo, exec_lo, s0
	s_cbranch_vccnz .LBB119_3034
; %bb.3033:
	v_cvt_f32_f64_e32 v2, v[0:1]
	global_store_b32 v[5:6], v2, off
.LBB119_3034:
	s_mov_b32 s0, 0
.LBB119_3035:
	s_delay_alu instid0(SALU_CYCLE_1)
	s_and_not1_b32 vcc_lo, exec_lo, s0
	s_cbranch_vccnz .LBB119_3037
; %bb.3036:
	s_delay_alu instid0(VALU_DEP_4) | instskip(NEXT) | instid1(VALU_DEP_1)
	v_cvt_f32_f64_e32 v2, v[0:1]
	v_cvt_f16_f32_e32 v2, v2
	global_store_b16 v[5:6], v2, off
.LBB119_3037:
	s_mov_b32 s0, 0
.LBB119_3038:
	s_delay_alu instid0(SALU_CYCLE_1)
	s_and_not1_b32 vcc_lo, exec_lo, s0
	s_cbranch_vccnz .LBB119_3054
; %bb.3039:
	v_cmp_lt_i16_e64 s0, s6, 2
	s_delay_alu instid0(VALU_DEP_1)
	s_and_b32 vcc_lo, exec_lo, s0
	s_mov_b32 s0, -1
	s_cbranch_vccnz .LBB119_3049
; %bb.3040:
	v_cmp_lt_i16_e64 s0, s6, 3
	s_delay_alu instid0(VALU_DEP_1)
	s_and_b32 vcc_lo, exec_lo, s0
	s_mov_b32 s0, -1
	s_cbranch_vccnz .LBB119_3046
; %bb.3041:
	v_cmp_gt_i16_e64 s0, s6, 3
	s_delay_alu instid0(VALU_DEP_1)
	s_and_b32 vcc_lo, exec_lo, s0
	s_mov_b32 s0, -1
	s_cbranch_vccz .LBB119_3043
; %bb.3042:
	v_trunc_f64_e32 v[2:3], v[0:1]
	s_mov_b32 s0, 0
	s_delay_alu instid0(VALU_DEP_1) | instskip(NEXT) | instid1(VALU_DEP_1)
	v_ldexp_f64 v[7:8], v[2:3], 0xffffffe0
	v_floor_f64_e32 v[7:8], v[7:8]
	s_delay_alu instid0(VALU_DEP_1) | instskip(SKIP_1) | instid1(VALU_DEP_2)
	v_fma_f64 v[2:3], 0xc1f00000, v[7:8], v[2:3]
	v_cvt_i32_f64_e32 v8, v[7:8]
	v_cvt_u32_f64_e32 v7, v[2:3]
	global_store_b64 v[5:6], v[7:8], off
.LBB119_3043:
	s_and_not1_b32 vcc_lo, exec_lo, s0
	s_cbranch_vccnz .LBB119_3045
; %bb.3044:
	v_cvt_i32_f64_e32 v2, v[0:1]
	global_store_b32 v[5:6], v2, off
.LBB119_3045:
	s_mov_b32 s0, 0
.LBB119_3046:
	s_delay_alu instid0(SALU_CYCLE_1)
	s_and_not1_b32 vcc_lo, exec_lo, s0
	s_cbranch_vccnz .LBB119_3048
; %bb.3047:
	s_delay_alu instid0(VALU_DEP_4)
	v_cvt_i32_f64_e32 v2, v[0:1]
	global_store_b16 v[5:6], v2, off
.LBB119_3048:
	s_mov_b32 s0, 0
.LBB119_3049:
	s_delay_alu instid0(SALU_CYCLE_1)
	s_and_not1_b32 vcc_lo, exec_lo, s0
	s_cbranch_vccnz .LBB119_3054
; %bb.3050:
	v_cmp_gt_i16_e64 s0, s6, 0
	s_delay_alu instid0(VALU_DEP_1)
	s_and_b32 vcc_lo, exec_lo, s0
	s_mov_b32 s0, -1
	s_cbranch_vccz .LBB119_3052
; %bb.3051:
	s_delay_alu instid0(VALU_DEP_4)
	v_cvt_i32_f64_e32 v2, v[0:1]
	s_mov_b32 s0, 0
	global_store_b8 v[5:6], v2, off
.LBB119_3052:
	s_and_not1_b32 vcc_lo, exec_lo, s0
	s_cbranch_vccnz .LBB119_3054
; %bb.3053:
	s_delay_alu instid0(VALU_DEP_4) | instskip(NEXT) | instid1(VALU_DEP_1)
	v_trunc_f64_e32 v[0:1], v[0:1]
	v_ldexp_f64 v[2:3], v[0:1], 0xffffffe0
	s_delay_alu instid0(VALU_DEP_1) | instskip(NEXT) | instid1(VALU_DEP_1)
	v_floor_f64_e32 v[2:3], v[2:3]
	v_fma_f64 v[0:1], 0xc1f00000, v[2:3], v[0:1]
	s_delay_alu instid0(VALU_DEP_1)
	v_cvt_u32_f64_e32 v0, v[0:1]
	global_store_b8 v[5:6], v0, off
.LBB119_3054:
	s_mov_b32 s11, -1
.LBB119_3055:
	s_delay_alu instid0(SALU_CYCLE_1)
	s_and_not1_b32 vcc_lo, exec_lo, s11
	s_cbranch_vccnz .LBB119_3064
; %bb.3056:
	v_cndmask_b32_e64 v0, 0, 1, s1
	v_cmp_lt_i16_e64 s0, s6, 11
	s_mov_b32 s1, 0
	s_delay_alu instid0(VALU_DEP_2) | instskip(NEXT) | instid1(VALU_DEP_2)
	v_cvt_f64_u32_e32 v[0:1], v0
	s_and_b32 vcc_lo, exec_lo, s0
	s_mov_b32 s0, -1
	s_delay_alu instid0(VALU_DEP_1) | instskip(NEXT) | instid1(VALU_DEP_1)
	v_mul_f64 v[0:1], v[12:13], v[0:1]
	v_mul_f64 v[0:1], s[2:3], v[0:1]
	v_add_co_u32 v4, s2, s4, v4
	s_delay_alu instid0(VALU_DEP_1)
	v_add_co_ci_u32_e64 v5, null, s5, 0, s2
	s_cbranch_vccnz .LBB119_3065
; %bb.3057:
	v_cmp_gt_i16_e64 s0, s6, 25
	s_mov_b32 s2, -1
	s_delay_alu instid0(VALU_DEP_1)
	s_and_b32 vcc_lo, exec_lo, s0
	s_mov_b32 s0, 0
	s_cbranch_vccz .LBB119_3146
; %bb.3058:
	v_cmp_gt_i16_e64 s0, s6, 28
	s_delay_alu instid0(VALU_DEP_1)
	s_and_b32 vcc_lo, exec_lo, s0
	s_cbranch_vccz .LBB119_3109
; %bb.3059:
	v_cmp_gt_i16_e64 s0, s6, 43
	s_delay_alu instid0(VALU_DEP_1)
	s_and_b32 vcc_lo, exec_lo, s0
	;; [unrolled: 5-line block ×3, first 2 shown]
	s_cbranch_vccz .LBB119_3119
; %bb.3061:
	v_cmp_eq_u16_e64 s0, s6, 46
	s_delay_alu instid0(VALU_DEP_1)
	s_and_b32 vcc_lo, exec_lo, s0
	s_mov_b32 s0, -1
	s_cbranch_vccz .LBB119_3063
; %bb.3062:
	v_cvt_f32_f64_e32 v2, v[0:1]
	s_mov_b32 s0, 0
	s_delay_alu instid0(VALU_DEP_1) | instskip(SKIP_1) | instid1(VALU_DEP_2)
	v_bfe_u32 v3, v2, 16, 1
	v_cmp_o_f32_e32 vcc_lo, v2, v2
	v_add3_u32 v3, v2, v3, 0x7fff
	s_delay_alu instid0(VALU_DEP_1) | instskip(NEXT) | instid1(VALU_DEP_1)
	v_lshrrev_b32_e32 v3, 16, v3
	v_cndmask_b32_e32 v2, 0x7fc0, v3, vcc_lo
	global_store_b32 v[4:5], v2, off
.LBB119_3063:
	s_mov_b32 s2, 0
	s_branch .LBB119_3120
.LBB119_3064:
	s_mov_b32 s0, 0
	s_mov_b32 s1, 0
                                        ; implicit-def: $vgpr4_vgpr5
                                        ; implicit-def: $sgpr6
                                        ; implicit-def: $vgpr0_vgpr1
.LBB119_3065:
	s_and_b32 s2, s0, exec_lo
	s_and_not1_b32 s0, s8, exec_lo
	s_and_b32 s3, s10, exec_lo
	s_and_b32 s28, s1, exec_lo
	s_or_b32 s8, s0, s3
.LBB119_3066:
	s_or_b32 exec_lo, exec_lo, s9
	s_and_saveexec_b32 s0, s8
	s_cbranch_execz .LBB119_3069
; %bb.3067:
	; divergent unreachable
	s_or_b32 exec_lo, exec_lo, s0
	s_and_saveexec_b32 s0, s28
	s_delay_alu instid0(SALU_CYCLE_1)
	s_xor_b32 s0, exec_lo, s0
	s_cbranch_execnz .LBB119_3070
.LBB119_3068:
	s_or_b32 exec_lo, exec_lo, s0
	s_and_saveexec_b32 s0, s2
	s_cbranch_execnz .LBB119_3071
	s_branch .LBB119_3108
.LBB119_3069:
	s_or_b32 exec_lo, exec_lo, s0
	s_and_saveexec_b32 s0, s28
	s_delay_alu instid0(SALU_CYCLE_1)
	s_xor_b32 s0, exec_lo, s0
	s_cbranch_execz .LBB119_3068
.LBB119_3070:
	s_waitcnt vmcnt(0)
	s_delay_alu instid0(VALU_DEP_1)
	v_cmp_neq_f64_e32 vcc_lo, 0, v[0:1]
	v_cndmask_b32_e64 v2, 0, 1, vcc_lo
	global_store_b8 v[4:5], v2, off
	s_or_b32 exec_lo, exec_lo, s0
	s_and_saveexec_b32 s0, s2
	s_cbranch_execz .LBB119_3108
.LBB119_3071:
	v_cmp_lt_i16_e64 s0, s6, 5
	s_delay_alu instid0(VALU_DEP_1)
	s_and_b32 vcc_lo, exec_lo, s0
	s_mov_b32 s0, -1
	s_cbranch_vccnz .LBB119_3092
; %bb.3072:
	v_cmp_lt_i16_e64 s0, s6, 8
	s_delay_alu instid0(VALU_DEP_1)
	s_and_b32 vcc_lo, exec_lo, s0
	s_mov_b32 s0, -1
	s_cbranch_vccnz .LBB119_3082
; %bb.3073:
	;; [unrolled: 6-line block ×3, first 2 shown]
	v_cmp_gt_i16_e64 s0, s6, 9
	s_delay_alu instid0(VALU_DEP_1)
	s_and_b32 vcc_lo, exec_lo, s0
	s_mov_b32 s0, -1
	s_cbranch_vccz .LBB119_3076
; %bb.3075:
	v_mov_b32_e32 v2, 0
	s_mov_b32 s0, 0
	s_waitcnt vmcnt(0)
	s_delay_alu instid0(VALU_DEP_1)
	v_mov_b32_e32 v3, v2
	global_store_b128 v[4:5], v[0:3], off
.LBB119_3076:
	s_and_not1_b32 vcc_lo, exec_lo, s0
	s_cbranch_vccnz .LBB119_3078
; %bb.3077:
	s_waitcnt vmcnt(0)
	v_cvt_f32_f64_e32 v2, v[0:1]
	v_mov_b32_e32 v3, 0
	global_store_b64 v[4:5], v[2:3], off
.LBB119_3078:
	s_mov_b32 s0, 0
.LBB119_3079:
	s_delay_alu instid0(SALU_CYCLE_1)
	s_and_not1_b32 vcc_lo, exec_lo, s0
	s_cbranch_vccnz .LBB119_3081
; %bb.3080:
	s_waitcnt vmcnt(0)
	s_delay_alu instid0(VALU_DEP_4) | instskip(NEXT) | instid1(VALU_DEP_1)
	v_cvt_f32_f64_e32 v2, v[0:1]
	v_cvt_f16_f32_e32 v2, v2
	s_delay_alu instid0(VALU_DEP_1)
	v_and_b32_e32 v2, 0xffff, v2
	global_store_b32 v[4:5], v2, off
.LBB119_3081:
	s_mov_b32 s0, 0
.LBB119_3082:
	s_delay_alu instid0(SALU_CYCLE_1)
	s_and_not1_b32 vcc_lo, exec_lo, s0
	s_cbranch_vccnz .LBB119_3091
; %bb.3083:
	v_cmp_lt_i16_e64 s0, s6, 6
	s_delay_alu instid0(VALU_DEP_1)
	s_and_b32 vcc_lo, exec_lo, s0
	s_mov_b32 s0, -1
	s_cbranch_vccnz .LBB119_3089
; %bb.3084:
	v_cmp_gt_i16_e64 s0, s6, 6
	s_delay_alu instid0(VALU_DEP_1)
	s_and_b32 vcc_lo, exec_lo, s0
	s_mov_b32 s0, -1
	s_cbranch_vccz .LBB119_3086
; %bb.3085:
	s_mov_b32 s0, 0
	s_waitcnt vmcnt(0)
	global_store_b64 v[4:5], v[0:1], off
.LBB119_3086:
	s_and_not1_b32 vcc_lo, exec_lo, s0
	s_cbranch_vccnz .LBB119_3088
; %bb.3087:
	s_waitcnt vmcnt(0)
	v_cvt_f32_f64_e32 v2, v[0:1]
	global_store_b32 v[4:5], v2, off
.LBB119_3088:
	s_mov_b32 s0, 0
.LBB119_3089:
	s_delay_alu instid0(SALU_CYCLE_1)
	s_and_not1_b32 vcc_lo, exec_lo, s0
	s_cbranch_vccnz .LBB119_3091
; %bb.3090:
	s_waitcnt vmcnt(0)
	s_delay_alu instid0(VALU_DEP_4) | instskip(NEXT) | instid1(VALU_DEP_1)
	v_cvt_f32_f64_e32 v2, v[0:1]
	v_cvt_f16_f32_e32 v2, v2
	global_store_b16 v[4:5], v2, off
.LBB119_3091:
	s_mov_b32 s0, 0
.LBB119_3092:
	s_delay_alu instid0(SALU_CYCLE_1)
	s_and_not1_b32 vcc_lo, exec_lo, s0
	s_cbranch_vccnz .LBB119_3108
; %bb.3093:
	v_cmp_lt_i16_e64 s0, s6, 2
	s_delay_alu instid0(VALU_DEP_1)
	s_and_b32 vcc_lo, exec_lo, s0
	s_mov_b32 s0, -1
	s_cbranch_vccnz .LBB119_3103
; %bb.3094:
	v_cmp_lt_i16_e64 s0, s6, 3
	s_delay_alu instid0(VALU_DEP_1)
	s_and_b32 vcc_lo, exec_lo, s0
	s_mov_b32 s0, -1
	s_cbranch_vccnz .LBB119_3100
; %bb.3095:
	v_cmp_gt_i16_e64 s0, s6, 3
	s_delay_alu instid0(VALU_DEP_1)
	s_and_b32 vcc_lo, exec_lo, s0
	s_mov_b32 s0, -1
	s_cbranch_vccz .LBB119_3097
; %bb.3096:
	s_waitcnt vmcnt(0)
	v_trunc_f64_e32 v[2:3], v[0:1]
	s_mov_b32 s0, 0
	s_delay_alu instid0(VALU_DEP_1) | instskip(NEXT) | instid1(VALU_DEP_1)
	v_ldexp_f64 v[6:7], v[2:3], 0xffffffe0
	v_floor_f64_e32 v[6:7], v[6:7]
	s_delay_alu instid0(VALU_DEP_1) | instskip(SKIP_1) | instid1(VALU_DEP_2)
	v_fma_f64 v[2:3], 0xc1f00000, v[6:7], v[2:3]
	v_cvt_i32_f64_e32 v7, v[6:7]
	v_cvt_u32_f64_e32 v6, v[2:3]
	global_store_b64 v[4:5], v[6:7], off
.LBB119_3097:
	s_and_not1_b32 vcc_lo, exec_lo, s0
	s_cbranch_vccnz .LBB119_3099
; %bb.3098:
	s_waitcnt vmcnt(0)
	v_cvt_i32_f64_e32 v2, v[0:1]
	global_store_b32 v[4:5], v2, off
.LBB119_3099:
	s_mov_b32 s0, 0
.LBB119_3100:
	s_delay_alu instid0(SALU_CYCLE_1)
	s_and_not1_b32 vcc_lo, exec_lo, s0
	s_cbranch_vccnz .LBB119_3102
; %bb.3101:
	s_waitcnt vmcnt(0)
	s_delay_alu instid0(VALU_DEP_4)
	v_cvt_i32_f64_e32 v2, v[0:1]
	global_store_b16 v[4:5], v2, off
.LBB119_3102:
	s_mov_b32 s0, 0
.LBB119_3103:
	s_delay_alu instid0(SALU_CYCLE_1)
	s_and_not1_b32 vcc_lo, exec_lo, s0
	s_cbranch_vccnz .LBB119_3108
; %bb.3104:
	v_cmp_gt_i16_e64 s0, s6, 0
	s_delay_alu instid0(VALU_DEP_1)
	s_and_b32 vcc_lo, exec_lo, s0
	s_mov_b32 s0, -1
	s_cbranch_vccz .LBB119_3106
; %bb.3105:
	s_waitcnt vmcnt(0)
	s_delay_alu instid0(VALU_DEP_4)
	v_cvt_i32_f64_e32 v2, v[0:1]
	s_mov_b32 s0, 0
	global_store_b8 v[4:5], v2, off
.LBB119_3106:
	s_and_not1_b32 vcc_lo, exec_lo, s0
	s_cbranch_vccnz .LBB119_3108
; %bb.3107:
	s_waitcnt vmcnt(0)
	v_trunc_f64_e32 v[0:1], v[0:1]
	s_delay_alu instid0(VALU_DEP_1) | instskip(NEXT) | instid1(VALU_DEP_1)
	v_ldexp_f64 v[2:3], v[0:1], 0xffffffe0
	v_floor_f64_e32 v[2:3], v[2:3]
	s_delay_alu instid0(VALU_DEP_1) | instskip(NEXT) | instid1(VALU_DEP_1)
	v_fma_f64 v[0:1], 0xc1f00000, v[2:3], v[0:1]
	v_cvt_u32_f64_e32 v0, v[0:1]
	global_store_b8 v[4:5], v0, off
	s_nop 0
	s_sendmsg sendmsg(MSG_DEALLOC_VGPRS)
	s_endpgm
.LBB119_3108:
	s_nop 0
	s_sendmsg sendmsg(MSG_DEALLOC_VGPRS)
	s_endpgm
.LBB119_3109:
	s_mov_b32 s0, 0
	s_branch .LBB119_3130
.LBB119_3110:
	s_or_saveexec_b32 s13, s13
                                        ; implicit-def: $sgpr14
	s_delay_alu instid0(SALU_CYCLE_1)
	s_xor_b32 exec_lo, exec_lo, s13
	s_cbranch_execz .LBB119_2966
.LBB119_3111:
	v_add_f32_e64 v3, 0x46000000, |v2|
	s_and_not1_b32 s12, s12, exec_lo
	s_mov_b32 s14, 0
	s_delay_alu instid0(VALU_DEP_1) | instskip(NEXT) | instid1(VALU_DEP_1)
	v_and_b32_e32 v3, 0xff, v3
	v_cmp_ne_u32_e32 vcc_lo, 0, v3
	s_and_b32 s15, vcc_lo, exec_lo
	s_delay_alu instid0(SALU_CYCLE_1)
	s_or_b32 s12, s12, s15
	s_or_b32 exec_lo, exec_lo, s13
	v_mov_b32_e32 v7, s14
	s_and_saveexec_b32 s13, s12
	s_cbranch_execnz .LBB119_2967
	s_branch .LBB119_2968
.LBB119_3112:
	s_mov_b32 s0, 0
	s_branch .LBB119_3126
.LBB119_3113:
	s_trap 2
	s_sendmsg_rtn_b32 s0, sendmsg(MSG_RTN_GET_DOORBELL)
	s_mov_b32 ttmp2, m0
	s_waitcnt lgkmcnt(0)
	s_and_b32 s0, s0, 0x3ff
	s_delay_alu instid0(SALU_CYCLE_1) | instskip(NEXT) | instid1(SALU_CYCLE_1)
	s_bitset1_b32 s0, 10
	s_mov_b32 m0, s0
	s_sendmsg sendmsg(MSG_INTERRUPT)
	s_mov_b32 m0, ttmp2
.LBB119_3114:                           ; =>This Inner Loop Header: Depth=1
	s_sethalt 5
	s_branch .LBB119_3114
.LBB119_3115:
	s_cbranch_execnz .LBB119_3190
; %bb.3116:
	s_or_b32 s10, s10, exec_lo
	s_cbranch_execz .LBB119_3014
	s_branch .LBB119_3015
.LBB119_3117:
	s_or_saveexec_b32 s12, s12
                                        ; implicit-def: $sgpr13
	s_delay_alu instid0(SALU_CYCLE_1)
	s_xor_b32 exec_lo, exec_lo, s12
	s_cbranch_execz .LBB119_2979
.LBB119_3118:
	v_add_f32_e64 v3, 0x42800000, |v2|
	s_and_not1_b32 s11, s11, exec_lo
	s_mov_b32 s13, 0
	s_delay_alu instid0(VALU_DEP_1) | instskip(NEXT) | instid1(VALU_DEP_1)
	v_and_b32_e32 v3, 0xff, v3
	v_cmp_ne_u32_e32 vcc_lo, 0, v3
	s_and_b32 s14, vcc_lo, exec_lo
	s_delay_alu instid0(SALU_CYCLE_1)
	s_or_b32 s11, s11, s14
	s_or_b32 exec_lo, exec_lo, s12
	v_mov_b32_e32 v7, s13
	s_and_saveexec_b32 s12, s11
	s_cbranch_execnz .LBB119_2980
	s_branch .LBB119_2981
.LBB119_3119:
	s_mov_b32 s0, 0
.LBB119_3120:
	s_and_b32 vcc_lo, exec_lo, s2
	s_cbranch_vccz .LBB119_3125
; %bb.3121:
	v_cmp_eq_u16_e64 s0, s6, 44
	s_delay_alu instid0(VALU_DEP_1)
	s_and_b32 vcc_lo, exec_lo, s0
	s_mov_b32 s0, -1
	s_cbranch_vccz .LBB119_3125
; %bb.3122:
	v_cvt_f32_f64_e32 v2, v[0:1]
	v_mov_b32_e32 v3, 0xff
	s_mov_b32 s2, exec_lo
	s_delay_alu instid0(VALU_DEP_2) | instskip(NEXT) | instid1(VALU_DEP_1)
	v_bfe_u32 v6, v2, 23, 8
	v_cmpx_ne_u32_e32 0xff, v6
; %bb.3123:
	v_and_b32_e32 v3, 0x400000, v2
	v_and_or_b32 v6, 0x3fffff, v2, v6
	v_lshrrev_b32_e32 v2, 23, v2
	s_delay_alu instid0(VALU_DEP_3) | instskip(NEXT) | instid1(VALU_DEP_3)
	v_cmp_ne_u32_e32 vcc_lo, 0, v3
	v_cmp_ne_u32_e64 s0, 0, v6
	s_delay_alu instid0(VALU_DEP_1) | instskip(NEXT) | instid1(SALU_CYCLE_1)
	s_and_b32 s0, vcc_lo, s0
	v_cndmask_b32_e64 v3, 0, 1, s0
	s_delay_alu instid0(VALU_DEP_1)
	v_add_nc_u32_e32 v3, v2, v3
; %bb.3124:
	s_or_b32 exec_lo, exec_lo, s2
	s_mov_b32 s0, 0
	global_store_b8 v[4:5], v3, off
.LBB119_3125:
	s_mov_b32 s2, 0
.LBB119_3126:
	s_delay_alu instid0(SALU_CYCLE_1)
	s_and_b32 vcc_lo, exec_lo, s2
	s_cbranch_vccz .LBB119_3129
; %bb.3127:
	v_cmp_eq_u16_e64 s0, s6, 29
	s_delay_alu instid0(VALU_DEP_1)
	s_and_b32 vcc_lo, exec_lo, s0
	s_mov_b32 s0, -1
	s_cbranch_vccz .LBB119_3129
; %bb.3128:
	v_trunc_f64_e32 v[2:3], v[0:1]
	s_mov_b32 s0, 0
	s_delay_alu instid0(VALU_DEP_1) | instskip(NEXT) | instid1(VALU_DEP_1)
	v_ldexp_f64 v[6:7], v[2:3], 0xffffffe0
	v_floor_f64_e32 v[6:7], v[6:7]
	s_delay_alu instid0(VALU_DEP_1) | instskip(SKIP_1) | instid1(VALU_DEP_2)
	v_fma_f64 v[2:3], 0xc1f00000, v[6:7], v[2:3]
	v_cvt_u32_f64_e32 v7, v[6:7]
	v_cvt_u32_f64_e32 v6, v[2:3]
	global_store_b64 v[4:5], v[6:7], off
.LBB119_3129:
	s_mov_b32 s2, 0
.LBB119_3130:
	s_delay_alu instid0(SALU_CYCLE_1)
	s_and_b32 vcc_lo, exec_lo, s2
	s_cbranch_vccz .LBB119_3145
; %bb.3131:
	v_cmp_lt_i16_e64 s2, s6, 27
	s_delay_alu instid0(VALU_DEP_1)
	s_and_b32 vcc_lo, exec_lo, s2
	s_mov_b32 s2, -1
	s_cbranch_vccnz .LBB119_3137
; %bb.3132:
	v_cmp_gt_i16_e64 s2, s6, 27
	s_delay_alu instid0(VALU_DEP_1)
	s_and_b32 vcc_lo, exec_lo, s2
	s_mov_b32 s2, -1
	s_cbranch_vccz .LBB119_3134
; %bb.3133:
	v_cvt_u32_f64_e32 v2, v[0:1]
	s_mov_b32 s2, 0
	global_store_b32 v[4:5], v2, off
.LBB119_3134:
	s_and_not1_b32 vcc_lo, exec_lo, s2
	s_cbranch_vccnz .LBB119_3136
; %bb.3135:
	v_cvt_u32_f64_e32 v2, v[0:1]
	global_store_b16 v[4:5], v2, off
.LBB119_3136:
	s_mov_b32 s2, 0
.LBB119_3137:
	s_delay_alu instid0(SALU_CYCLE_1)
	s_and_not1_b32 vcc_lo, exec_lo, s2
	s_cbranch_vccnz .LBB119_3145
; %bb.3138:
	v_cvt_f32_f64_e32 v2, v[0:1]
	v_mov_b32_e32 v6, 0x80
	s_mov_b32 s2, exec_lo
	s_delay_alu instid0(VALU_DEP_2) | instskip(NEXT) | instid1(VALU_DEP_1)
	v_and_b32_e32 v3, 0x7fffffff, v2
	v_cmpx_gt_u32_e32 0x43800000, v3
	s_cbranch_execz .LBB119_3144
; %bb.3139:
	v_cmp_lt_u32_e32 vcc_lo, 0x3bffffff, v3
	s_mov_b32 s3, 0
                                        ; implicit-def: $vgpr3
	s_and_saveexec_b32 s4, vcc_lo
	s_delay_alu instid0(SALU_CYCLE_1)
	s_xor_b32 s4, exec_lo, s4
	s_cbranch_execz .LBB119_3188
; %bb.3140:
	v_bfe_u32 v3, v2, 20, 1
	s_mov_b32 s3, exec_lo
	s_delay_alu instid0(VALU_DEP_1) | instskip(NEXT) | instid1(VALU_DEP_1)
	v_add3_u32 v3, v2, v3, 0x487ffff
	v_lshrrev_b32_e32 v3, 20, v3
	s_or_saveexec_b32 s4, s4
                                        ; implicit-def: $sgpr5
	s_delay_alu instid0(SALU_CYCLE_1)
	s_xor_b32 exec_lo, exec_lo, s4
	s_cbranch_execnz .LBB119_3189
.LBB119_3141:
	s_or_b32 exec_lo, exec_lo, s4
	v_mov_b32_e32 v6, s5
	s_and_saveexec_b32 s4, s3
.LBB119_3142:
	v_lshrrev_b32_e32 v2, 24, v2
	s_delay_alu instid0(VALU_DEP_1)
	v_and_or_b32 v6, 0x80, v2, v3
.LBB119_3143:
	s_or_b32 exec_lo, exec_lo, s4
.LBB119_3144:
	s_delay_alu instid0(SALU_CYCLE_1)
	s_or_b32 exec_lo, exec_lo, s2
	global_store_b8 v[4:5], v6, off
.LBB119_3145:
	s_mov_b32 s2, 0
.LBB119_3146:
	s_delay_alu instid0(SALU_CYCLE_1)
	s_and_b32 vcc_lo, exec_lo, s2
	s_cbranch_vccz .LBB119_3186
; %bb.3147:
	v_cmp_gt_i16_e64 s1, s6, 22
	s_delay_alu instid0(VALU_DEP_1)
	s_and_b32 vcc_lo, exec_lo, s1
	s_mov_b32 s1, -1
	s_cbranch_vccz .LBB119_3179
; %bb.3148:
	v_cmp_lt_i16_e64 s1, s6, 24
	s_delay_alu instid0(VALU_DEP_1)
	s_and_b32 vcc_lo, exec_lo, s1
	s_mov_b32 s1, -1
	s_cbranch_vccnz .LBB119_3168
; %bb.3149:
	v_cmp_gt_i16_e64 s1, s6, 24
	s_delay_alu instid0(VALU_DEP_1)
	s_and_b32 vcc_lo, exec_lo, s1
	s_mov_b32 s1, -1
	s_cbranch_vccz .LBB119_3157
; %bb.3150:
	v_cvt_f32_f64_e32 v2, v[0:1]
	v_mov_b32_e32 v6, 0x80
	s_mov_b32 s1, exec_lo
	s_delay_alu instid0(VALU_DEP_2) | instskip(NEXT) | instid1(VALU_DEP_1)
	v_and_b32_e32 v3, 0x7fffffff, v2
	v_cmpx_gt_u32_e32 0x47800000, v3
	s_cbranch_execz .LBB119_3156
; %bb.3151:
	v_cmp_lt_u32_e32 vcc_lo, 0x37ffffff, v3
	s_mov_b32 s2, 0
                                        ; implicit-def: $vgpr3
	s_and_saveexec_b32 s3, vcc_lo
	s_delay_alu instid0(SALU_CYCLE_1)
	s_xor_b32 s3, exec_lo, s3
	s_cbranch_execz .LBB119_3194
; %bb.3152:
	v_bfe_u32 v3, v2, 21, 1
	s_mov_b32 s2, exec_lo
	s_delay_alu instid0(VALU_DEP_1) | instskip(NEXT) | instid1(VALU_DEP_1)
	v_add3_u32 v3, v2, v3, 0x88fffff
	v_lshrrev_b32_e32 v3, 21, v3
	s_or_saveexec_b32 s3, s3
                                        ; implicit-def: $sgpr4
	s_delay_alu instid0(SALU_CYCLE_1)
	s_xor_b32 exec_lo, exec_lo, s3
	s_cbranch_execnz .LBB119_3195
.LBB119_3153:
	s_or_b32 exec_lo, exec_lo, s3
	v_mov_b32_e32 v6, s4
	s_and_saveexec_b32 s3, s2
.LBB119_3154:
	v_lshrrev_b32_e32 v2, 24, v2
	s_delay_alu instid0(VALU_DEP_1)
	v_and_or_b32 v6, 0x80, v2, v3
.LBB119_3155:
	s_or_b32 exec_lo, exec_lo, s3
.LBB119_3156:
	s_delay_alu instid0(SALU_CYCLE_1)
	s_or_b32 exec_lo, exec_lo, s1
	s_mov_b32 s1, 0
	global_store_b8 v[4:5], v6, off
.LBB119_3157:
	s_and_b32 vcc_lo, exec_lo, s1
	s_cbranch_vccz .LBB119_3167
; %bb.3158:
	v_cvt_f32_f64_e32 v2, v[0:1]
	s_mov_b32 s1, exec_lo
                                        ; implicit-def: $vgpr3
	s_delay_alu instid0(VALU_DEP_1) | instskip(NEXT) | instid1(VALU_DEP_1)
	v_and_b32_e32 v6, 0x7fffffff, v2
	v_cmpx_gt_u32_e32 0x43f00000, v6
	s_xor_b32 s1, exec_lo, s1
	s_cbranch_execz .LBB119_3164
; %bb.3159:
	s_mov_b32 s2, exec_lo
                                        ; implicit-def: $vgpr3
	v_cmpx_lt_u32_e32 0x3c7fffff, v6
	s_xor_b32 s2, exec_lo, s2
; %bb.3160:
	v_bfe_u32 v3, v2, 20, 1
	s_delay_alu instid0(VALU_DEP_1) | instskip(NEXT) | instid1(VALU_DEP_1)
	v_add3_u32 v3, v2, v3, 0x407ffff
	v_and_b32_e32 v6, 0xff00000, v3
	v_lshrrev_b32_e32 v3, 20, v3
	s_delay_alu instid0(VALU_DEP_2) | instskip(NEXT) | instid1(VALU_DEP_2)
	v_cmp_ne_u32_e32 vcc_lo, 0x7f00000, v6
	v_cndmask_b32_e32 v3, 0x7e, v3, vcc_lo
; %bb.3161:
	s_and_not1_saveexec_b32 s2, s2
; %bb.3162:
	v_add_f32_e64 v3, 0x46800000, |v2|
; %bb.3163:
	s_or_b32 exec_lo, exec_lo, s2
                                        ; implicit-def: $vgpr6
.LBB119_3164:
	s_and_not1_saveexec_b32 s1, s1
; %bb.3165:
	v_mov_b32_e32 v3, 0x7f
	v_cmp_lt_u32_e32 vcc_lo, 0x7f800000, v6
	s_delay_alu instid0(VALU_DEP_2)
	v_cndmask_b32_e32 v3, 0x7e, v3, vcc_lo
; %bb.3166:
	s_or_b32 exec_lo, exec_lo, s1
	v_lshrrev_b32_e32 v2, 24, v2
	s_delay_alu instid0(VALU_DEP_1)
	v_and_or_b32 v2, 0x80, v2, v3
	global_store_b8 v[4:5], v2, off
.LBB119_3167:
	s_mov_b32 s1, 0
.LBB119_3168:
	s_delay_alu instid0(SALU_CYCLE_1)
	s_and_not1_b32 vcc_lo, exec_lo, s1
	s_cbranch_vccnz .LBB119_3178
; %bb.3169:
	v_cvt_f32_f64_e32 v2, v[0:1]
	s_mov_b32 s1, exec_lo
                                        ; implicit-def: $vgpr3
	s_delay_alu instid0(VALU_DEP_1) | instskip(NEXT) | instid1(VALU_DEP_1)
	v_and_b32_e32 v6, 0x7fffffff, v2
	v_cmpx_gt_u32_e32 0x47800000, v6
	s_xor_b32 s1, exec_lo, s1
	s_cbranch_execz .LBB119_3175
; %bb.3170:
	s_mov_b32 s2, exec_lo
                                        ; implicit-def: $vgpr3
	v_cmpx_lt_u32_e32 0x387fffff, v6
	s_xor_b32 s2, exec_lo, s2
; %bb.3171:
	v_bfe_u32 v3, v2, 21, 1
	s_delay_alu instid0(VALU_DEP_1) | instskip(NEXT) | instid1(VALU_DEP_1)
	v_add3_u32 v3, v2, v3, 0x80fffff
	v_lshrrev_b32_e32 v3, 21, v3
; %bb.3172:
	s_and_not1_saveexec_b32 s2, s2
; %bb.3173:
	v_add_f32_e64 v3, 0x43000000, |v2|
; %bb.3174:
	s_or_b32 exec_lo, exec_lo, s2
                                        ; implicit-def: $vgpr6
.LBB119_3175:
	s_and_not1_saveexec_b32 s1, s1
; %bb.3176:
	v_mov_b32_e32 v3, 0x7f
	v_cmp_lt_u32_e32 vcc_lo, 0x7f800000, v6
	s_delay_alu instid0(VALU_DEP_2)
	v_cndmask_b32_e32 v3, 0x7c, v3, vcc_lo
; %bb.3177:
	s_or_b32 exec_lo, exec_lo, s1
	v_lshrrev_b32_e32 v2, 24, v2
	s_delay_alu instid0(VALU_DEP_1)
	v_and_or_b32 v2, 0x80, v2, v3
	global_store_b8 v[4:5], v2, off
.LBB119_3178:
	s_mov_b32 s1, 0
.LBB119_3179:
	s_delay_alu instid0(SALU_CYCLE_1)
	s_and_not1_b32 vcc_lo, exec_lo, s1
	s_mov_b32 s1, 0
	s_cbranch_vccnz .LBB119_3186
; %bb.3180:
	v_cmp_gt_i16_e64 s1, s6, 14
	s_delay_alu instid0(VALU_DEP_1)
	s_and_b32 vcc_lo, exec_lo, s1
	s_mov_b32 s1, -1
	s_cbranch_vccz .LBB119_3184
; %bb.3181:
	v_cmp_eq_u16_e64 s0, s6, 15
	s_delay_alu instid0(VALU_DEP_1)
	s_and_b32 vcc_lo, exec_lo, s0
	s_mov_b32 s0, -1
	s_cbranch_vccz .LBB119_3183
; %bb.3182:
	v_cvt_f32_f64_e32 v2, v[0:1]
	s_mov_b32 s0, 0
	s_delay_alu instid0(VALU_DEP_1) | instskip(SKIP_1) | instid1(VALU_DEP_2)
	v_bfe_u32 v3, v2, 16, 1
	v_cmp_o_f32_e32 vcc_lo, v2, v2
	v_add3_u32 v3, v2, v3, 0x7fff
	s_delay_alu instid0(VALU_DEP_1) | instskip(NEXT) | instid1(VALU_DEP_1)
	v_lshrrev_b32_e32 v3, 16, v3
	v_cndmask_b32_e32 v2, 0x7fc0, v3, vcc_lo
	global_store_b16 v[4:5], v2, off
.LBB119_3183:
	s_mov_b32 s1, 0
.LBB119_3184:
	s_delay_alu instid0(SALU_CYCLE_1)
	s_and_b32 vcc_lo, exec_lo, s1
	s_mov_b32 s1, 0
	s_cbranch_vccz .LBB119_3186
; %bb.3185:
	v_cmp_ne_u16_e64 s0, s6, 11
	s_mov_b32 s1, -1
.LBB119_3186:
	s_delay_alu instid0(VALU_DEP_1)
	s_and_b32 vcc_lo, exec_lo, s0
	s_cbranch_vccnz .LBB119_3192
.LBB119_3187:
	s_mov_b32 s0, 0
	s_branch .LBB119_3065
.LBB119_3188:
	s_or_saveexec_b32 s4, s4
                                        ; implicit-def: $sgpr5
	s_delay_alu instid0(SALU_CYCLE_1)
	s_xor_b32 exec_lo, exec_lo, s4
	s_cbranch_execz .LBB119_3141
.LBB119_3189:
	v_add_f32_e64 v3, 0x46000000, |v2|
	s_and_not1_b32 s3, s3, exec_lo
	s_mov_b32 s5, 0
	s_delay_alu instid0(VALU_DEP_1) | instskip(NEXT) | instid1(VALU_DEP_1)
	v_and_b32_e32 v3, 0xff, v3
	v_cmp_ne_u32_e32 vcc_lo, 0, v3
	s_and_b32 s7, vcc_lo, exec_lo
	s_delay_alu instid0(SALU_CYCLE_1)
	s_or_b32 s3, s3, s7
	s_or_b32 exec_lo, exec_lo, s4
	v_mov_b32_e32 v6, s5
	s_and_saveexec_b32 s4, s3
	s_cbranch_execnz .LBB119_3142
	s_branch .LBB119_3143
.LBB119_3190:
	s_trap 2
	s_sendmsg_rtn_b32 s0, sendmsg(MSG_RTN_GET_DOORBELL)
	s_mov_b32 ttmp2, m0
	s_waitcnt lgkmcnt(0)
	s_and_b32 s0, s0, 0x3ff
	s_delay_alu instid0(SALU_CYCLE_1) | instskip(NEXT) | instid1(SALU_CYCLE_1)
	s_bitset1_b32 s0, 10
	s_mov_b32 m0, s0
	s_sendmsg sendmsg(MSG_INTERRUPT)
	s_mov_b32 m0, ttmp2
.LBB119_3191:                           ; =>This Inner Loop Header: Depth=1
	s_sethalt 5
	s_branch .LBB119_3191
.LBB119_3192:
	s_cbranch_execnz .LBB119_3196
; %bb.3193:
	s_mov_b32 s1, 0
	s_or_b32 s10, s10, exec_lo
	s_branch .LBB119_3187
.LBB119_3194:
	s_or_saveexec_b32 s3, s3
                                        ; implicit-def: $sgpr4
	s_delay_alu instid0(SALU_CYCLE_1)
	s_xor_b32 exec_lo, exec_lo, s3
	s_cbranch_execz .LBB119_3153
.LBB119_3195:
	v_add_f32_e64 v3, 0x42800000, |v2|
	s_and_not1_b32 s2, s2, exec_lo
	s_mov_b32 s4, 0
	s_delay_alu instid0(VALU_DEP_1) | instskip(NEXT) | instid1(VALU_DEP_1)
	v_and_b32_e32 v3, 0xff, v3
	v_cmp_ne_u32_e32 vcc_lo, 0, v3
	s_and_b32 s5, vcc_lo, exec_lo
	s_delay_alu instid0(SALU_CYCLE_1)
	s_or_b32 s2, s2, s5
	s_or_b32 exec_lo, exec_lo, s3
	v_mov_b32_e32 v6, s4
	s_and_saveexec_b32 s3, s2
	s_cbranch_execnz .LBB119_3154
	s_branch .LBB119_3155
.LBB119_3196:
	s_trap 2
	s_sendmsg_rtn_b32 s0, sendmsg(MSG_RTN_GET_DOORBELL)
	s_mov_b32 ttmp2, m0
	s_waitcnt lgkmcnt(0)
	s_and_b32 s0, s0, 0x3ff
	s_delay_alu instid0(SALU_CYCLE_1) | instskip(NEXT) | instid1(SALU_CYCLE_1)
	s_bitset1_b32 s0, 10
	s_mov_b32 m0, s0
	s_sendmsg sendmsg(MSG_INTERRUPT)
	s_mov_b32 m0, ttmp2
.LBB119_3197:                           ; =>This Inner Loop Header: Depth=1
	s_sethalt 5
	s_branch .LBB119_3197
	.section	.rodata,"a",@progbits
	.p2align	6, 0x0
	.amdhsa_kernel _ZN2at6native32elementwise_kernel_manual_unrollILi128ELi4EZNS0_15gpu_kernel_implIZNS0_12_GLOBAL__N_119masked_scale_kernelIbddEEvRNS_6TensorERKS5_S8_T1_EUldbE_EEvRNS_18TensorIteratorBaseERKT_EUlibE0_EEviS9_
		.amdhsa_group_segment_fixed_size 0
		.amdhsa_private_segment_fixed_size 0
		.amdhsa_kernarg_size 440
		.amdhsa_user_sgpr_count 15
		.amdhsa_user_sgpr_dispatch_ptr 0
		.amdhsa_user_sgpr_queue_ptr 0
		.amdhsa_user_sgpr_kernarg_segment_ptr 1
		.amdhsa_user_sgpr_dispatch_id 0
		.amdhsa_user_sgpr_private_segment_size 0
		.amdhsa_wavefront_size32 1
		.amdhsa_uses_dynamic_stack 0
		.amdhsa_enable_private_segment 0
		.amdhsa_system_sgpr_workgroup_id_x 1
		.amdhsa_system_sgpr_workgroup_id_y 0
		.amdhsa_system_sgpr_workgroup_id_z 0
		.amdhsa_system_sgpr_workgroup_info 0
		.amdhsa_system_vgpr_workitem_id 0
		.amdhsa_next_free_vgpr 22
		.amdhsa_next_free_sgpr 62
		.amdhsa_reserve_vcc 1
		.amdhsa_float_round_mode_32 0
		.amdhsa_float_round_mode_16_64 0
		.amdhsa_float_denorm_mode_32 3
		.amdhsa_float_denorm_mode_16_64 3
		.amdhsa_dx10_clamp 1
		.amdhsa_ieee_mode 1
		.amdhsa_fp16_overflow 0
		.amdhsa_workgroup_processor_mode 1
		.amdhsa_memory_ordered 1
		.amdhsa_forward_progress 0
		.amdhsa_shared_vgpr_count 0
		.amdhsa_exception_fp_ieee_invalid_op 0
		.amdhsa_exception_fp_denorm_src 0
		.amdhsa_exception_fp_ieee_div_zero 0
		.amdhsa_exception_fp_ieee_overflow 0
		.amdhsa_exception_fp_ieee_underflow 0
		.amdhsa_exception_fp_ieee_inexact 0
		.amdhsa_exception_int_div_zero 0
	.end_amdhsa_kernel
	.section	.text._ZN2at6native32elementwise_kernel_manual_unrollILi128ELi4EZNS0_15gpu_kernel_implIZNS0_12_GLOBAL__N_119masked_scale_kernelIbddEEvRNS_6TensorERKS5_S8_T1_EUldbE_EEvRNS_18TensorIteratorBaseERKT_EUlibE0_EEviS9_,"axG",@progbits,_ZN2at6native32elementwise_kernel_manual_unrollILi128ELi4EZNS0_15gpu_kernel_implIZNS0_12_GLOBAL__N_119masked_scale_kernelIbddEEvRNS_6TensorERKS5_S8_T1_EUldbE_EEvRNS_18TensorIteratorBaseERKT_EUlibE0_EEviS9_,comdat
.Lfunc_end119:
	.size	_ZN2at6native32elementwise_kernel_manual_unrollILi128ELi4EZNS0_15gpu_kernel_implIZNS0_12_GLOBAL__N_119masked_scale_kernelIbddEEvRNS_6TensorERKS5_S8_T1_EUldbE_EEvRNS_18TensorIteratorBaseERKT_EUlibE0_EEviS9_, .Lfunc_end119-_ZN2at6native32elementwise_kernel_manual_unrollILi128ELi4EZNS0_15gpu_kernel_implIZNS0_12_GLOBAL__N_119masked_scale_kernelIbddEEvRNS_6TensorERKS5_S8_T1_EUldbE_EEvRNS_18TensorIteratorBaseERKT_EUlibE0_EEviS9_
                                        ; -- End function
	.section	.AMDGPU.csdata,"",@progbits
; Kernel info:
; codeLenInByte = 60048
; NumSgprs: 64
; NumVgprs: 22
; ScratchSize: 0
; MemoryBound: 1
; FloatMode: 240
; IeeeMode: 1
; LDSByteSize: 0 bytes/workgroup (compile time only)
; SGPRBlocks: 7
; VGPRBlocks: 2
; NumSGPRsForWavesPerEU: 64
; NumVGPRsForWavesPerEU: 22
; Occupancy: 16
; WaveLimiterHint : 1
; COMPUTE_PGM_RSRC2:SCRATCH_EN: 0
; COMPUTE_PGM_RSRC2:USER_SGPR: 15
; COMPUTE_PGM_RSRC2:TRAP_HANDLER: 0
; COMPUTE_PGM_RSRC2:TGID_X_EN: 1
; COMPUTE_PGM_RSRC2:TGID_Y_EN: 0
; COMPUTE_PGM_RSRC2:TGID_Z_EN: 0
; COMPUTE_PGM_RSRC2:TIDIG_COMP_CNT: 0
	.section	.text._ZN2at6native29vectorized_elementwise_kernelILi16EZNS0_12_GLOBAL__N_119masked_scale_kernelIbffEEvRNS_6TensorERKS4_S7_T1_EUlfbE_St5arrayIPcLm3EEEEviT0_S8_,"axG",@progbits,_ZN2at6native29vectorized_elementwise_kernelILi16EZNS0_12_GLOBAL__N_119masked_scale_kernelIbffEEvRNS_6TensorERKS4_S7_T1_EUlfbE_St5arrayIPcLm3EEEEviT0_S8_,comdat
	.globl	_ZN2at6native29vectorized_elementwise_kernelILi16EZNS0_12_GLOBAL__N_119masked_scale_kernelIbffEEvRNS_6TensorERKS4_S7_T1_EUlfbE_St5arrayIPcLm3EEEEviT0_S8_ ; -- Begin function _ZN2at6native29vectorized_elementwise_kernelILi16EZNS0_12_GLOBAL__N_119masked_scale_kernelIbffEEvRNS_6TensorERKS4_S7_T1_EUlfbE_St5arrayIPcLm3EEEEviT0_S8_
	.p2align	8
	.type	_ZN2at6native29vectorized_elementwise_kernelILi16EZNS0_12_GLOBAL__N_119masked_scale_kernelIbffEEvRNS_6TensorERKS4_S7_T1_EUlfbE_St5arrayIPcLm3EEEEviT0_S8_,@function
_ZN2at6native29vectorized_elementwise_kernelILi16EZNS0_12_GLOBAL__N_119masked_scale_kernelIbffEEvRNS_6TensorERKS4_S7_T1_EUlfbE_St5arrayIPcLm3EEEEviT0_S8_: ; @_ZN2at6native29vectorized_elementwise_kernelILi16EZNS0_12_GLOBAL__N_119masked_scale_kernelIbffEEvRNS_6TensorERKS4_S7_T1_EUlfbE_St5arrayIPcLm3EEEEviT0_S8_
; %bb.0:
	s_clause 0x2
	s_load_b64 s[8:9], s[0:1], 0x0
	s_load_b128 s[4:7], s[0:1], 0x8
	s_load_b64 s[10:11], s[0:1], 0x18
	s_lshl_b32 s2, s15, 10
	s_mov_b32 s0, -1
	s_waitcnt lgkmcnt(0)
	s_sub_i32 s1, s8, s2
	s_delay_alu instid0(SALU_CYCLE_1)
	s_cmpk_gt_i32 s1, 0x3ff
	s_cbranch_scc0 .LBB120_2
; %bb.1:
	s_ashr_i32 s3, s2, 31
	v_lshlrev_b32_e32 v1, 2, v0
	s_lshl_b64 s[12:13], s[2:3], 2
	s_mov_b32 s0, 0
	s_add_u32 s14, s6, s12
	s_addc_u32 s15, s7, s13
	s_add_u32 s16, s10, s2
	s_addc_u32 s17, s11, s3
	s_add_u32 s12, s4, s12
	global_load_b32 v5, v1, s[16:17]
	s_addc_u32 s13, s5, s13
	s_waitcnt vmcnt(0)
	v_and_b32_e32 v7, 0xff, v5
	v_and_b32_e32 v8, 0xff00, v5
	s_delay_alu instid0(VALU_DEP_2) | instskip(SKIP_2) | instid1(VALU_DEP_4)
	v_cmp_ne_u32_e32 vcc_lo, 0, v7
	v_cndmask_b32_e64 v7, 0, 1.0, vcc_lo
	v_lshlrev_b32_e32 v6, 4, v0
	v_cmp_ne_u32_e32 vcc_lo, 0, v8
	global_load_b128 v[1:4], v6, s[14:15]
	v_cndmask_b32_e64 v8, 0, 1.0, vcc_lo
	s_waitcnt vmcnt(0)
	s_delay_alu instid0(VALU_DEP_1) | instskip(SKIP_1) | instid1(VALU_DEP_2)
	v_dual_mul_f32 v1, v1, v7 :: v_dual_mul_f32 v2, v2, v8
	v_and_b32_e32 v9, 0xff0000, v5
	v_dual_mul_f32 v1, s9, v1 :: v_dual_mul_f32 v2, s9, v2
	s_delay_alu instid0(VALU_DEP_2) | instskip(SKIP_3) | instid1(VALU_DEP_1)
	v_cmp_ne_u32_e32 vcc_lo, 0, v9
	v_cndmask_b32_e64 v9, 0, 1.0, vcc_lo
	v_cmp_lt_u32_e32 vcc_lo, 0xffffff, v5
	v_cndmask_b32_e64 v5, 0, 1.0, vcc_lo
	v_mul_f32_e32 v4, v4, v5
	s_delay_alu instid0(VALU_DEP_1) | instskip(NEXT) | instid1(VALU_DEP_1)
	v_dual_mul_f32 v3, v3, v9 :: v_dual_mul_f32 v4, s9, v4
	v_mul_f32_e32 v3, s9, v3
	global_store_b128 v6, v[1:4], s[12:13]
.LBB120_2:
	s_and_not1_b32 vcc_lo, exec_lo, s0
	s_cbranch_vccnz .LBB120_16
; %bb.3:
	v_cmp_gt_i32_e32 vcc_lo, s1, v0
	v_dual_mov_b32 v4, 0 :: v_dual_mov_b32 v5, 0
	v_or_b32_e32 v1, s2, v0
	v_or_b32_e32 v3, 0x100, v0
	v_mov_b32_e32 v2, 0
	v_mov_b32_e32 v6, v0
	s_and_saveexec_b32 s3, vcc_lo
	s_cbranch_execz .LBB120_5
; %bb.4:
	v_mov_b32_e32 v2, 0
	global_load_u8 v7, v1, s[10:11]
	v_lshlrev_b64 v[5:6], 2, v[1:2]
	s_delay_alu instid0(VALU_DEP_1) | instskip(NEXT) | instid1(VALU_DEP_1)
	v_add_co_u32 v5, s0, s6, v5
	v_add_co_ci_u32_e64 v6, s0, s7, v6, s0
	global_load_b32 v2, v[5:6], off
	v_or_b32_e32 v6, 0x100, v0
	s_waitcnt vmcnt(1)
	v_cmp_ne_u16_e64 s0, 0, v7
	s_delay_alu instid0(VALU_DEP_1)
	v_cndmask_b32_e64 v5, 0, 1.0, s0
.LBB120_5:
	s_or_b32 exec_lo, exec_lo, s3
	v_mov_b32_e32 v7, 0
	s_mov_b32 s3, exec_lo
	v_cmpx_gt_i32_e64 s1, v6
	s_cbranch_execz .LBB120_7
; %bb.6:
	v_dual_mov_b32 v8, 0 :: v_dual_add_nc_u32 v7, s2, v6
	v_add_nc_u32_e32 v6, 0x100, v6
	global_load_u8 v10, v7, s[10:11]
	v_lshlrev_b64 v[8:9], 2, v[7:8]
	s_delay_alu instid0(VALU_DEP_1) | instskip(NEXT) | instid1(VALU_DEP_1)
	v_add_co_u32 v7, s0, s6, v8
	v_add_co_ci_u32_e64 v8, s0, s7, v9, s0
	global_load_b32 v4, v[7:8], off
	s_waitcnt vmcnt(1)
	v_cmp_ne_u16_e64 s0, 0, v10
	s_delay_alu instid0(VALU_DEP_1)
	v_cndmask_b32_e64 v7, 0, 1.0, s0
.LBB120_7:
	s_or_b32 exec_lo, exec_lo, s3
	v_dual_mov_b32 v8, 0 :: v_dual_mov_b32 v9, 0
	v_mov_b32_e32 v10, 0
	s_mov_b32 s3, exec_lo
	v_cmpx_gt_i32_e64 s1, v6
	s_cbranch_execz .LBB120_9
; %bb.8:
	v_dual_mov_b32 v10, 0 :: v_dual_add_nc_u32 v9, s2, v6
	v_add_nc_u32_e32 v6, 0x100, v6
	global_load_u8 v12, v9, s[10:11]
	v_lshlrev_b64 v[10:11], 2, v[9:10]
	s_delay_alu instid0(VALU_DEP_1) | instskip(NEXT) | instid1(VALU_DEP_1)
	v_add_co_u32 v9, s0, s6, v10
	v_add_co_ci_u32_e64 v10, s0, s7, v11, s0
	global_load_b32 v9, v[9:10], off
	s_waitcnt vmcnt(1)
	v_cmp_ne_u16_e64 s0, 0, v12
	s_delay_alu instid0(VALU_DEP_1)
	v_cndmask_b32_e64 v10, 0, 1.0, s0
.LBB120_9:
	s_or_b32 exec_lo, exec_lo, s3
	s_delay_alu instid0(SALU_CYCLE_1)
	s_mov_b32 s3, exec_lo
	v_cmpx_gt_i32_e64 s1, v6
	s_cbranch_execz .LBB120_11
; %bb.10:
	v_dual_mov_b32 v12, 0 :: v_dual_add_nc_u32 v11, s2, v6
	global_load_u8 v6, v11, s[10:11]
	v_lshlrev_b64 v[12:13], 2, v[11:12]
	s_delay_alu instid0(VALU_DEP_1) | instskip(NEXT) | instid1(VALU_DEP_1)
	v_add_co_u32 v11, s0, s6, v12
	v_add_co_ci_u32_e64 v12, s0, s7, v13, s0
	global_load_b32 v8, v[11:12], off
	s_waitcnt vmcnt(1)
	v_cmp_ne_u16_e64 s0, 0, v6
	s_delay_alu instid0(VALU_DEP_1) | instskip(SKIP_1) | instid1(VALU_DEP_1)
	v_cndmask_b32_e64 v6, 0, 1.0, s0
	s_waitcnt vmcnt(0)
	v_mul_f32_e32 v8, v8, v6
.LBB120_11:
	s_or_b32 exec_lo, exec_lo, s3
	s_waitcnt vmcnt(0)
	v_dual_mul_f32 v2, v2, v5 :: v_dual_mul_f32 v5, v9, v10
	s_delay_alu instid0(VALU_DEP_1) | instskip(NEXT) | instid1(VALU_DEP_1)
	v_dual_mul_f32 v4, v4, v7 :: v_dual_mul_f32 v7, s9, v2
	v_dual_mul_f32 v5, s9, v5 :: v_dual_mul_f32 v6, s9, v4
	v_mul_f32_e32 v4, s9, v8
	s_and_saveexec_b32 s0, vcc_lo
	s_cbranch_execnz .LBB120_17
; %bb.12:
	s_or_b32 exec_lo, exec_lo, s0
	s_delay_alu instid0(SALU_CYCLE_1)
	s_mov_b32 s0, exec_lo
	v_cmpx_gt_i32_e64 s1, v0
	s_cbranch_execnz .LBB120_18
.LBB120_13:
	s_or_b32 exec_lo, exec_lo, s0
	s_delay_alu instid0(SALU_CYCLE_1)
	s_mov_b32 s0, exec_lo
	v_cmpx_gt_i32_e64 s1, v0
	s_cbranch_execnz .LBB120_19
.LBB120_14:
	s_or_b32 exec_lo, exec_lo, s0
	s_delay_alu instid0(SALU_CYCLE_1)
	s_mov_b32 s0, exec_lo
	v_cmpx_gt_i32_e64 s1, v0
	s_cbranch_execz .LBB120_16
.LBB120_15:
	v_dual_mov_b32 v1, 0 :: v_dual_add_nc_u32 v0, s2, v0
	s_delay_alu instid0(VALU_DEP_1) | instskip(NEXT) | instid1(VALU_DEP_1)
	v_lshlrev_b64 v[0:1], 2, v[0:1]
	v_add_co_u32 v0, vcc_lo, s4, v0
	s_delay_alu instid0(VALU_DEP_2)
	v_add_co_ci_u32_e32 v1, vcc_lo, s5, v1, vcc_lo
	global_store_b32 v[0:1], v4, off
.LBB120_16:
	s_nop 0
	s_sendmsg sendmsg(MSG_DEALLOC_VGPRS)
	s_endpgm
.LBB120_17:
	v_mov_b32_e32 v2, 0
	s_delay_alu instid0(VALU_DEP_1) | instskip(NEXT) | instid1(VALU_DEP_1)
	v_lshlrev_b64 v[0:1], 2, v[1:2]
	v_add_co_u32 v8, vcc_lo, s4, v0
	s_delay_alu instid0(VALU_DEP_2) | instskip(SKIP_3) | instid1(SALU_CYCLE_1)
	v_add_co_ci_u32_e32 v9, vcc_lo, s5, v1, vcc_lo
	v_mov_b32_e32 v0, v3
	global_store_b32 v[8:9], v7, off
	s_or_b32 exec_lo, exec_lo, s0
	s_mov_b32 s0, exec_lo
	v_cmpx_gt_i32_e64 s1, v0
	s_cbranch_execz .LBB120_13
.LBB120_18:
	v_dual_mov_b32 v2, 0 :: v_dual_add_nc_u32 v1, s2, v0
	v_add_nc_u32_e32 v0, 0x100, v0
	s_delay_alu instid0(VALU_DEP_2) | instskip(NEXT) | instid1(VALU_DEP_1)
	v_lshlrev_b64 v[1:2], 2, v[1:2]
	v_add_co_u32 v1, vcc_lo, s4, v1
	s_delay_alu instid0(VALU_DEP_2) | instskip(SKIP_2) | instid1(SALU_CYCLE_1)
	v_add_co_ci_u32_e32 v2, vcc_lo, s5, v2, vcc_lo
	global_store_b32 v[1:2], v6, off
	s_or_b32 exec_lo, exec_lo, s0
	s_mov_b32 s0, exec_lo
	v_cmpx_gt_i32_e64 s1, v0
	s_cbranch_execz .LBB120_14
.LBB120_19:
	v_dual_mov_b32 v2, 0 :: v_dual_add_nc_u32 v1, s2, v0
	v_add_nc_u32_e32 v0, 0x100, v0
	s_delay_alu instid0(VALU_DEP_2) | instskip(NEXT) | instid1(VALU_DEP_1)
	v_lshlrev_b64 v[1:2], 2, v[1:2]
	v_add_co_u32 v1, vcc_lo, s4, v1
	s_delay_alu instid0(VALU_DEP_2) | instskip(SKIP_2) | instid1(SALU_CYCLE_1)
	v_add_co_ci_u32_e32 v2, vcc_lo, s5, v2, vcc_lo
	global_store_b32 v[1:2], v5, off
	s_or_b32 exec_lo, exec_lo, s0
	s_mov_b32 s0, exec_lo
	v_cmpx_gt_i32_e64 s1, v0
	s_cbranch_execnz .LBB120_15
	s_branch .LBB120_16
	.section	.rodata,"a",@progbits
	.p2align	6, 0x0
	.amdhsa_kernel _ZN2at6native29vectorized_elementwise_kernelILi16EZNS0_12_GLOBAL__N_119masked_scale_kernelIbffEEvRNS_6TensorERKS4_S7_T1_EUlfbE_St5arrayIPcLm3EEEEviT0_S8_
		.amdhsa_group_segment_fixed_size 0
		.amdhsa_private_segment_fixed_size 0
		.amdhsa_kernarg_size 32
		.amdhsa_user_sgpr_count 15
		.amdhsa_user_sgpr_dispatch_ptr 0
		.amdhsa_user_sgpr_queue_ptr 0
		.amdhsa_user_sgpr_kernarg_segment_ptr 1
		.amdhsa_user_sgpr_dispatch_id 0
		.amdhsa_user_sgpr_private_segment_size 0
		.amdhsa_wavefront_size32 1
		.amdhsa_uses_dynamic_stack 0
		.amdhsa_enable_private_segment 0
		.amdhsa_system_sgpr_workgroup_id_x 1
		.amdhsa_system_sgpr_workgroup_id_y 0
		.amdhsa_system_sgpr_workgroup_id_z 0
		.amdhsa_system_sgpr_workgroup_info 0
		.amdhsa_system_vgpr_workitem_id 0
		.amdhsa_next_free_vgpr 14
		.amdhsa_next_free_sgpr 18
		.amdhsa_reserve_vcc 1
		.amdhsa_float_round_mode_32 0
		.amdhsa_float_round_mode_16_64 0
		.amdhsa_float_denorm_mode_32 3
		.amdhsa_float_denorm_mode_16_64 3
		.amdhsa_dx10_clamp 1
		.amdhsa_ieee_mode 1
		.amdhsa_fp16_overflow 0
		.amdhsa_workgroup_processor_mode 1
		.amdhsa_memory_ordered 1
		.amdhsa_forward_progress 0
		.amdhsa_shared_vgpr_count 0
		.amdhsa_exception_fp_ieee_invalid_op 0
		.amdhsa_exception_fp_denorm_src 0
		.amdhsa_exception_fp_ieee_div_zero 0
		.amdhsa_exception_fp_ieee_overflow 0
		.amdhsa_exception_fp_ieee_underflow 0
		.amdhsa_exception_fp_ieee_inexact 0
		.amdhsa_exception_int_div_zero 0
	.end_amdhsa_kernel
	.section	.text._ZN2at6native29vectorized_elementwise_kernelILi16EZNS0_12_GLOBAL__N_119masked_scale_kernelIbffEEvRNS_6TensorERKS4_S7_T1_EUlfbE_St5arrayIPcLm3EEEEviT0_S8_,"axG",@progbits,_ZN2at6native29vectorized_elementwise_kernelILi16EZNS0_12_GLOBAL__N_119masked_scale_kernelIbffEEvRNS_6TensorERKS4_S7_T1_EUlfbE_St5arrayIPcLm3EEEEviT0_S8_,comdat
.Lfunc_end120:
	.size	_ZN2at6native29vectorized_elementwise_kernelILi16EZNS0_12_GLOBAL__N_119masked_scale_kernelIbffEEvRNS_6TensorERKS4_S7_T1_EUlfbE_St5arrayIPcLm3EEEEviT0_S8_, .Lfunc_end120-_ZN2at6native29vectorized_elementwise_kernelILi16EZNS0_12_GLOBAL__N_119masked_scale_kernelIbffEEvRNS_6TensorERKS4_S7_T1_EUlfbE_St5arrayIPcLm3EEEEviT0_S8_
                                        ; -- End function
	.section	.AMDGPU.csdata,"",@progbits
; Kernel info:
; codeLenInByte = 1104
; NumSgprs: 20
; NumVgprs: 14
; ScratchSize: 0
; MemoryBound: 0
; FloatMode: 240
; IeeeMode: 1
; LDSByteSize: 0 bytes/workgroup (compile time only)
; SGPRBlocks: 2
; VGPRBlocks: 1
; NumSGPRsForWavesPerEU: 20
; NumVGPRsForWavesPerEU: 14
; Occupancy: 16
; WaveLimiterHint : 0
; COMPUTE_PGM_RSRC2:SCRATCH_EN: 0
; COMPUTE_PGM_RSRC2:USER_SGPR: 15
; COMPUTE_PGM_RSRC2:TRAP_HANDLER: 0
; COMPUTE_PGM_RSRC2:TGID_X_EN: 1
; COMPUTE_PGM_RSRC2:TGID_Y_EN: 0
; COMPUTE_PGM_RSRC2:TGID_Z_EN: 0
; COMPUTE_PGM_RSRC2:TIDIG_COMP_CNT: 0
	.section	.text._ZN2at6native29vectorized_elementwise_kernelILi8EZNS0_12_GLOBAL__N_119masked_scale_kernelIbffEEvRNS_6TensorERKS4_S7_T1_EUlfbE_St5arrayIPcLm3EEEEviT0_S8_,"axG",@progbits,_ZN2at6native29vectorized_elementwise_kernelILi8EZNS0_12_GLOBAL__N_119masked_scale_kernelIbffEEvRNS_6TensorERKS4_S7_T1_EUlfbE_St5arrayIPcLm3EEEEviT0_S8_,comdat
	.globl	_ZN2at6native29vectorized_elementwise_kernelILi8EZNS0_12_GLOBAL__N_119masked_scale_kernelIbffEEvRNS_6TensorERKS4_S7_T1_EUlfbE_St5arrayIPcLm3EEEEviT0_S8_ ; -- Begin function _ZN2at6native29vectorized_elementwise_kernelILi8EZNS0_12_GLOBAL__N_119masked_scale_kernelIbffEEvRNS_6TensorERKS4_S7_T1_EUlfbE_St5arrayIPcLm3EEEEviT0_S8_
	.p2align	8
	.type	_ZN2at6native29vectorized_elementwise_kernelILi8EZNS0_12_GLOBAL__N_119masked_scale_kernelIbffEEvRNS_6TensorERKS4_S7_T1_EUlfbE_St5arrayIPcLm3EEEEviT0_S8_,@function
_ZN2at6native29vectorized_elementwise_kernelILi8EZNS0_12_GLOBAL__N_119masked_scale_kernelIbffEEvRNS_6TensorERKS4_S7_T1_EUlfbE_St5arrayIPcLm3EEEEviT0_S8_: ; @_ZN2at6native29vectorized_elementwise_kernelILi8EZNS0_12_GLOBAL__N_119masked_scale_kernelIbffEEvRNS_6TensorERKS4_S7_T1_EUlfbE_St5arrayIPcLm3EEEEviT0_S8_
; %bb.0:
	s_clause 0x2
	s_load_b64 s[8:9], s[0:1], 0x0
	s_load_b128 s[4:7], s[0:1], 0x8
	s_load_b64 s[10:11], s[0:1], 0x18
	s_lshl_b32 s2, s15, 10
	s_mov_b32 s0, -1
	s_waitcnt lgkmcnt(0)
	s_sub_i32 s1, s8, s2
	s_delay_alu instid0(SALU_CYCLE_1)
	s_cmpk_gt_i32 s1, 0x3ff
	s_cbranch_scc0 .LBB121_2
; %bb.1:
	s_ashr_i32 s3, s2, 31
	v_lshlrev_b32_e32 v1, 2, v0
	s_lshl_b64 s[12:13], s[2:3], 2
	s_mov_b32 s0, 0
	s_add_u32 s14, s6, s12
	s_addc_u32 s15, s7, s13
	s_add_u32 s16, s10, s2
	s_addc_u32 s17, s11, s3
	s_add_u32 s12, s4, s12
	global_load_b32 v5, v1, s[16:17]
	s_addc_u32 s13, s5, s13
	s_waitcnt vmcnt(0)
	v_and_b32_e32 v7, 0xff, v5
	v_and_b32_e32 v8, 0xff00, v5
	s_delay_alu instid0(VALU_DEP_2) | instskip(SKIP_2) | instid1(VALU_DEP_4)
	v_cmp_ne_u32_e32 vcc_lo, 0, v7
	v_cndmask_b32_e64 v7, 0, 1.0, vcc_lo
	v_lshlrev_b32_e32 v6, 4, v0
	v_cmp_ne_u32_e32 vcc_lo, 0, v8
	global_load_b128 v[1:4], v6, s[14:15]
	v_cndmask_b32_e64 v8, 0, 1.0, vcc_lo
	s_waitcnt vmcnt(0)
	s_delay_alu instid0(VALU_DEP_1) | instskip(SKIP_1) | instid1(VALU_DEP_2)
	v_dual_mul_f32 v1, v1, v7 :: v_dual_mul_f32 v2, v2, v8
	v_and_b32_e32 v9, 0xff0000, v5
	v_dual_mul_f32 v1, s9, v1 :: v_dual_mul_f32 v2, s9, v2
	s_delay_alu instid0(VALU_DEP_2) | instskip(SKIP_3) | instid1(VALU_DEP_1)
	v_cmp_ne_u32_e32 vcc_lo, 0, v9
	v_cndmask_b32_e64 v9, 0, 1.0, vcc_lo
	v_cmp_lt_u32_e32 vcc_lo, 0xffffff, v5
	v_cndmask_b32_e64 v5, 0, 1.0, vcc_lo
	v_mul_f32_e32 v4, v4, v5
	s_delay_alu instid0(VALU_DEP_1) | instskip(NEXT) | instid1(VALU_DEP_1)
	v_dual_mul_f32 v3, v3, v9 :: v_dual_mul_f32 v4, s9, v4
	v_mul_f32_e32 v3, s9, v3
	global_store_b128 v6, v[1:4], s[12:13]
.LBB121_2:
	s_and_not1_b32 vcc_lo, exec_lo, s0
	s_cbranch_vccnz .LBB121_16
; %bb.3:
	v_cmp_gt_i32_e32 vcc_lo, s1, v0
	v_dual_mov_b32 v4, 0 :: v_dual_mov_b32 v5, 0
	v_or_b32_e32 v1, s2, v0
	v_or_b32_e32 v3, 0x100, v0
	v_mov_b32_e32 v2, 0
	v_mov_b32_e32 v6, v0
	s_and_saveexec_b32 s3, vcc_lo
	s_cbranch_execz .LBB121_5
; %bb.4:
	v_mov_b32_e32 v2, 0
	global_load_u8 v7, v1, s[10:11]
	v_lshlrev_b64 v[5:6], 2, v[1:2]
	s_delay_alu instid0(VALU_DEP_1) | instskip(NEXT) | instid1(VALU_DEP_1)
	v_add_co_u32 v5, s0, s6, v5
	v_add_co_ci_u32_e64 v6, s0, s7, v6, s0
	global_load_b32 v2, v[5:6], off
	v_or_b32_e32 v6, 0x100, v0
	s_waitcnt vmcnt(1)
	v_cmp_ne_u16_e64 s0, 0, v7
	s_delay_alu instid0(VALU_DEP_1)
	v_cndmask_b32_e64 v5, 0, 1.0, s0
.LBB121_5:
	s_or_b32 exec_lo, exec_lo, s3
	v_mov_b32_e32 v7, 0
	s_mov_b32 s3, exec_lo
	v_cmpx_gt_i32_e64 s1, v6
	s_cbranch_execz .LBB121_7
; %bb.6:
	v_dual_mov_b32 v8, 0 :: v_dual_add_nc_u32 v7, s2, v6
	v_add_nc_u32_e32 v6, 0x100, v6
	global_load_u8 v10, v7, s[10:11]
	v_lshlrev_b64 v[8:9], 2, v[7:8]
	s_delay_alu instid0(VALU_DEP_1) | instskip(NEXT) | instid1(VALU_DEP_1)
	v_add_co_u32 v7, s0, s6, v8
	v_add_co_ci_u32_e64 v8, s0, s7, v9, s0
	global_load_b32 v4, v[7:8], off
	s_waitcnt vmcnt(1)
	v_cmp_ne_u16_e64 s0, 0, v10
	s_delay_alu instid0(VALU_DEP_1)
	v_cndmask_b32_e64 v7, 0, 1.0, s0
.LBB121_7:
	s_or_b32 exec_lo, exec_lo, s3
	v_dual_mov_b32 v8, 0 :: v_dual_mov_b32 v9, 0
	v_mov_b32_e32 v10, 0
	s_mov_b32 s3, exec_lo
	v_cmpx_gt_i32_e64 s1, v6
	s_cbranch_execz .LBB121_9
; %bb.8:
	v_dual_mov_b32 v10, 0 :: v_dual_add_nc_u32 v9, s2, v6
	v_add_nc_u32_e32 v6, 0x100, v6
	global_load_u8 v12, v9, s[10:11]
	v_lshlrev_b64 v[10:11], 2, v[9:10]
	s_delay_alu instid0(VALU_DEP_1) | instskip(NEXT) | instid1(VALU_DEP_1)
	v_add_co_u32 v9, s0, s6, v10
	v_add_co_ci_u32_e64 v10, s0, s7, v11, s0
	global_load_b32 v9, v[9:10], off
	s_waitcnt vmcnt(1)
	v_cmp_ne_u16_e64 s0, 0, v12
	s_delay_alu instid0(VALU_DEP_1)
	v_cndmask_b32_e64 v10, 0, 1.0, s0
.LBB121_9:
	s_or_b32 exec_lo, exec_lo, s3
	s_delay_alu instid0(SALU_CYCLE_1)
	s_mov_b32 s3, exec_lo
	v_cmpx_gt_i32_e64 s1, v6
	s_cbranch_execz .LBB121_11
; %bb.10:
	v_dual_mov_b32 v12, 0 :: v_dual_add_nc_u32 v11, s2, v6
	global_load_u8 v6, v11, s[10:11]
	v_lshlrev_b64 v[12:13], 2, v[11:12]
	s_delay_alu instid0(VALU_DEP_1) | instskip(NEXT) | instid1(VALU_DEP_1)
	v_add_co_u32 v11, s0, s6, v12
	v_add_co_ci_u32_e64 v12, s0, s7, v13, s0
	global_load_b32 v8, v[11:12], off
	s_waitcnt vmcnt(1)
	v_cmp_ne_u16_e64 s0, 0, v6
	s_delay_alu instid0(VALU_DEP_1) | instskip(SKIP_1) | instid1(VALU_DEP_1)
	v_cndmask_b32_e64 v6, 0, 1.0, s0
	s_waitcnt vmcnt(0)
	v_mul_f32_e32 v8, v8, v6
.LBB121_11:
	s_or_b32 exec_lo, exec_lo, s3
	s_waitcnt vmcnt(0)
	v_dual_mul_f32 v2, v2, v5 :: v_dual_mul_f32 v5, v9, v10
	s_delay_alu instid0(VALU_DEP_1) | instskip(NEXT) | instid1(VALU_DEP_1)
	v_dual_mul_f32 v4, v4, v7 :: v_dual_mul_f32 v7, s9, v2
	v_dual_mul_f32 v5, s9, v5 :: v_dual_mul_f32 v6, s9, v4
	v_mul_f32_e32 v4, s9, v8
	s_and_saveexec_b32 s0, vcc_lo
	s_cbranch_execnz .LBB121_17
; %bb.12:
	s_or_b32 exec_lo, exec_lo, s0
	s_delay_alu instid0(SALU_CYCLE_1)
	s_mov_b32 s0, exec_lo
	v_cmpx_gt_i32_e64 s1, v0
	s_cbranch_execnz .LBB121_18
.LBB121_13:
	s_or_b32 exec_lo, exec_lo, s0
	s_delay_alu instid0(SALU_CYCLE_1)
	s_mov_b32 s0, exec_lo
	v_cmpx_gt_i32_e64 s1, v0
	s_cbranch_execnz .LBB121_19
.LBB121_14:
	s_or_b32 exec_lo, exec_lo, s0
	s_delay_alu instid0(SALU_CYCLE_1)
	s_mov_b32 s0, exec_lo
	v_cmpx_gt_i32_e64 s1, v0
	s_cbranch_execz .LBB121_16
.LBB121_15:
	v_dual_mov_b32 v1, 0 :: v_dual_add_nc_u32 v0, s2, v0
	s_delay_alu instid0(VALU_DEP_1) | instskip(NEXT) | instid1(VALU_DEP_1)
	v_lshlrev_b64 v[0:1], 2, v[0:1]
	v_add_co_u32 v0, vcc_lo, s4, v0
	s_delay_alu instid0(VALU_DEP_2)
	v_add_co_ci_u32_e32 v1, vcc_lo, s5, v1, vcc_lo
	global_store_b32 v[0:1], v4, off
.LBB121_16:
	s_nop 0
	s_sendmsg sendmsg(MSG_DEALLOC_VGPRS)
	s_endpgm
.LBB121_17:
	v_mov_b32_e32 v2, 0
	s_delay_alu instid0(VALU_DEP_1) | instskip(NEXT) | instid1(VALU_DEP_1)
	v_lshlrev_b64 v[0:1], 2, v[1:2]
	v_add_co_u32 v8, vcc_lo, s4, v0
	s_delay_alu instid0(VALU_DEP_2) | instskip(SKIP_3) | instid1(SALU_CYCLE_1)
	v_add_co_ci_u32_e32 v9, vcc_lo, s5, v1, vcc_lo
	v_mov_b32_e32 v0, v3
	global_store_b32 v[8:9], v7, off
	s_or_b32 exec_lo, exec_lo, s0
	s_mov_b32 s0, exec_lo
	v_cmpx_gt_i32_e64 s1, v0
	s_cbranch_execz .LBB121_13
.LBB121_18:
	v_dual_mov_b32 v2, 0 :: v_dual_add_nc_u32 v1, s2, v0
	v_add_nc_u32_e32 v0, 0x100, v0
	s_delay_alu instid0(VALU_DEP_2) | instskip(NEXT) | instid1(VALU_DEP_1)
	v_lshlrev_b64 v[1:2], 2, v[1:2]
	v_add_co_u32 v1, vcc_lo, s4, v1
	s_delay_alu instid0(VALU_DEP_2) | instskip(SKIP_2) | instid1(SALU_CYCLE_1)
	v_add_co_ci_u32_e32 v2, vcc_lo, s5, v2, vcc_lo
	global_store_b32 v[1:2], v6, off
	s_or_b32 exec_lo, exec_lo, s0
	s_mov_b32 s0, exec_lo
	v_cmpx_gt_i32_e64 s1, v0
	s_cbranch_execz .LBB121_14
.LBB121_19:
	v_dual_mov_b32 v2, 0 :: v_dual_add_nc_u32 v1, s2, v0
	v_add_nc_u32_e32 v0, 0x100, v0
	s_delay_alu instid0(VALU_DEP_2) | instskip(NEXT) | instid1(VALU_DEP_1)
	v_lshlrev_b64 v[1:2], 2, v[1:2]
	v_add_co_u32 v1, vcc_lo, s4, v1
	s_delay_alu instid0(VALU_DEP_2) | instskip(SKIP_2) | instid1(SALU_CYCLE_1)
	v_add_co_ci_u32_e32 v2, vcc_lo, s5, v2, vcc_lo
	global_store_b32 v[1:2], v5, off
	s_or_b32 exec_lo, exec_lo, s0
	s_mov_b32 s0, exec_lo
	v_cmpx_gt_i32_e64 s1, v0
	s_cbranch_execnz .LBB121_15
	s_branch .LBB121_16
	.section	.rodata,"a",@progbits
	.p2align	6, 0x0
	.amdhsa_kernel _ZN2at6native29vectorized_elementwise_kernelILi8EZNS0_12_GLOBAL__N_119masked_scale_kernelIbffEEvRNS_6TensorERKS4_S7_T1_EUlfbE_St5arrayIPcLm3EEEEviT0_S8_
		.amdhsa_group_segment_fixed_size 0
		.amdhsa_private_segment_fixed_size 0
		.amdhsa_kernarg_size 32
		.amdhsa_user_sgpr_count 15
		.amdhsa_user_sgpr_dispatch_ptr 0
		.amdhsa_user_sgpr_queue_ptr 0
		.amdhsa_user_sgpr_kernarg_segment_ptr 1
		.amdhsa_user_sgpr_dispatch_id 0
		.amdhsa_user_sgpr_private_segment_size 0
		.amdhsa_wavefront_size32 1
		.amdhsa_uses_dynamic_stack 0
		.amdhsa_enable_private_segment 0
		.amdhsa_system_sgpr_workgroup_id_x 1
		.amdhsa_system_sgpr_workgroup_id_y 0
		.amdhsa_system_sgpr_workgroup_id_z 0
		.amdhsa_system_sgpr_workgroup_info 0
		.amdhsa_system_vgpr_workitem_id 0
		.amdhsa_next_free_vgpr 14
		.amdhsa_next_free_sgpr 18
		.amdhsa_reserve_vcc 1
		.amdhsa_float_round_mode_32 0
		.amdhsa_float_round_mode_16_64 0
		.amdhsa_float_denorm_mode_32 3
		.amdhsa_float_denorm_mode_16_64 3
		.amdhsa_dx10_clamp 1
		.amdhsa_ieee_mode 1
		.amdhsa_fp16_overflow 0
		.amdhsa_workgroup_processor_mode 1
		.amdhsa_memory_ordered 1
		.amdhsa_forward_progress 0
		.amdhsa_shared_vgpr_count 0
		.amdhsa_exception_fp_ieee_invalid_op 0
		.amdhsa_exception_fp_denorm_src 0
		.amdhsa_exception_fp_ieee_div_zero 0
		.amdhsa_exception_fp_ieee_overflow 0
		.amdhsa_exception_fp_ieee_underflow 0
		.amdhsa_exception_fp_ieee_inexact 0
		.amdhsa_exception_int_div_zero 0
	.end_amdhsa_kernel
	.section	.text._ZN2at6native29vectorized_elementwise_kernelILi8EZNS0_12_GLOBAL__N_119masked_scale_kernelIbffEEvRNS_6TensorERKS4_S7_T1_EUlfbE_St5arrayIPcLm3EEEEviT0_S8_,"axG",@progbits,_ZN2at6native29vectorized_elementwise_kernelILi8EZNS0_12_GLOBAL__N_119masked_scale_kernelIbffEEvRNS_6TensorERKS4_S7_T1_EUlfbE_St5arrayIPcLm3EEEEviT0_S8_,comdat
.Lfunc_end121:
	.size	_ZN2at6native29vectorized_elementwise_kernelILi8EZNS0_12_GLOBAL__N_119masked_scale_kernelIbffEEvRNS_6TensorERKS4_S7_T1_EUlfbE_St5arrayIPcLm3EEEEviT0_S8_, .Lfunc_end121-_ZN2at6native29vectorized_elementwise_kernelILi8EZNS0_12_GLOBAL__N_119masked_scale_kernelIbffEEvRNS_6TensorERKS4_S7_T1_EUlfbE_St5arrayIPcLm3EEEEviT0_S8_
                                        ; -- End function
	.section	.AMDGPU.csdata,"",@progbits
; Kernel info:
; codeLenInByte = 1104
; NumSgprs: 20
; NumVgprs: 14
; ScratchSize: 0
; MemoryBound: 0
; FloatMode: 240
; IeeeMode: 1
; LDSByteSize: 0 bytes/workgroup (compile time only)
; SGPRBlocks: 2
; VGPRBlocks: 1
; NumSGPRsForWavesPerEU: 20
; NumVGPRsForWavesPerEU: 14
; Occupancy: 16
; WaveLimiterHint : 0
; COMPUTE_PGM_RSRC2:SCRATCH_EN: 0
; COMPUTE_PGM_RSRC2:USER_SGPR: 15
; COMPUTE_PGM_RSRC2:TRAP_HANDLER: 0
; COMPUTE_PGM_RSRC2:TGID_X_EN: 1
; COMPUTE_PGM_RSRC2:TGID_Y_EN: 0
; COMPUTE_PGM_RSRC2:TGID_Z_EN: 0
; COMPUTE_PGM_RSRC2:TIDIG_COMP_CNT: 0
	.section	.text._ZN2at6native29vectorized_elementwise_kernelILi4EZNS0_12_GLOBAL__N_119masked_scale_kernelIbffEEvRNS_6TensorERKS4_S7_T1_EUlfbE_St5arrayIPcLm3EEEEviT0_S8_,"axG",@progbits,_ZN2at6native29vectorized_elementwise_kernelILi4EZNS0_12_GLOBAL__N_119masked_scale_kernelIbffEEvRNS_6TensorERKS4_S7_T1_EUlfbE_St5arrayIPcLm3EEEEviT0_S8_,comdat
	.globl	_ZN2at6native29vectorized_elementwise_kernelILi4EZNS0_12_GLOBAL__N_119masked_scale_kernelIbffEEvRNS_6TensorERKS4_S7_T1_EUlfbE_St5arrayIPcLm3EEEEviT0_S8_ ; -- Begin function _ZN2at6native29vectorized_elementwise_kernelILi4EZNS0_12_GLOBAL__N_119masked_scale_kernelIbffEEvRNS_6TensorERKS4_S7_T1_EUlfbE_St5arrayIPcLm3EEEEviT0_S8_
	.p2align	8
	.type	_ZN2at6native29vectorized_elementwise_kernelILi4EZNS0_12_GLOBAL__N_119masked_scale_kernelIbffEEvRNS_6TensorERKS4_S7_T1_EUlfbE_St5arrayIPcLm3EEEEviT0_S8_,@function
_ZN2at6native29vectorized_elementwise_kernelILi4EZNS0_12_GLOBAL__N_119masked_scale_kernelIbffEEvRNS_6TensorERKS4_S7_T1_EUlfbE_St5arrayIPcLm3EEEEviT0_S8_: ; @_ZN2at6native29vectorized_elementwise_kernelILi4EZNS0_12_GLOBAL__N_119masked_scale_kernelIbffEEvRNS_6TensorERKS4_S7_T1_EUlfbE_St5arrayIPcLm3EEEEviT0_S8_
; %bb.0:
	s_clause 0x2
	s_load_b64 s[8:9], s[0:1], 0x0
	s_load_b128 s[4:7], s[0:1], 0x8
	s_load_b64 s[10:11], s[0:1], 0x18
	s_lshl_b32 s2, s15, 10
	s_mov_b32 s0, -1
	s_waitcnt lgkmcnt(0)
	s_sub_i32 s1, s8, s2
	s_delay_alu instid0(SALU_CYCLE_1)
	s_cmpk_gt_i32 s1, 0x3ff
	s_cbranch_scc0 .LBB122_2
; %bb.1:
	s_ashr_i32 s3, s2, 31
	v_lshlrev_b32_e32 v1, 2, v0
	s_lshl_b64 s[12:13], s[2:3], 2
	s_mov_b32 s0, 0
	s_add_u32 s14, s6, s12
	s_addc_u32 s15, s7, s13
	s_add_u32 s16, s10, s2
	s_addc_u32 s17, s11, s3
	s_add_u32 s12, s4, s12
	global_load_b32 v5, v1, s[16:17]
	s_addc_u32 s13, s5, s13
	s_waitcnt vmcnt(0)
	v_and_b32_e32 v7, 0xff, v5
	v_and_b32_e32 v8, 0xff00, v5
	s_delay_alu instid0(VALU_DEP_2) | instskip(SKIP_2) | instid1(VALU_DEP_4)
	v_cmp_ne_u32_e32 vcc_lo, 0, v7
	v_cndmask_b32_e64 v7, 0, 1.0, vcc_lo
	v_lshlrev_b32_e32 v6, 4, v0
	v_cmp_ne_u32_e32 vcc_lo, 0, v8
	global_load_b128 v[1:4], v6, s[14:15]
	v_cndmask_b32_e64 v8, 0, 1.0, vcc_lo
	s_waitcnt vmcnt(0)
	s_delay_alu instid0(VALU_DEP_1) | instskip(SKIP_1) | instid1(VALU_DEP_2)
	v_dual_mul_f32 v1, v1, v7 :: v_dual_mul_f32 v2, v2, v8
	v_and_b32_e32 v9, 0xff0000, v5
	v_dual_mul_f32 v1, s9, v1 :: v_dual_mul_f32 v2, s9, v2
	s_delay_alu instid0(VALU_DEP_2) | instskip(SKIP_3) | instid1(VALU_DEP_1)
	v_cmp_ne_u32_e32 vcc_lo, 0, v9
	v_cndmask_b32_e64 v9, 0, 1.0, vcc_lo
	v_cmp_lt_u32_e32 vcc_lo, 0xffffff, v5
	v_cndmask_b32_e64 v5, 0, 1.0, vcc_lo
	v_mul_f32_e32 v4, v4, v5
	s_delay_alu instid0(VALU_DEP_1) | instskip(NEXT) | instid1(VALU_DEP_1)
	v_dual_mul_f32 v3, v3, v9 :: v_dual_mul_f32 v4, s9, v4
	v_mul_f32_e32 v3, s9, v3
	global_store_b128 v6, v[1:4], s[12:13]
.LBB122_2:
	s_and_not1_b32 vcc_lo, exec_lo, s0
	s_cbranch_vccnz .LBB122_16
; %bb.3:
	v_cmp_gt_i32_e32 vcc_lo, s1, v0
	v_dual_mov_b32 v4, 0 :: v_dual_mov_b32 v5, 0
	v_or_b32_e32 v1, s2, v0
	v_or_b32_e32 v3, 0x100, v0
	v_mov_b32_e32 v2, 0
	v_mov_b32_e32 v6, v0
	s_and_saveexec_b32 s3, vcc_lo
	s_cbranch_execz .LBB122_5
; %bb.4:
	v_mov_b32_e32 v2, 0
	global_load_u8 v7, v1, s[10:11]
	v_lshlrev_b64 v[5:6], 2, v[1:2]
	s_delay_alu instid0(VALU_DEP_1) | instskip(NEXT) | instid1(VALU_DEP_1)
	v_add_co_u32 v5, s0, s6, v5
	v_add_co_ci_u32_e64 v6, s0, s7, v6, s0
	global_load_b32 v2, v[5:6], off
	v_or_b32_e32 v6, 0x100, v0
	s_waitcnt vmcnt(1)
	v_cmp_ne_u16_e64 s0, 0, v7
	s_delay_alu instid0(VALU_DEP_1)
	v_cndmask_b32_e64 v5, 0, 1.0, s0
.LBB122_5:
	s_or_b32 exec_lo, exec_lo, s3
	v_mov_b32_e32 v7, 0
	s_mov_b32 s3, exec_lo
	v_cmpx_gt_i32_e64 s1, v6
	s_cbranch_execz .LBB122_7
; %bb.6:
	v_dual_mov_b32 v8, 0 :: v_dual_add_nc_u32 v7, s2, v6
	v_add_nc_u32_e32 v6, 0x100, v6
	global_load_u8 v10, v7, s[10:11]
	v_lshlrev_b64 v[8:9], 2, v[7:8]
	s_delay_alu instid0(VALU_DEP_1) | instskip(NEXT) | instid1(VALU_DEP_1)
	v_add_co_u32 v7, s0, s6, v8
	v_add_co_ci_u32_e64 v8, s0, s7, v9, s0
	global_load_b32 v4, v[7:8], off
	s_waitcnt vmcnt(1)
	v_cmp_ne_u16_e64 s0, 0, v10
	s_delay_alu instid0(VALU_DEP_1)
	v_cndmask_b32_e64 v7, 0, 1.0, s0
.LBB122_7:
	s_or_b32 exec_lo, exec_lo, s3
	v_dual_mov_b32 v8, 0 :: v_dual_mov_b32 v9, 0
	v_mov_b32_e32 v10, 0
	s_mov_b32 s3, exec_lo
	v_cmpx_gt_i32_e64 s1, v6
	s_cbranch_execz .LBB122_9
; %bb.8:
	v_dual_mov_b32 v10, 0 :: v_dual_add_nc_u32 v9, s2, v6
	v_add_nc_u32_e32 v6, 0x100, v6
	global_load_u8 v12, v9, s[10:11]
	v_lshlrev_b64 v[10:11], 2, v[9:10]
	s_delay_alu instid0(VALU_DEP_1) | instskip(NEXT) | instid1(VALU_DEP_1)
	v_add_co_u32 v9, s0, s6, v10
	v_add_co_ci_u32_e64 v10, s0, s7, v11, s0
	global_load_b32 v9, v[9:10], off
	s_waitcnt vmcnt(1)
	v_cmp_ne_u16_e64 s0, 0, v12
	s_delay_alu instid0(VALU_DEP_1)
	v_cndmask_b32_e64 v10, 0, 1.0, s0
.LBB122_9:
	s_or_b32 exec_lo, exec_lo, s3
	s_delay_alu instid0(SALU_CYCLE_1)
	s_mov_b32 s3, exec_lo
	v_cmpx_gt_i32_e64 s1, v6
	s_cbranch_execz .LBB122_11
; %bb.10:
	v_dual_mov_b32 v12, 0 :: v_dual_add_nc_u32 v11, s2, v6
	global_load_u8 v6, v11, s[10:11]
	v_lshlrev_b64 v[12:13], 2, v[11:12]
	s_delay_alu instid0(VALU_DEP_1) | instskip(NEXT) | instid1(VALU_DEP_1)
	v_add_co_u32 v11, s0, s6, v12
	v_add_co_ci_u32_e64 v12, s0, s7, v13, s0
	global_load_b32 v8, v[11:12], off
	s_waitcnt vmcnt(1)
	v_cmp_ne_u16_e64 s0, 0, v6
	s_delay_alu instid0(VALU_DEP_1) | instskip(SKIP_1) | instid1(VALU_DEP_1)
	v_cndmask_b32_e64 v6, 0, 1.0, s0
	s_waitcnt vmcnt(0)
	v_mul_f32_e32 v8, v8, v6
.LBB122_11:
	s_or_b32 exec_lo, exec_lo, s3
	s_waitcnt vmcnt(0)
	v_dual_mul_f32 v2, v2, v5 :: v_dual_mul_f32 v5, v9, v10
	s_delay_alu instid0(VALU_DEP_1) | instskip(NEXT) | instid1(VALU_DEP_1)
	v_dual_mul_f32 v4, v4, v7 :: v_dual_mul_f32 v7, s9, v2
	v_dual_mul_f32 v5, s9, v5 :: v_dual_mul_f32 v6, s9, v4
	v_mul_f32_e32 v4, s9, v8
	s_and_saveexec_b32 s0, vcc_lo
	s_cbranch_execnz .LBB122_17
; %bb.12:
	s_or_b32 exec_lo, exec_lo, s0
	s_delay_alu instid0(SALU_CYCLE_1)
	s_mov_b32 s0, exec_lo
	v_cmpx_gt_i32_e64 s1, v0
	s_cbranch_execnz .LBB122_18
.LBB122_13:
	s_or_b32 exec_lo, exec_lo, s0
	s_delay_alu instid0(SALU_CYCLE_1)
	s_mov_b32 s0, exec_lo
	v_cmpx_gt_i32_e64 s1, v0
	s_cbranch_execnz .LBB122_19
.LBB122_14:
	s_or_b32 exec_lo, exec_lo, s0
	s_delay_alu instid0(SALU_CYCLE_1)
	s_mov_b32 s0, exec_lo
	v_cmpx_gt_i32_e64 s1, v0
	s_cbranch_execz .LBB122_16
.LBB122_15:
	v_dual_mov_b32 v1, 0 :: v_dual_add_nc_u32 v0, s2, v0
	s_delay_alu instid0(VALU_DEP_1) | instskip(NEXT) | instid1(VALU_DEP_1)
	v_lshlrev_b64 v[0:1], 2, v[0:1]
	v_add_co_u32 v0, vcc_lo, s4, v0
	s_delay_alu instid0(VALU_DEP_2)
	v_add_co_ci_u32_e32 v1, vcc_lo, s5, v1, vcc_lo
	global_store_b32 v[0:1], v4, off
.LBB122_16:
	s_nop 0
	s_sendmsg sendmsg(MSG_DEALLOC_VGPRS)
	s_endpgm
.LBB122_17:
	v_mov_b32_e32 v2, 0
	s_delay_alu instid0(VALU_DEP_1) | instskip(NEXT) | instid1(VALU_DEP_1)
	v_lshlrev_b64 v[0:1], 2, v[1:2]
	v_add_co_u32 v8, vcc_lo, s4, v0
	s_delay_alu instid0(VALU_DEP_2) | instskip(SKIP_3) | instid1(SALU_CYCLE_1)
	v_add_co_ci_u32_e32 v9, vcc_lo, s5, v1, vcc_lo
	v_mov_b32_e32 v0, v3
	global_store_b32 v[8:9], v7, off
	s_or_b32 exec_lo, exec_lo, s0
	s_mov_b32 s0, exec_lo
	v_cmpx_gt_i32_e64 s1, v0
	s_cbranch_execz .LBB122_13
.LBB122_18:
	v_dual_mov_b32 v2, 0 :: v_dual_add_nc_u32 v1, s2, v0
	v_add_nc_u32_e32 v0, 0x100, v0
	s_delay_alu instid0(VALU_DEP_2) | instskip(NEXT) | instid1(VALU_DEP_1)
	v_lshlrev_b64 v[1:2], 2, v[1:2]
	v_add_co_u32 v1, vcc_lo, s4, v1
	s_delay_alu instid0(VALU_DEP_2) | instskip(SKIP_2) | instid1(SALU_CYCLE_1)
	v_add_co_ci_u32_e32 v2, vcc_lo, s5, v2, vcc_lo
	global_store_b32 v[1:2], v6, off
	s_or_b32 exec_lo, exec_lo, s0
	s_mov_b32 s0, exec_lo
	v_cmpx_gt_i32_e64 s1, v0
	s_cbranch_execz .LBB122_14
.LBB122_19:
	v_dual_mov_b32 v2, 0 :: v_dual_add_nc_u32 v1, s2, v0
	v_add_nc_u32_e32 v0, 0x100, v0
	s_delay_alu instid0(VALU_DEP_2) | instskip(NEXT) | instid1(VALU_DEP_1)
	v_lshlrev_b64 v[1:2], 2, v[1:2]
	v_add_co_u32 v1, vcc_lo, s4, v1
	s_delay_alu instid0(VALU_DEP_2) | instskip(SKIP_2) | instid1(SALU_CYCLE_1)
	v_add_co_ci_u32_e32 v2, vcc_lo, s5, v2, vcc_lo
	global_store_b32 v[1:2], v5, off
	s_or_b32 exec_lo, exec_lo, s0
	s_mov_b32 s0, exec_lo
	v_cmpx_gt_i32_e64 s1, v0
	s_cbranch_execnz .LBB122_15
	s_branch .LBB122_16
	.section	.rodata,"a",@progbits
	.p2align	6, 0x0
	.amdhsa_kernel _ZN2at6native29vectorized_elementwise_kernelILi4EZNS0_12_GLOBAL__N_119masked_scale_kernelIbffEEvRNS_6TensorERKS4_S7_T1_EUlfbE_St5arrayIPcLm3EEEEviT0_S8_
		.amdhsa_group_segment_fixed_size 0
		.amdhsa_private_segment_fixed_size 0
		.amdhsa_kernarg_size 32
		.amdhsa_user_sgpr_count 15
		.amdhsa_user_sgpr_dispatch_ptr 0
		.amdhsa_user_sgpr_queue_ptr 0
		.amdhsa_user_sgpr_kernarg_segment_ptr 1
		.amdhsa_user_sgpr_dispatch_id 0
		.amdhsa_user_sgpr_private_segment_size 0
		.amdhsa_wavefront_size32 1
		.amdhsa_uses_dynamic_stack 0
		.amdhsa_enable_private_segment 0
		.amdhsa_system_sgpr_workgroup_id_x 1
		.amdhsa_system_sgpr_workgroup_id_y 0
		.amdhsa_system_sgpr_workgroup_id_z 0
		.amdhsa_system_sgpr_workgroup_info 0
		.amdhsa_system_vgpr_workitem_id 0
		.amdhsa_next_free_vgpr 14
		.amdhsa_next_free_sgpr 18
		.amdhsa_reserve_vcc 1
		.amdhsa_float_round_mode_32 0
		.amdhsa_float_round_mode_16_64 0
		.amdhsa_float_denorm_mode_32 3
		.amdhsa_float_denorm_mode_16_64 3
		.amdhsa_dx10_clamp 1
		.amdhsa_ieee_mode 1
		.amdhsa_fp16_overflow 0
		.amdhsa_workgroup_processor_mode 1
		.amdhsa_memory_ordered 1
		.amdhsa_forward_progress 0
		.amdhsa_shared_vgpr_count 0
		.amdhsa_exception_fp_ieee_invalid_op 0
		.amdhsa_exception_fp_denorm_src 0
		.amdhsa_exception_fp_ieee_div_zero 0
		.amdhsa_exception_fp_ieee_overflow 0
		.amdhsa_exception_fp_ieee_underflow 0
		.amdhsa_exception_fp_ieee_inexact 0
		.amdhsa_exception_int_div_zero 0
	.end_amdhsa_kernel
	.section	.text._ZN2at6native29vectorized_elementwise_kernelILi4EZNS0_12_GLOBAL__N_119masked_scale_kernelIbffEEvRNS_6TensorERKS4_S7_T1_EUlfbE_St5arrayIPcLm3EEEEviT0_S8_,"axG",@progbits,_ZN2at6native29vectorized_elementwise_kernelILi4EZNS0_12_GLOBAL__N_119masked_scale_kernelIbffEEvRNS_6TensorERKS4_S7_T1_EUlfbE_St5arrayIPcLm3EEEEviT0_S8_,comdat
.Lfunc_end122:
	.size	_ZN2at6native29vectorized_elementwise_kernelILi4EZNS0_12_GLOBAL__N_119masked_scale_kernelIbffEEvRNS_6TensorERKS4_S7_T1_EUlfbE_St5arrayIPcLm3EEEEviT0_S8_, .Lfunc_end122-_ZN2at6native29vectorized_elementwise_kernelILi4EZNS0_12_GLOBAL__N_119masked_scale_kernelIbffEEvRNS_6TensorERKS4_S7_T1_EUlfbE_St5arrayIPcLm3EEEEviT0_S8_
                                        ; -- End function
	.section	.AMDGPU.csdata,"",@progbits
; Kernel info:
; codeLenInByte = 1104
; NumSgprs: 20
; NumVgprs: 14
; ScratchSize: 0
; MemoryBound: 0
; FloatMode: 240
; IeeeMode: 1
; LDSByteSize: 0 bytes/workgroup (compile time only)
; SGPRBlocks: 2
; VGPRBlocks: 1
; NumSGPRsForWavesPerEU: 20
; NumVGPRsForWavesPerEU: 14
; Occupancy: 16
; WaveLimiterHint : 0
; COMPUTE_PGM_RSRC2:SCRATCH_EN: 0
; COMPUTE_PGM_RSRC2:USER_SGPR: 15
; COMPUTE_PGM_RSRC2:TRAP_HANDLER: 0
; COMPUTE_PGM_RSRC2:TGID_X_EN: 1
; COMPUTE_PGM_RSRC2:TGID_Y_EN: 0
; COMPUTE_PGM_RSRC2:TGID_Z_EN: 0
; COMPUTE_PGM_RSRC2:TIDIG_COMP_CNT: 0
	.section	.text._ZN2at6native29vectorized_elementwise_kernelILi2EZNS0_12_GLOBAL__N_119masked_scale_kernelIbffEEvRNS_6TensorERKS4_S7_T1_EUlfbE_St5arrayIPcLm3EEEEviT0_S8_,"axG",@progbits,_ZN2at6native29vectorized_elementwise_kernelILi2EZNS0_12_GLOBAL__N_119masked_scale_kernelIbffEEvRNS_6TensorERKS4_S7_T1_EUlfbE_St5arrayIPcLm3EEEEviT0_S8_,comdat
	.globl	_ZN2at6native29vectorized_elementwise_kernelILi2EZNS0_12_GLOBAL__N_119masked_scale_kernelIbffEEvRNS_6TensorERKS4_S7_T1_EUlfbE_St5arrayIPcLm3EEEEviT0_S8_ ; -- Begin function _ZN2at6native29vectorized_elementwise_kernelILi2EZNS0_12_GLOBAL__N_119masked_scale_kernelIbffEEvRNS_6TensorERKS4_S7_T1_EUlfbE_St5arrayIPcLm3EEEEviT0_S8_
	.p2align	8
	.type	_ZN2at6native29vectorized_elementwise_kernelILi2EZNS0_12_GLOBAL__N_119masked_scale_kernelIbffEEvRNS_6TensorERKS4_S7_T1_EUlfbE_St5arrayIPcLm3EEEEviT0_S8_,@function
_ZN2at6native29vectorized_elementwise_kernelILi2EZNS0_12_GLOBAL__N_119masked_scale_kernelIbffEEvRNS_6TensorERKS4_S7_T1_EUlfbE_St5arrayIPcLm3EEEEviT0_S8_: ; @_ZN2at6native29vectorized_elementwise_kernelILi2EZNS0_12_GLOBAL__N_119masked_scale_kernelIbffEEvRNS_6TensorERKS4_S7_T1_EUlfbE_St5arrayIPcLm3EEEEviT0_S8_
; %bb.0:
	s_clause 0x2
	s_load_b64 s[8:9], s[0:1], 0x0
	s_load_b128 s[4:7], s[0:1], 0x8
	s_load_b64 s[10:11], s[0:1], 0x18
	s_lshl_b32 s2, s15, 10
	s_mov_b32 s0, -1
	s_waitcnt lgkmcnt(0)
	s_sub_i32 s1, s8, s2
	s_delay_alu instid0(SALU_CYCLE_1)
	s_cmpk_gt_i32 s1, 0x3ff
	s_cbranch_scc0 .LBB123_2
; %bb.1:
	s_ashr_i32 s3, s2, 31
	v_lshlrev_b32_e32 v1, 1, v0
	s_lshl_b64 s[12:13], s[2:3], 2
	s_mov_b32 s0, 0
	s_add_u32 s14, s6, s12
	s_addc_u32 s15, s7, s13
	s_add_u32 s16, s10, s2
	s_addc_u32 s17, s11, s3
	s_add_u32 s12, s4, s12
	s_clause 0x1
	global_load_u16 v5, v1, s[16:17]
	global_load_u16 v6, v1, s[16:17] offset:512
	s_addc_u32 s13, s5, s13
	s_waitcnt vmcnt(1)
	v_cmp_lt_u16_e32 vcc_lo, 0xff, v5
	v_and_b32_e32 v8, 0xff, v5
	s_waitcnt vmcnt(0)
	v_and_b32_e32 v9, 0xff, v6
	v_cndmask_b32_e64 v5, 0, 1.0, vcc_lo
	v_cmp_lt_u16_e32 vcc_lo, 0xff, v6
	v_cndmask_b32_e64 v6, 0, 1.0, vcc_lo
	v_lshlrev_b32_e32 v7, 3, v0
	v_cmp_ne_u16_e32 vcc_lo, 0, v8
	s_clause 0x1
	global_load_b64 v[1:2], v7, s[14:15]
	global_load_b64 v[3:4], v7, s[14:15] offset:2048
	v_cndmask_b32_e64 v8, 0, 1.0, vcc_lo
	s_waitcnt vmcnt(1)
	v_mul_f32_e32 v2, v2, v5
	s_waitcnt vmcnt(0)
	s_delay_alu instid0(VALU_DEP_2) | instskip(NEXT) | instid1(VALU_DEP_2)
	v_dual_mul_f32 v4, v4, v6 :: v_dual_mul_f32 v1, v1, v8
	v_mul_f32_e32 v2, s9, v2
	s_delay_alu instid0(VALU_DEP_2) | instskip(SKIP_1) | instid1(VALU_DEP_4)
	v_mul_f32_e32 v4, s9, v4
	v_cmp_ne_u16_e32 vcc_lo, 0, v9
	v_mul_f32_e32 v1, s9, v1
	v_cndmask_b32_e64 v9, 0, 1.0, vcc_lo
	s_delay_alu instid0(VALU_DEP_1) | instskip(NEXT) | instid1(VALU_DEP_1)
	v_mul_f32_e32 v3, v3, v9
	v_mul_f32_e32 v3, s9, v3
	s_clause 0x1
	global_store_b64 v7, v[1:2], s[12:13]
	global_store_b64 v7, v[3:4], s[12:13] offset:2048
.LBB123_2:
	s_and_not1_b32 vcc_lo, exec_lo, s0
	s_cbranch_vccnz .LBB123_16
; %bb.3:
	v_cmp_gt_i32_e32 vcc_lo, s1, v0
	v_dual_mov_b32 v4, 0 :: v_dual_mov_b32 v5, 0
	v_or_b32_e32 v1, s2, v0
	v_or_b32_e32 v3, 0x100, v0
	v_mov_b32_e32 v2, 0
	v_mov_b32_e32 v6, v0
	s_and_saveexec_b32 s3, vcc_lo
	s_cbranch_execz .LBB123_5
; %bb.4:
	v_mov_b32_e32 v2, 0
	global_load_u8 v7, v1, s[10:11]
	v_lshlrev_b64 v[5:6], 2, v[1:2]
	s_delay_alu instid0(VALU_DEP_1) | instskip(NEXT) | instid1(VALU_DEP_1)
	v_add_co_u32 v5, s0, s6, v5
	v_add_co_ci_u32_e64 v6, s0, s7, v6, s0
	global_load_b32 v2, v[5:6], off
	v_or_b32_e32 v6, 0x100, v0
	s_waitcnt vmcnt(1)
	v_cmp_ne_u16_e64 s0, 0, v7
	s_delay_alu instid0(VALU_DEP_1)
	v_cndmask_b32_e64 v5, 0, 1.0, s0
.LBB123_5:
	s_or_b32 exec_lo, exec_lo, s3
	v_mov_b32_e32 v7, 0
	s_mov_b32 s3, exec_lo
	v_cmpx_gt_i32_e64 s1, v6
	s_cbranch_execz .LBB123_7
; %bb.6:
	v_dual_mov_b32 v8, 0 :: v_dual_add_nc_u32 v7, s2, v6
	v_add_nc_u32_e32 v6, 0x100, v6
	global_load_u8 v10, v7, s[10:11]
	v_lshlrev_b64 v[8:9], 2, v[7:8]
	s_delay_alu instid0(VALU_DEP_1) | instskip(NEXT) | instid1(VALU_DEP_1)
	v_add_co_u32 v7, s0, s6, v8
	v_add_co_ci_u32_e64 v8, s0, s7, v9, s0
	global_load_b32 v4, v[7:8], off
	s_waitcnt vmcnt(1)
	v_cmp_ne_u16_e64 s0, 0, v10
	s_delay_alu instid0(VALU_DEP_1)
	v_cndmask_b32_e64 v7, 0, 1.0, s0
.LBB123_7:
	s_or_b32 exec_lo, exec_lo, s3
	v_dual_mov_b32 v8, 0 :: v_dual_mov_b32 v9, 0
	v_mov_b32_e32 v10, 0
	s_mov_b32 s3, exec_lo
	v_cmpx_gt_i32_e64 s1, v6
	s_cbranch_execz .LBB123_9
; %bb.8:
	v_dual_mov_b32 v10, 0 :: v_dual_add_nc_u32 v9, s2, v6
	v_add_nc_u32_e32 v6, 0x100, v6
	global_load_u8 v12, v9, s[10:11]
	v_lshlrev_b64 v[10:11], 2, v[9:10]
	s_delay_alu instid0(VALU_DEP_1) | instskip(NEXT) | instid1(VALU_DEP_1)
	v_add_co_u32 v9, s0, s6, v10
	v_add_co_ci_u32_e64 v10, s0, s7, v11, s0
	global_load_b32 v9, v[9:10], off
	s_waitcnt vmcnt(1)
	v_cmp_ne_u16_e64 s0, 0, v12
	s_delay_alu instid0(VALU_DEP_1)
	v_cndmask_b32_e64 v10, 0, 1.0, s0
.LBB123_9:
	s_or_b32 exec_lo, exec_lo, s3
	s_delay_alu instid0(SALU_CYCLE_1)
	s_mov_b32 s3, exec_lo
	v_cmpx_gt_i32_e64 s1, v6
	s_cbranch_execz .LBB123_11
; %bb.10:
	v_dual_mov_b32 v12, 0 :: v_dual_add_nc_u32 v11, s2, v6
	global_load_u8 v6, v11, s[10:11]
	v_lshlrev_b64 v[12:13], 2, v[11:12]
	s_delay_alu instid0(VALU_DEP_1) | instskip(NEXT) | instid1(VALU_DEP_1)
	v_add_co_u32 v11, s0, s6, v12
	v_add_co_ci_u32_e64 v12, s0, s7, v13, s0
	global_load_b32 v8, v[11:12], off
	s_waitcnt vmcnt(1)
	v_cmp_ne_u16_e64 s0, 0, v6
	s_delay_alu instid0(VALU_DEP_1) | instskip(SKIP_1) | instid1(VALU_DEP_1)
	v_cndmask_b32_e64 v6, 0, 1.0, s0
	s_waitcnt vmcnt(0)
	v_mul_f32_e32 v8, v8, v6
.LBB123_11:
	s_or_b32 exec_lo, exec_lo, s3
	s_waitcnt vmcnt(0)
	v_dual_mul_f32 v2, v2, v5 :: v_dual_mul_f32 v5, v9, v10
	s_delay_alu instid0(VALU_DEP_1) | instskip(NEXT) | instid1(VALU_DEP_1)
	v_dual_mul_f32 v4, v4, v7 :: v_dual_mul_f32 v7, s9, v2
	v_dual_mul_f32 v5, s9, v5 :: v_dual_mul_f32 v6, s9, v4
	v_mul_f32_e32 v4, s9, v8
	s_and_saveexec_b32 s0, vcc_lo
	s_cbranch_execnz .LBB123_17
; %bb.12:
	s_or_b32 exec_lo, exec_lo, s0
	s_delay_alu instid0(SALU_CYCLE_1)
	s_mov_b32 s0, exec_lo
	v_cmpx_gt_i32_e64 s1, v0
	s_cbranch_execnz .LBB123_18
.LBB123_13:
	s_or_b32 exec_lo, exec_lo, s0
	s_delay_alu instid0(SALU_CYCLE_1)
	s_mov_b32 s0, exec_lo
	v_cmpx_gt_i32_e64 s1, v0
	s_cbranch_execnz .LBB123_19
.LBB123_14:
	s_or_b32 exec_lo, exec_lo, s0
	s_delay_alu instid0(SALU_CYCLE_1)
	s_mov_b32 s0, exec_lo
	v_cmpx_gt_i32_e64 s1, v0
	s_cbranch_execz .LBB123_16
.LBB123_15:
	v_dual_mov_b32 v1, 0 :: v_dual_add_nc_u32 v0, s2, v0
	s_delay_alu instid0(VALU_DEP_1) | instskip(NEXT) | instid1(VALU_DEP_1)
	v_lshlrev_b64 v[0:1], 2, v[0:1]
	v_add_co_u32 v0, vcc_lo, s4, v0
	s_delay_alu instid0(VALU_DEP_2)
	v_add_co_ci_u32_e32 v1, vcc_lo, s5, v1, vcc_lo
	global_store_b32 v[0:1], v4, off
.LBB123_16:
	s_nop 0
	s_sendmsg sendmsg(MSG_DEALLOC_VGPRS)
	s_endpgm
.LBB123_17:
	v_mov_b32_e32 v2, 0
	s_delay_alu instid0(VALU_DEP_1) | instskip(NEXT) | instid1(VALU_DEP_1)
	v_lshlrev_b64 v[0:1], 2, v[1:2]
	v_add_co_u32 v8, vcc_lo, s4, v0
	s_delay_alu instid0(VALU_DEP_2) | instskip(SKIP_3) | instid1(SALU_CYCLE_1)
	v_add_co_ci_u32_e32 v9, vcc_lo, s5, v1, vcc_lo
	v_mov_b32_e32 v0, v3
	global_store_b32 v[8:9], v7, off
	s_or_b32 exec_lo, exec_lo, s0
	s_mov_b32 s0, exec_lo
	v_cmpx_gt_i32_e64 s1, v0
	s_cbranch_execz .LBB123_13
.LBB123_18:
	v_dual_mov_b32 v2, 0 :: v_dual_add_nc_u32 v1, s2, v0
	v_add_nc_u32_e32 v0, 0x100, v0
	s_delay_alu instid0(VALU_DEP_2) | instskip(NEXT) | instid1(VALU_DEP_1)
	v_lshlrev_b64 v[1:2], 2, v[1:2]
	v_add_co_u32 v1, vcc_lo, s4, v1
	s_delay_alu instid0(VALU_DEP_2) | instskip(SKIP_2) | instid1(SALU_CYCLE_1)
	v_add_co_ci_u32_e32 v2, vcc_lo, s5, v2, vcc_lo
	global_store_b32 v[1:2], v6, off
	s_or_b32 exec_lo, exec_lo, s0
	s_mov_b32 s0, exec_lo
	v_cmpx_gt_i32_e64 s1, v0
	s_cbranch_execz .LBB123_14
.LBB123_19:
	v_dual_mov_b32 v2, 0 :: v_dual_add_nc_u32 v1, s2, v0
	v_add_nc_u32_e32 v0, 0x100, v0
	s_delay_alu instid0(VALU_DEP_2) | instskip(NEXT) | instid1(VALU_DEP_1)
	v_lshlrev_b64 v[1:2], 2, v[1:2]
	v_add_co_u32 v1, vcc_lo, s4, v1
	s_delay_alu instid0(VALU_DEP_2) | instskip(SKIP_2) | instid1(SALU_CYCLE_1)
	v_add_co_ci_u32_e32 v2, vcc_lo, s5, v2, vcc_lo
	global_store_b32 v[1:2], v5, off
	s_or_b32 exec_lo, exec_lo, s0
	s_mov_b32 s0, exec_lo
	v_cmpx_gt_i32_e64 s1, v0
	s_cbranch_execnz .LBB123_15
	s_branch .LBB123_16
	.section	.rodata,"a",@progbits
	.p2align	6, 0x0
	.amdhsa_kernel _ZN2at6native29vectorized_elementwise_kernelILi2EZNS0_12_GLOBAL__N_119masked_scale_kernelIbffEEvRNS_6TensorERKS4_S7_T1_EUlfbE_St5arrayIPcLm3EEEEviT0_S8_
		.amdhsa_group_segment_fixed_size 0
		.amdhsa_private_segment_fixed_size 0
		.amdhsa_kernarg_size 32
		.amdhsa_user_sgpr_count 15
		.amdhsa_user_sgpr_dispatch_ptr 0
		.amdhsa_user_sgpr_queue_ptr 0
		.amdhsa_user_sgpr_kernarg_segment_ptr 1
		.amdhsa_user_sgpr_dispatch_id 0
		.amdhsa_user_sgpr_private_segment_size 0
		.amdhsa_wavefront_size32 1
		.amdhsa_uses_dynamic_stack 0
		.amdhsa_enable_private_segment 0
		.amdhsa_system_sgpr_workgroup_id_x 1
		.amdhsa_system_sgpr_workgroup_id_y 0
		.amdhsa_system_sgpr_workgroup_id_z 0
		.amdhsa_system_sgpr_workgroup_info 0
		.amdhsa_system_vgpr_workitem_id 0
		.amdhsa_next_free_vgpr 14
		.amdhsa_next_free_sgpr 18
		.amdhsa_reserve_vcc 1
		.amdhsa_float_round_mode_32 0
		.amdhsa_float_round_mode_16_64 0
		.amdhsa_float_denorm_mode_32 3
		.amdhsa_float_denorm_mode_16_64 3
		.amdhsa_dx10_clamp 1
		.amdhsa_ieee_mode 1
		.amdhsa_fp16_overflow 0
		.amdhsa_workgroup_processor_mode 1
		.amdhsa_memory_ordered 1
		.amdhsa_forward_progress 0
		.amdhsa_shared_vgpr_count 0
		.amdhsa_exception_fp_ieee_invalid_op 0
		.amdhsa_exception_fp_denorm_src 0
		.amdhsa_exception_fp_ieee_div_zero 0
		.amdhsa_exception_fp_ieee_overflow 0
		.amdhsa_exception_fp_ieee_underflow 0
		.amdhsa_exception_fp_ieee_inexact 0
		.amdhsa_exception_int_div_zero 0
	.end_amdhsa_kernel
	.section	.text._ZN2at6native29vectorized_elementwise_kernelILi2EZNS0_12_GLOBAL__N_119masked_scale_kernelIbffEEvRNS_6TensorERKS4_S7_T1_EUlfbE_St5arrayIPcLm3EEEEviT0_S8_,"axG",@progbits,_ZN2at6native29vectorized_elementwise_kernelILi2EZNS0_12_GLOBAL__N_119masked_scale_kernelIbffEEvRNS_6TensorERKS4_S7_T1_EUlfbE_St5arrayIPcLm3EEEEviT0_S8_,comdat
.Lfunc_end123:
	.size	_ZN2at6native29vectorized_elementwise_kernelILi2EZNS0_12_GLOBAL__N_119masked_scale_kernelIbffEEvRNS_6TensorERKS4_S7_T1_EUlfbE_St5arrayIPcLm3EEEEviT0_S8_, .Lfunc_end123-_ZN2at6native29vectorized_elementwise_kernelILi2EZNS0_12_GLOBAL__N_119masked_scale_kernelIbffEEvRNS_6TensorERKS4_S7_T1_EUlfbE_St5arrayIPcLm3EEEEviT0_S8_
                                        ; -- End function
	.section	.AMDGPU.csdata,"",@progbits
; Kernel info:
; codeLenInByte = 1140
; NumSgprs: 20
; NumVgprs: 14
; ScratchSize: 0
; MemoryBound: 0
; FloatMode: 240
; IeeeMode: 1
; LDSByteSize: 0 bytes/workgroup (compile time only)
; SGPRBlocks: 2
; VGPRBlocks: 1
; NumSGPRsForWavesPerEU: 20
; NumVGPRsForWavesPerEU: 14
; Occupancy: 16
; WaveLimiterHint : 1
; COMPUTE_PGM_RSRC2:SCRATCH_EN: 0
; COMPUTE_PGM_RSRC2:USER_SGPR: 15
; COMPUTE_PGM_RSRC2:TRAP_HANDLER: 0
; COMPUTE_PGM_RSRC2:TGID_X_EN: 1
; COMPUTE_PGM_RSRC2:TGID_Y_EN: 0
; COMPUTE_PGM_RSRC2:TGID_Z_EN: 0
; COMPUTE_PGM_RSRC2:TIDIG_COMP_CNT: 0
	.section	.text._ZN2at6native27unrolled_elementwise_kernelIZNS0_12_GLOBAL__N_119masked_scale_kernelIbffEEvRNS_6TensorERKS4_S7_T1_EUlfbE_St5arrayIPcLm3EELi4E23TrivialOffsetCalculatorILi2EjESD_ILi1EjENS0_6memory15LoadWithoutCastENSG_16StoreWithoutCastEEEviT_T0_T2_T3_T4_T5_,"axG",@progbits,_ZN2at6native27unrolled_elementwise_kernelIZNS0_12_GLOBAL__N_119masked_scale_kernelIbffEEvRNS_6TensorERKS4_S7_T1_EUlfbE_St5arrayIPcLm3EELi4E23TrivialOffsetCalculatorILi2EjESD_ILi1EjENS0_6memory15LoadWithoutCastENSG_16StoreWithoutCastEEEviT_T0_T2_T3_T4_T5_,comdat
	.globl	_ZN2at6native27unrolled_elementwise_kernelIZNS0_12_GLOBAL__N_119masked_scale_kernelIbffEEvRNS_6TensorERKS4_S7_T1_EUlfbE_St5arrayIPcLm3EELi4E23TrivialOffsetCalculatorILi2EjESD_ILi1EjENS0_6memory15LoadWithoutCastENSG_16StoreWithoutCastEEEviT_T0_T2_T3_T4_T5_ ; -- Begin function _ZN2at6native27unrolled_elementwise_kernelIZNS0_12_GLOBAL__N_119masked_scale_kernelIbffEEvRNS_6TensorERKS4_S7_T1_EUlfbE_St5arrayIPcLm3EELi4E23TrivialOffsetCalculatorILi2EjESD_ILi1EjENS0_6memory15LoadWithoutCastENSG_16StoreWithoutCastEEEviT_T0_T2_T3_T4_T5_
	.p2align	8
	.type	_ZN2at6native27unrolled_elementwise_kernelIZNS0_12_GLOBAL__N_119masked_scale_kernelIbffEEvRNS_6TensorERKS4_S7_T1_EUlfbE_St5arrayIPcLm3EELi4E23TrivialOffsetCalculatorILi2EjESD_ILi1EjENS0_6memory15LoadWithoutCastENSG_16StoreWithoutCastEEEviT_T0_T2_T3_T4_T5_,@function
_ZN2at6native27unrolled_elementwise_kernelIZNS0_12_GLOBAL__N_119masked_scale_kernelIbffEEvRNS_6TensorERKS4_S7_T1_EUlfbE_St5arrayIPcLm3EELi4E23TrivialOffsetCalculatorILi2EjESD_ILi1EjENS0_6memory15LoadWithoutCastENSG_16StoreWithoutCastEEEviT_T0_T2_T3_T4_T5_: ; @_ZN2at6native27unrolled_elementwise_kernelIZNS0_12_GLOBAL__N_119masked_scale_kernelIbffEEvRNS_6TensorERKS4_S7_T1_EUlfbE_St5arrayIPcLm3EELi4E23TrivialOffsetCalculatorILi2EjESD_ILi1EjENS0_6memory15LoadWithoutCastENSG_16StoreWithoutCastEEEviT_T0_T2_T3_T4_T5_
; %bb.0:
	s_clause 0x2
	s_load_b64 s[2:3], s[0:1], 0x0
	s_load_b128 s[4:7], s[0:1], 0x8
	s_load_b64 s[8:9], s[0:1], 0x18
	s_lshl_b32 s1, s15, 10
	v_dual_mov_b32 v4, 0 :: v_dual_mov_b32 v5, 0
	v_mov_b32_e32 v2, 0
	v_or_b32_e32 v1, s1, v0
	v_or_b32_e32 v3, 0x100, v0
	v_mov_b32_e32 v6, v0
	s_waitcnt lgkmcnt(0)
	s_sub_i32 s2, s2, s1
	s_delay_alu instid0(SALU_CYCLE_1)
	v_cmp_gt_i32_e32 vcc_lo, s2, v0
	s_and_saveexec_b32 s10, vcc_lo
	s_cbranch_execz .LBB124_2
; %bb.1:
	v_mov_b32_e32 v2, 0
	global_load_u8 v7, v1, s[8:9]
	v_lshlrev_b64 v[5:6], 2, v[1:2]
	s_delay_alu instid0(VALU_DEP_1) | instskip(NEXT) | instid1(VALU_DEP_1)
	v_add_co_u32 v5, s0, s6, v5
	v_add_co_ci_u32_e64 v6, s0, s7, v6, s0
	global_load_b32 v2, v[5:6], off
	v_or_b32_e32 v6, 0x100, v0
	s_waitcnt vmcnt(1)
	v_cmp_ne_u16_e64 s0, 0, v7
	s_delay_alu instid0(VALU_DEP_1)
	v_cndmask_b32_e64 v5, 0, 1.0, s0
.LBB124_2:
	s_or_b32 exec_lo, exec_lo, s10
	v_mov_b32_e32 v7, 0
	s_mov_b32 s10, exec_lo
	v_cmpx_gt_i32_e64 s2, v6
	s_cbranch_execz .LBB124_4
; %bb.3:
	v_dual_mov_b32 v8, 0 :: v_dual_add_nc_u32 v7, s1, v6
	v_add_nc_u32_e32 v6, 0x100, v6
	global_load_u8 v10, v7, s[8:9]
	v_lshlrev_b64 v[8:9], 2, v[7:8]
	s_delay_alu instid0(VALU_DEP_1) | instskip(NEXT) | instid1(VALU_DEP_1)
	v_add_co_u32 v7, s0, s6, v8
	v_add_co_ci_u32_e64 v8, s0, s7, v9, s0
	global_load_b32 v4, v[7:8], off
	s_waitcnt vmcnt(1)
	v_cmp_ne_u16_e64 s0, 0, v10
	s_delay_alu instid0(VALU_DEP_1)
	v_cndmask_b32_e64 v7, 0, 1.0, s0
.LBB124_4:
	s_or_b32 exec_lo, exec_lo, s10
	v_dual_mov_b32 v8, 0 :: v_dual_mov_b32 v9, 0
	v_mov_b32_e32 v10, 0
	s_mov_b32 s10, exec_lo
	v_cmpx_gt_i32_e64 s2, v6
	s_cbranch_execz .LBB124_6
; %bb.5:
	v_dual_mov_b32 v10, 0 :: v_dual_add_nc_u32 v9, s1, v6
	v_add_nc_u32_e32 v6, 0x100, v6
	global_load_u8 v12, v9, s[8:9]
	v_lshlrev_b64 v[10:11], 2, v[9:10]
	s_delay_alu instid0(VALU_DEP_1) | instskip(NEXT) | instid1(VALU_DEP_1)
	v_add_co_u32 v9, s0, s6, v10
	v_add_co_ci_u32_e64 v10, s0, s7, v11, s0
	global_load_b32 v9, v[9:10], off
	s_waitcnt vmcnt(1)
	v_cmp_ne_u16_e64 s0, 0, v12
	s_delay_alu instid0(VALU_DEP_1)
	v_cndmask_b32_e64 v10, 0, 1.0, s0
.LBB124_6:
	s_or_b32 exec_lo, exec_lo, s10
	s_delay_alu instid0(SALU_CYCLE_1)
	s_mov_b32 s10, exec_lo
	v_cmpx_gt_i32_e64 s2, v6
	s_cbranch_execz .LBB124_8
; %bb.7:
	v_dual_mov_b32 v12, 0 :: v_dual_add_nc_u32 v11, s1, v6
	global_load_u8 v6, v11, s[8:9]
	v_lshlrev_b64 v[12:13], 2, v[11:12]
	s_delay_alu instid0(VALU_DEP_1) | instskip(NEXT) | instid1(VALU_DEP_1)
	v_add_co_u32 v11, s0, s6, v12
	v_add_co_ci_u32_e64 v12, s0, s7, v13, s0
	global_load_b32 v8, v[11:12], off
	s_waitcnt vmcnt(1)
	v_cmp_ne_u16_e64 s0, 0, v6
	s_delay_alu instid0(VALU_DEP_1) | instskip(SKIP_1) | instid1(VALU_DEP_1)
	v_cndmask_b32_e64 v6, 0, 1.0, s0
	s_waitcnt vmcnt(0)
	v_mul_f32_e32 v8, v8, v6
.LBB124_8:
	s_or_b32 exec_lo, exec_lo, s10
	s_waitcnt vmcnt(0)
	v_dual_mul_f32 v2, v2, v5 :: v_dual_mul_f32 v5, v9, v10
	s_delay_alu instid0(VALU_DEP_1) | instskip(NEXT) | instid1(VALU_DEP_1)
	v_dual_mul_f32 v4, v4, v7 :: v_dual_mul_f32 v7, s3, v2
	v_dual_mul_f32 v5, s3, v5 :: v_dual_mul_f32 v6, s3, v4
	v_mul_f32_e32 v4, s3, v8
	s_and_saveexec_b32 s0, vcc_lo
	s_cbranch_execnz .LBB124_13
; %bb.9:
	s_or_b32 exec_lo, exec_lo, s0
	s_delay_alu instid0(SALU_CYCLE_1)
	s_mov_b32 s0, exec_lo
	v_cmpx_gt_i32_e64 s2, v0
	s_cbranch_execnz .LBB124_14
.LBB124_10:
	s_or_b32 exec_lo, exec_lo, s0
	s_delay_alu instid0(SALU_CYCLE_1)
	s_mov_b32 s0, exec_lo
	v_cmpx_gt_i32_e64 s2, v0
	s_cbranch_execnz .LBB124_15
.LBB124_11:
	s_or_b32 exec_lo, exec_lo, s0
	s_delay_alu instid0(SALU_CYCLE_1)
	s_mov_b32 s0, exec_lo
	v_cmpx_gt_i32_e64 s2, v0
	s_cbranch_execnz .LBB124_16
.LBB124_12:
	s_nop 0
	s_sendmsg sendmsg(MSG_DEALLOC_VGPRS)
	s_endpgm
.LBB124_13:
	v_mov_b32_e32 v2, 0
	s_delay_alu instid0(VALU_DEP_1) | instskip(NEXT) | instid1(VALU_DEP_1)
	v_lshlrev_b64 v[0:1], 2, v[1:2]
	v_add_co_u32 v8, vcc_lo, s4, v0
	s_delay_alu instid0(VALU_DEP_2) | instskip(SKIP_3) | instid1(SALU_CYCLE_1)
	v_add_co_ci_u32_e32 v9, vcc_lo, s5, v1, vcc_lo
	v_mov_b32_e32 v0, v3
	global_store_b32 v[8:9], v7, off
	s_or_b32 exec_lo, exec_lo, s0
	s_mov_b32 s0, exec_lo
	v_cmpx_gt_i32_e64 s2, v0
	s_cbranch_execz .LBB124_10
.LBB124_14:
	v_dual_mov_b32 v2, 0 :: v_dual_add_nc_u32 v1, s1, v0
	v_add_nc_u32_e32 v0, 0x100, v0
	s_delay_alu instid0(VALU_DEP_2) | instskip(NEXT) | instid1(VALU_DEP_1)
	v_lshlrev_b64 v[1:2], 2, v[1:2]
	v_add_co_u32 v1, vcc_lo, s4, v1
	s_delay_alu instid0(VALU_DEP_2) | instskip(SKIP_2) | instid1(SALU_CYCLE_1)
	v_add_co_ci_u32_e32 v2, vcc_lo, s5, v2, vcc_lo
	global_store_b32 v[1:2], v6, off
	s_or_b32 exec_lo, exec_lo, s0
	s_mov_b32 s0, exec_lo
	v_cmpx_gt_i32_e64 s2, v0
	s_cbranch_execz .LBB124_11
.LBB124_15:
	v_dual_mov_b32 v2, 0 :: v_dual_add_nc_u32 v1, s1, v0
	v_add_nc_u32_e32 v0, 0x100, v0
	s_delay_alu instid0(VALU_DEP_2) | instskip(NEXT) | instid1(VALU_DEP_1)
	v_lshlrev_b64 v[1:2], 2, v[1:2]
	v_add_co_u32 v1, vcc_lo, s4, v1
	s_delay_alu instid0(VALU_DEP_2) | instskip(SKIP_2) | instid1(SALU_CYCLE_1)
	v_add_co_ci_u32_e32 v2, vcc_lo, s5, v2, vcc_lo
	global_store_b32 v[1:2], v5, off
	s_or_b32 exec_lo, exec_lo, s0
	s_mov_b32 s0, exec_lo
	v_cmpx_gt_i32_e64 s2, v0
	s_cbranch_execz .LBB124_12
.LBB124_16:
	v_dual_mov_b32 v1, 0 :: v_dual_add_nc_u32 v0, s1, v0
	s_delay_alu instid0(VALU_DEP_1) | instskip(NEXT) | instid1(VALU_DEP_1)
	v_lshlrev_b64 v[0:1], 2, v[0:1]
	v_add_co_u32 v0, vcc_lo, s4, v0
	s_delay_alu instid0(VALU_DEP_2)
	v_add_co_ci_u32_e32 v1, vcc_lo, s5, v1, vcc_lo
	global_store_b32 v[0:1], v4, off
	s_nop 0
	s_sendmsg sendmsg(MSG_DEALLOC_VGPRS)
	s_endpgm
	.section	.rodata,"a",@progbits
	.p2align	6, 0x0
	.amdhsa_kernel _ZN2at6native27unrolled_elementwise_kernelIZNS0_12_GLOBAL__N_119masked_scale_kernelIbffEEvRNS_6TensorERKS4_S7_T1_EUlfbE_St5arrayIPcLm3EELi4E23TrivialOffsetCalculatorILi2EjESD_ILi1EjENS0_6memory15LoadWithoutCastENSG_16StoreWithoutCastEEEviT_T0_T2_T3_T4_T5_
		.amdhsa_group_segment_fixed_size 0
		.amdhsa_private_segment_fixed_size 0
		.amdhsa_kernarg_size 36
		.amdhsa_user_sgpr_count 15
		.amdhsa_user_sgpr_dispatch_ptr 0
		.amdhsa_user_sgpr_queue_ptr 0
		.amdhsa_user_sgpr_kernarg_segment_ptr 1
		.amdhsa_user_sgpr_dispatch_id 0
		.amdhsa_user_sgpr_private_segment_size 0
		.amdhsa_wavefront_size32 1
		.amdhsa_uses_dynamic_stack 0
		.amdhsa_enable_private_segment 0
		.amdhsa_system_sgpr_workgroup_id_x 1
		.amdhsa_system_sgpr_workgroup_id_y 0
		.amdhsa_system_sgpr_workgroup_id_z 0
		.amdhsa_system_sgpr_workgroup_info 0
		.amdhsa_system_vgpr_workitem_id 0
		.amdhsa_next_free_vgpr 14
		.amdhsa_next_free_sgpr 16
		.amdhsa_reserve_vcc 1
		.amdhsa_float_round_mode_32 0
		.amdhsa_float_round_mode_16_64 0
		.amdhsa_float_denorm_mode_32 3
		.amdhsa_float_denorm_mode_16_64 3
		.amdhsa_dx10_clamp 1
		.amdhsa_ieee_mode 1
		.amdhsa_fp16_overflow 0
		.amdhsa_workgroup_processor_mode 1
		.amdhsa_memory_ordered 1
		.amdhsa_forward_progress 0
		.amdhsa_shared_vgpr_count 0
		.amdhsa_exception_fp_ieee_invalid_op 0
		.amdhsa_exception_fp_denorm_src 0
		.amdhsa_exception_fp_ieee_div_zero 0
		.amdhsa_exception_fp_ieee_overflow 0
		.amdhsa_exception_fp_ieee_underflow 0
		.amdhsa_exception_fp_ieee_inexact 0
		.amdhsa_exception_int_div_zero 0
	.end_amdhsa_kernel
	.section	.text._ZN2at6native27unrolled_elementwise_kernelIZNS0_12_GLOBAL__N_119masked_scale_kernelIbffEEvRNS_6TensorERKS4_S7_T1_EUlfbE_St5arrayIPcLm3EELi4E23TrivialOffsetCalculatorILi2EjESD_ILi1EjENS0_6memory15LoadWithoutCastENSG_16StoreWithoutCastEEEviT_T0_T2_T3_T4_T5_,"axG",@progbits,_ZN2at6native27unrolled_elementwise_kernelIZNS0_12_GLOBAL__N_119masked_scale_kernelIbffEEvRNS_6TensorERKS4_S7_T1_EUlfbE_St5arrayIPcLm3EELi4E23TrivialOffsetCalculatorILi2EjESD_ILi1EjENS0_6memory15LoadWithoutCastENSG_16StoreWithoutCastEEEviT_T0_T2_T3_T4_T5_,comdat
.Lfunc_end124:
	.size	_ZN2at6native27unrolled_elementwise_kernelIZNS0_12_GLOBAL__N_119masked_scale_kernelIbffEEvRNS_6TensorERKS4_S7_T1_EUlfbE_St5arrayIPcLm3EELi4E23TrivialOffsetCalculatorILi2EjESD_ILi1EjENS0_6memory15LoadWithoutCastENSG_16StoreWithoutCastEEEviT_T0_T2_T3_T4_T5_, .Lfunc_end124-_ZN2at6native27unrolled_elementwise_kernelIZNS0_12_GLOBAL__N_119masked_scale_kernelIbffEEvRNS_6TensorERKS4_S7_T1_EUlfbE_St5arrayIPcLm3EELi4E23TrivialOffsetCalculatorILi2EjESD_ILi1EjENS0_6memory15LoadWithoutCastENSG_16StoreWithoutCastEEEviT_T0_T2_T3_T4_T5_
                                        ; -- End function
	.section	.AMDGPU.csdata,"",@progbits
; Kernel info:
; codeLenInByte = 892
; NumSgprs: 18
; NumVgprs: 14
; ScratchSize: 0
; MemoryBound: 0
; FloatMode: 240
; IeeeMode: 1
; LDSByteSize: 0 bytes/workgroup (compile time only)
; SGPRBlocks: 2
; VGPRBlocks: 1
; NumSGPRsForWavesPerEU: 18
; NumVGPRsForWavesPerEU: 14
; Occupancy: 16
; WaveLimiterHint : 0
; COMPUTE_PGM_RSRC2:SCRATCH_EN: 0
; COMPUTE_PGM_RSRC2:USER_SGPR: 15
; COMPUTE_PGM_RSRC2:TRAP_HANDLER: 0
; COMPUTE_PGM_RSRC2:TGID_X_EN: 1
; COMPUTE_PGM_RSRC2:TGID_Y_EN: 0
; COMPUTE_PGM_RSRC2:TGID_Z_EN: 0
; COMPUTE_PGM_RSRC2:TIDIG_COMP_CNT: 0
	.section	.text._ZN2at6native32elementwise_kernel_manual_unrollILi128ELi4EZNS0_22gpu_kernel_impl_nocastIZNS0_12_GLOBAL__N_119masked_scale_kernelIbffEEvRNS_6TensorERKS5_S8_T1_EUlfbE_EEvRNS_18TensorIteratorBaseERKT_EUlibE_EEviS9_,"axG",@progbits,_ZN2at6native32elementwise_kernel_manual_unrollILi128ELi4EZNS0_22gpu_kernel_impl_nocastIZNS0_12_GLOBAL__N_119masked_scale_kernelIbffEEvRNS_6TensorERKS5_S8_T1_EUlfbE_EEvRNS_18TensorIteratorBaseERKT_EUlibE_EEviS9_,comdat
	.globl	_ZN2at6native32elementwise_kernel_manual_unrollILi128ELi4EZNS0_22gpu_kernel_impl_nocastIZNS0_12_GLOBAL__N_119masked_scale_kernelIbffEEvRNS_6TensorERKS5_S8_T1_EUlfbE_EEvRNS_18TensorIteratorBaseERKT_EUlibE_EEviS9_ ; -- Begin function _ZN2at6native32elementwise_kernel_manual_unrollILi128ELi4EZNS0_22gpu_kernel_impl_nocastIZNS0_12_GLOBAL__N_119masked_scale_kernelIbffEEvRNS_6TensorERKS5_S8_T1_EUlfbE_EEvRNS_18TensorIteratorBaseERKT_EUlibE_EEviS9_
	.p2align	8
	.type	_ZN2at6native32elementwise_kernel_manual_unrollILi128ELi4EZNS0_22gpu_kernel_impl_nocastIZNS0_12_GLOBAL__N_119masked_scale_kernelIbffEEvRNS_6TensorERKS5_S8_T1_EUlfbE_EEvRNS_18TensorIteratorBaseERKT_EUlibE_EEviS9_,@function
_ZN2at6native32elementwise_kernel_manual_unrollILi128ELi4EZNS0_22gpu_kernel_impl_nocastIZNS0_12_GLOBAL__N_119masked_scale_kernelIbffEEvRNS_6TensorERKS5_S8_T1_EUlfbE_EEvRNS_18TensorIteratorBaseERKT_EUlibE_EEviS9_: ; @_ZN2at6native32elementwise_kernel_manual_unrollILi128ELi4EZNS0_22gpu_kernel_impl_nocastIZNS0_12_GLOBAL__N_119masked_scale_kernelIbffEEvRNS_6TensorERKS5_S8_T1_EUlfbE_EEvRNS_18TensorIteratorBaseERKT_EUlibE_EEviS9_
; %bb.0:
	s_clause 0x1
	s_load_b32 s22, s[0:1], 0x8
	s_load_b32 s29, s[0:1], 0x0
	v_lshl_or_b32 v6, s15, 9, v0
	s_or_b32 s0, s0, 8
	s_mov_b32 s2, exec_lo
	s_delay_alu instid0(VALU_DEP_1) | instskip(SKIP_2) | instid1(SALU_CYCLE_1)
	v_or_b32_e32 v12, 0x180, v6
	s_waitcnt lgkmcnt(0)
	s_add_i32 s23, s22, -1
	s_cmp_gt_u32 s23, 1
	s_cselect_b32 s24, -1, 0
	v_cmpx_le_i32_e64 s29, v12
	s_xor_b32 s25, exec_lo, s2
	s_cbranch_execz .LBB125_8
; %bb.1:
	s_clause 0x6
	s_load_b128 s[12:15], s[0:1], 0x4
	s_load_b64 s[18:19], s[0:1], 0x14
	s_load_b128 s[8:11], s[0:1], 0xc4
	s_load_b64 s[16:17], s[0:1], 0xd4
	s_load_b64 s[2:3], s[0:1], 0x198
	s_load_b128 s[4:7], s[0:1], 0x188
	s_load_b32 s26, s[0:1], 0x1a0
	s_cmp_lg_u32 s22, 0
	s_mov_b32 s31, exec_lo
	s_cselect_b32 s30, -1, 0
	s_min_u32 s28, s23, 15
	s_cmp_gt_u32 s22, 1
	s_cselect_b32 s27, -1, 0
	v_cmpx_gt_i32_e64 s29, v6
	s_cbranch_execz .LBB125_15
; %bb.2:
	s_and_not1_b32 vcc_lo, exec_lo, s24
	s_cbranch_vccnz .LBB125_57
; %bb.3:
	v_dual_mov_b32 v0, 0 :: v_dual_mov_b32 v1, 0
	v_mov_b32_e32 v2, 0
	s_and_not1_b32 vcc_lo, exec_lo, s30
	s_mov_b32 s33, 0
	s_cbranch_vccnz .LBB125_58
; %bb.4:
	s_add_i32 s20, s28, 1
	v_dual_mov_b32 v1, 0 :: v_dual_mov_b32 v2, 0
	v_dual_mov_b32 v0, 0 :: v_dual_mov_b32 v3, v6
	s_and_b32 s34, s20, 30
	s_add_u32 s20, s0, 0xffffffec
	s_addc_u32 s21, s1, -1
	s_set_inst_prefetch_distance 0x1
	.p2align	6
.LBB125_5:                              ; =>This Inner Loop Header: Depth=1
	s_clause 0x2
	s_load_b128 s[36:39], s[20:21], 0x18
	s_load_b64 s[44:45], s[20:21], 0x28
	s_load_b128 s[40:43], s[20:21], 0xd8
	s_waitcnt lgkmcnt(0)
	v_mul_hi_u32 v4, s37, v3
	s_delay_alu instid0(VALU_DEP_1) | instskip(NEXT) | instid1(VALU_DEP_1)
	v_add_nc_u32_e32 v4, v3, v4
	v_lshrrev_b32_e32 v4, s38, v4
	s_delay_alu instid0(VALU_DEP_1)
	v_mul_hi_u32 v5, s44, v4
	v_mul_lo_u32 v7, v4, s36
	s_load_b64 s[36:37], s[20:21], 0xe8
	s_add_u32 s20, s20, 24
	s_addc_u32 s21, s21, 0
	s_add_i32 s34, s34, -2
	s_delay_alu instid0(SALU_CYCLE_1) | instskip(NEXT) | instid1(VALU_DEP_2)
	s_cmp_lg_u32 s34, 0
	v_add_nc_u32_e32 v5, v4, v5
	s_delay_alu instid0(VALU_DEP_2) | instskip(NEXT) | instid1(VALU_DEP_2)
	v_sub_nc_u32_e32 v7, v3, v7
	v_lshrrev_b32_e32 v3, s45, v5
	s_delay_alu instid0(VALU_DEP_2) | instskip(NEXT) | instid1(VALU_DEP_2)
	v_mul_lo_u32 v8, v7, s40
	v_mul_lo_u32 v5, v3, s39
	s_delay_alu instid0(VALU_DEP_1) | instskip(SKIP_2) | instid1(VALU_DEP_3)
	v_sub_nc_u32_e32 v4, v4, v5
	v_mul_lo_u32 v5, v7, s41
	v_mul_lo_u32 v7, v7, s42
	;; [unrolled: 1-line block ×3, first 2 shown]
	s_waitcnt lgkmcnt(0)
	v_mul_lo_u32 v10, v4, s36
	v_mul_lo_u32 v4, v4, s37
	s_delay_alu instid0(VALU_DEP_3) | instskip(NEXT) | instid1(VALU_DEP_3)
	v_add3_u32 v0, v8, v0, v9
	v_add3_u32 v2, v5, v2, v10
	s_delay_alu instid0(VALU_DEP_3)
	v_add3_u32 v1, v7, v1, v4
	s_cbranch_scc1 .LBB125_5
; %bb.6:
	s_set_inst_prefetch_distance 0x2
	s_bitcmp1_b32 s28, 0
	s_cselect_b32 s34, -1, 0
	s_delay_alu instid0(SALU_CYCLE_1)
	s_and_b32 vcc_lo, exec_lo, s34
	s_cbranch_vccnz .LBB125_58
; %bb.7:
	s_clause 0x3
	s_load_b64 s[34:35], s[20:21], 0x18
	s_load_b32 s38, s[20:21], 0x20
	s_load_b64 s[36:37], s[20:21], 0xd8
	s_load_b32 s20, s[20:21], 0xe0
	s_waitcnt lgkmcnt(0)
	v_mul_hi_u32 v4, s35, v3
	s_delay_alu instid0(VALU_DEP_1) | instskip(NEXT) | instid1(VALU_DEP_1)
	v_add_nc_u32_e32 v4, v3, v4
	v_lshrrev_b32_e32 v4, s38, v4
	s_delay_alu instid0(VALU_DEP_1) | instskip(NEXT) | instid1(VALU_DEP_1)
	v_mul_lo_u32 v4, v4, s34
	v_sub_nc_u32_e32 v9, v3, v4
	s_delay_alu instid0(VALU_DEP_1) | instskip(SKIP_1) | instid1(VALU_DEP_2)
	v_mad_u64_u32 v[3:4], null, v9, s36, v[0:1]
	v_mad_u64_u32 v[7:8], null, v9, s20, v[1:2]
	;; [unrolled: 1-line block ×3, first 2 shown]
	v_mov_b32_e32 v0, v3
	s_delay_alu instid0(VALU_DEP_2)
	v_dual_mov_b32 v1, v7 :: v_dual_mov_b32 v2, v4
	s_branch .LBB125_58
.LBB125_8:
	s_and_not1_saveexec_b32 s2, s25
	s_cbranch_execz .LBB125_76
.LBB125_9:
	v_cndmask_b32_e64 v9, 0, 1, s24
	s_and_not1_b32 vcc_lo, exec_lo, s24
	s_cbranch_vccnz .LBB125_22
; %bb.10:
	v_dual_mov_b32 v0, 0 :: v_dual_mov_b32 v1, 0
	v_mov_b32_e32 v2, 0
	s_cmp_lg_u32 s22, 0
	s_mov_b32 s4, 0
	s_cbranch_scc0 .LBB125_23
; %bb.11:
	s_min_u32 s5, s23, 15
	v_dual_mov_b32 v2, 0 :: v_dual_mov_b32 v1, 0
	s_add_i32 s2, s5, 1
	v_dual_mov_b32 v0, 0 :: v_dual_mov_b32 v3, v6
	s_and_b32 s6, s2, 30
	s_add_u32 s2, s0, 0xffffffec
	s_addc_u32 s3, s1, -1
	s_set_inst_prefetch_distance 0x1
	.p2align	6
.LBB125_12:                             ; =>This Inner Loop Header: Depth=1
	s_clause 0x2
	s_load_b128 s[8:11], s[2:3], 0x18
	s_load_b64 s[16:17], s[2:3], 0x28
	s_load_b128 s[12:15], s[2:3], 0xd8
	s_waitcnt lgkmcnt(0)
	v_mul_hi_u32 v4, s9, v3
	s_delay_alu instid0(VALU_DEP_1) | instskip(NEXT) | instid1(VALU_DEP_1)
	v_add_nc_u32_e32 v4, v3, v4
	v_lshrrev_b32_e32 v4, s10, v4
	s_delay_alu instid0(VALU_DEP_1)
	v_mul_hi_u32 v5, s16, v4
	v_mul_lo_u32 v7, v4, s8
	s_load_b64 s[8:9], s[2:3], 0xe8
	s_add_u32 s2, s2, 24
	s_addc_u32 s3, s3, 0
	s_add_i32 s6, s6, -2
	s_delay_alu instid0(SALU_CYCLE_1) | instskip(NEXT) | instid1(VALU_DEP_2)
	s_cmp_lg_u32 s6, 0
	v_add_nc_u32_e32 v5, v4, v5
	s_delay_alu instid0(VALU_DEP_2) | instskip(NEXT) | instid1(VALU_DEP_2)
	v_sub_nc_u32_e32 v7, v3, v7
	v_lshrrev_b32_e32 v3, s17, v5
	s_delay_alu instid0(VALU_DEP_2) | instskip(NEXT) | instid1(VALU_DEP_2)
	v_mul_lo_u32 v8, v7, s12
	v_mul_lo_u32 v5, v3, s11
	s_delay_alu instid0(VALU_DEP_1) | instskip(SKIP_2) | instid1(VALU_DEP_3)
	v_sub_nc_u32_e32 v4, v4, v5
	v_mul_lo_u32 v5, v7, s13
	v_mul_lo_u32 v7, v7, s14
	;; [unrolled: 1-line block ×3, first 2 shown]
	s_waitcnt lgkmcnt(0)
	v_mul_lo_u32 v11, v4, s8
	v_mul_lo_u32 v4, v4, s9
	s_delay_alu instid0(VALU_DEP_3) | instskip(NEXT) | instid1(VALU_DEP_3)
	v_add3_u32 v0, v8, v0, v10
	v_add3_u32 v1, v5, v1, v11
	s_delay_alu instid0(VALU_DEP_3)
	v_add3_u32 v2, v7, v2, v4
	s_cbranch_scc1 .LBB125_12
; %bb.13:
	s_set_inst_prefetch_distance 0x2
	s_bitcmp1_b32 s5, 0
	s_cselect_b32 s5, -1, 0
	s_delay_alu instid0(SALU_CYCLE_1)
	s_and_b32 vcc_lo, exec_lo, s5
	s_cbranch_vccnz .LBB125_23
; %bb.14:
	s_clause 0x3
	s_load_b64 s[6:7], s[2:3], 0x18
	s_load_b32 s5, s[2:3], 0x20
	s_load_b64 s[8:9], s[2:3], 0xd8
	s_load_b32 s2, s[2:3], 0xe0
	s_waitcnt lgkmcnt(0)
	v_mul_hi_u32 v4, s7, v3
	s_delay_alu instid0(VALU_DEP_1) | instskip(NEXT) | instid1(VALU_DEP_1)
	v_add_nc_u32_e32 v4, v3, v4
	v_lshrrev_b32_e32 v4, s5, v4
	s_delay_alu instid0(VALU_DEP_1) | instskip(NEXT) | instid1(VALU_DEP_1)
	v_mul_lo_u32 v4, v4, s6
	v_sub_nc_u32_e32 v10, v3, v4
	s_delay_alu instid0(VALU_DEP_1) | instskip(SKIP_1) | instid1(VALU_DEP_2)
	v_mad_u64_u32 v[3:4], null, v10, s8, v[0:1]
	v_mad_u64_u32 v[4:5], null, v10, s9, v[1:2]
	;; [unrolled: 1-line block ×3, first 2 shown]
	s_delay_alu instid0(VALU_DEP_2) | instskip(NEXT) | instid1(VALU_DEP_2)
	v_dual_mov_b32 v0, v3 :: v_dual_mov_b32 v1, v4
	v_mov_b32_e32 v2, v7
	s_branch .LBB125_23
.LBB125_15:
	s_or_b32 exec_lo, exec_lo, s31
	s_delay_alu instid0(SALU_CYCLE_1)
	s_mov_b32 s31, exec_lo
	v_cmpx_gt_i32_e64 s29, v6
	s_cbranch_execz .LBB125_62
.LBB125_16:
	s_and_not1_b32 vcc_lo, exec_lo, s24
	s_cbranch_vccnz .LBB125_69
; %bb.17:
	v_dual_mov_b32 v0, 0 :: v_dual_mov_b32 v1, 0
	v_mov_b32_e32 v2, 0
	s_and_not1_b32 vcc_lo, exec_lo, s30
	s_mov_b32 s33, 0
	s_cbranch_vccnz .LBB125_70
; %bb.18:
	s_add_i32 s20, s28, 1
	v_dual_mov_b32 v1, 0 :: v_dual_mov_b32 v2, 0
	v_dual_mov_b32 v0, 0 :: v_dual_mov_b32 v3, v6
	s_and_b32 s34, s20, 30
	s_add_u32 s20, s0, 0xffffffec
	s_addc_u32 s21, s1, -1
	s_set_inst_prefetch_distance 0x1
	.p2align	6
.LBB125_19:                             ; =>This Inner Loop Header: Depth=1
	s_clause 0x2
	s_load_b128 s[36:39], s[20:21], 0x18
	s_load_b64 s[44:45], s[20:21], 0x28
	s_load_b128 s[40:43], s[20:21], 0xd8
	s_waitcnt lgkmcnt(0)
	v_mul_hi_u32 v4, s37, v3
	s_delay_alu instid0(VALU_DEP_1) | instskip(NEXT) | instid1(VALU_DEP_1)
	v_add_nc_u32_e32 v4, v3, v4
	v_lshrrev_b32_e32 v4, s38, v4
	s_delay_alu instid0(VALU_DEP_1)
	v_mul_hi_u32 v5, s44, v4
	v_mul_lo_u32 v7, v4, s36
	s_load_b64 s[36:37], s[20:21], 0xe8
	s_add_u32 s20, s20, 24
	s_addc_u32 s21, s21, 0
	s_add_i32 s34, s34, -2
	s_delay_alu instid0(SALU_CYCLE_1) | instskip(NEXT) | instid1(VALU_DEP_2)
	s_cmp_eq_u32 s34, 0
	v_add_nc_u32_e32 v5, v4, v5
	s_delay_alu instid0(VALU_DEP_2) | instskip(NEXT) | instid1(VALU_DEP_2)
	v_sub_nc_u32_e32 v7, v3, v7
	v_lshrrev_b32_e32 v3, s45, v5
	s_delay_alu instid0(VALU_DEP_2) | instskip(NEXT) | instid1(VALU_DEP_2)
	v_mul_lo_u32 v8, v7, s40
	v_mul_lo_u32 v5, v3, s39
	s_delay_alu instid0(VALU_DEP_1) | instskip(SKIP_2) | instid1(VALU_DEP_3)
	v_sub_nc_u32_e32 v4, v4, v5
	v_mul_lo_u32 v5, v7, s41
	v_mul_lo_u32 v7, v7, s42
	;; [unrolled: 1-line block ×3, first 2 shown]
	s_waitcnt lgkmcnt(0)
	v_mul_lo_u32 v10, v4, s36
	v_mul_lo_u32 v4, v4, s37
	s_delay_alu instid0(VALU_DEP_3) | instskip(NEXT) | instid1(VALU_DEP_3)
	v_add3_u32 v0, v8, v0, v9
	v_add3_u32 v2, v5, v2, v10
	s_delay_alu instid0(VALU_DEP_3)
	v_add3_u32 v1, v7, v1, v4
	s_cbranch_scc0 .LBB125_19
; %bb.20:
	s_set_inst_prefetch_distance 0x2
	s_bitcmp1_b32 s28, 0
	s_cselect_b32 s34, -1, 0
	s_delay_alu instid0(SALU_CYCLE_1)
	s_and_b32 vcc_lo, exec_lo, s34
	s_cbranch_vccnz .LBB125_70
; %bb.21:
	s_clause 0x3
	s_load_b64 s[34:35], s[20:21], 0x18
	s_load_b32 s38, s[20:21], 0x20
	s_load_b64 s[36:37], s[20:21], 0xd8
	s_load_b32 s20, s[20:21], 0xe0
	s_waitcnt lgkmcnt(0)
	v_mul_hi_u32 v4, s35, v3
	s_delay_alu instid0(VALU_DEP_1) | instskip(NEXT) | instid1(VALU_DEP_1)
	v_add_nc_u32_e32 v4, v3, v4
	v_lshrrev_b32_e32 v4, s38, v4
	s_delay_alu instid0(VALU_DEP_1) | instskip(NEXT) | instid1(VALU_DEP_1)
	v_mul_lo_u32 v4, v4, s34
	v_sub_nc_u32_e32 v9, v3, v4
	s_delay_alu instid0(VALU_DEP_1) | instskip(SKIP_1) | instid1(VALU_DEP_2)
	v_mad_u64_u32 v[3:4], null, v9, s36, v[0:1]
	v_mad_u64_u32 v[7:8], null, v9, s20, v[1:2]
	;; [unrolled: 1-line block ×3, first 2 shown]
	v_mov_b32_e32 v0, v3
	s_delay_alu instid0(VALU_DEP_2)
	v_dual_mov_b32 v1, v7 :: v_dual_mov_b32 v2, v4
	s_branch .LBB125_70
.LBB125_22:
	s_mov_b32 s4, -1
                                        ; implicit-def: $vgpr0
                                        ; implicit-def: $vgpr1
                                        ; implicit-def: $vgpr2
.LBB125_23:
	s_delay_alu instid0(SALU_CYCLE_1)
	s_and_not1_b32 vcc_lo, exec_lo, s4
	s_cbranch_vccnz .LBB125_26
; %bb.24:
	s_clause 0x1
	s_load_b128 s[4:7], s[0:1], 0x4
	s_load_b128 s[8:11], s[0:1], 0xc4
	s_cmp_lt_u32 s22, 2
	s_waitcnt lgkmcnt(0)
	v_mul_hi_u32 v0, s5, v6
	s_delay_alu instid0(VALU_DEP_1) | instskip(NEXT) | instid1(VALU_DEP_1)
	v_add_nc_u32_e32 v0, v6, v0
	v_lshrrev_b32_e32 v3, s6, v0
	s_delay_alu instid0(VALU_DEP_1) | instskip(NEXT) | instid1(VALU_DEP_1)
	v_mul_lo_u32 v0, v3, s4
	v_sub_nc_u32_e32 v2, v6, v0
	s_delay_alu instid0(VALU_DEP_1)
	v_mul_lo_u32 v0, v2, s8
	v_mul_lo_u32 v1, v2, s9
	;; [unrolled: 1-line block ×3, first 2 shown]
	s_cbranch_scc1 .LBB125_26
; %bb.25:
	s_clause 0x1
	s_load_b128 s[4:7], s[0:1], 0x10
	s_load_b128 s[8:11], s[0:1], 0xd0
	s_waitcnt lgkmcnt(0)
	v_mul_hi_u32 v4, s5, v3
	s_delay_alu instid0(VALU_DEP_1) | instskip(NEXT) | instid1(VALU_DEP_1)
	v_add_nc_u32_e32 v4, v3, v4
	v_lshrrev_b32_e32 v4, s6, v4
	s_delay_alu instid0(VALU_DEP_1) | instskip(NEXT) | instid1(VALU_DEP_1)
	v_mul_lo_u32 v4, v4, s4
	v_sub_nc_u32_e32 v10, v3, v4
	s_delay_alu instid0(VALU_DEP_1) | instskip(SKIP_1) | instid1(VALU_DEP_2)
	v_mad_u64_u32 v[3:4], null, v10, s8, v[0:1]
	v_mad_u64_u32 v[4:5], null, v10, s9, v[1:2]
	;; [unrolled: 1-line block ×3, first 2 shown]
	s_delay_alu instid0(VALU_DEP_2) | instskip(NEXT) | instid1(VALU_DEP_2)
	v_dual_mov_b32 v0, v3 :: v_dual_mov_b32 v1, v4
	v_mov_b32_e32 v2, v7
.LBB125_26:
	v_cmp_ne_u32_e32 vcc_lo, 1, v9
	v_add_nc_u32_e32 v7, 0x80, v6
	s_cbranch_vccnz .LBB125_32
; %bb.27:
	v_dual_mov_b32 v3, 0 :: v_dual_mov_b32 v4, 0
	v_mov_b32_e32 v5, 0
	s_cmp_lg_u32 s22, 0
	s_mov_b32 s4, 0
	s_cbranch_scc0 .LBB125_33
; %bb.28:
	s_min_u32 s5, s23, 15
	v_dual_mov_b32 v5, 0 :: v_dual_mov_b32 v4, 0
	s_add_i32 s2, s5, 1
	v_dual_mov_b32 v3, 0 :: v_dual_mov_b32 v8, v7
	s_and_b32 s6, s2, 30
	s_add_u32 s2, s0, 0xffffffec
	s_addc_u32 s3, s1, -1
	s_set_inst_prefetch_distance 0x1
	.p2align	6
.LBB125_29:                             ; =>This Inner Loop Header: Depth=1
	s_clause 0x2
	s_load_b128 s[8:11], s[2:3], 0x18
	s_load_b64 s[16:17], s[2:3], 0x28
	s_load_b128 s[12:15], s[2:3], 0xd8
	s_waitcnt lgkmcnt(0)
	v_mul_hi_u32 v10, s9, v8
	s_delay_alu instid0(VALU_DEP_1) | instskip(NEXT) | instid1(VALU_DEP_1)
	v_add_nc_u32_e32 v10, v8, v10
	v_lshrrev_b32_e32 v10, s10, v10
	s_delay_alu instid0(VALU_DEP_1)
	v_mul_hi_u32 v11, s16, v10
	v_mul_lo_u32 v13, v10, s8
	s_load_b64 s[8:9], s[2:3], 0xe8
	s_add_u32 s2, s2, 24
	s_addc_u32 s3, s3, 0
	s_add_i32 s6, s6, -2
	s_delay_alu instid0(SALU_CYCLE_1) | instskip(NEXT) | instid1(VALU_DEP_2)
	s_cmp_lg_u32 s6, 0
	v_add_nc_u32_e32 v11, v10, v11
	s_delay_alu instid0(VALU_DEP_2) | instskip(NEXT) | instid1(VALU_DEP_2)
	v_sub_nc_u32_e32 v13, v8, v13
	v_lshrrev_b32_e32 v8, s17, v11
	s_delay_alu instid0(VALU_DEP_2) | instskip(NEXT) | instid1(VALU_DEP_2)
	v_mul_lo_u32 v14, v13, s12
	v_mul_lo_u32 v11, v8, s11
	s_delay_alu instid0(VALU_DEP_1) | instskip(SKIP_2) | instid1(VALU_DEP_3)
	v_sub_nc_u32_e32 v10, v10, v11
	v_mul_lo_u32 v11, v13, s13
	v_mul_lo_u32 v13, v13, s14
	;; [unrolled: 1-line block ×3, first 2 shown]
	s_waitcnt lgkmcnt(0)
	v_mul_lo_u32 v16, v10, s8
	v_mul_lo_u32 v10, v10, s9
	s_delay_alu instid0(VALU_DEP_3) | instskip(NEXT) | instid1(VALU_DEP_3)
	v_add3_u32 v3, v14, v3, v15
	v_add3_u32 v4, v11, v4, v16
	s_delay_alu instid0(VALU_DEP_3)
	v_add3_u32 v5, v13, v5, v10
	s_cbranch_scc1 .LBB125_29
; %bb.30:
	s_set_inst_prefetch_distance 0x2
	s_bitcmp1_b32 s5, 0
	s_cselect_b32 s5, -1, 0
	s_delay_alu instid0(SALU_CYCLE_1)
	s_and_b32 vcc_lo, exec_lo, s5
	s_cbranch_vccnz .LBB125_33
; %bb.31:
	s_clause 0x3
	s_load_b64 s[6:7], s[2:3], 0x18
	s_load_b32 s5, s[2:3], 0x20
	s_load_b64 s[8:9], s[2:3], 0xd8
	s_load_b32 s2, s[2:3], 0xe0
	s_waitcnt lgkmcnt(0)
	v_mul_hi_u32 v10, s7, v8
	s_delay_alu instid0(VALU_DEP_1) | instskip(NEXT) | instid1(VALU_DEP_1)
	v_add_nc_u32_e32 v10, v8, v10
	v_lshrrev_b32_e32 v10, s5, v10
	s_delay_alu instid0(VALU_DEP_1) | instskip(NEXT) | instid1(VALU_DEP_1)
	v_mul_lo_u32 v10, v10, s6
	v_sub_nc_u32_e32 v8, v8, v10
	s_delay_alu instid0(VALU_DEP_1) | instskip(SKIP_2) | instid1(VALU_DEP_2)
	v_mad_u64_u32 v[13:14], null, v8, s9, v[4:5]
	v_mad_u64_u32 v[10:11], null, v8, s8, v[3:4]
	;; [unrolled: 1-line block ×3, first 2 shown]
	v_dual_mov_b32 v4, v13 :: v_dual_mov_b32 v3, v10
	s_delay_alu instid0(VALU_DEP_2)
	v_mov_b32_e32 v5, v14
	s_branch .LBB125_33
.LBB125_32:
	s_mov_b32 s4, -1
                                        ; implicit-def: $vgpr3
                                        ; implicit-def: $vgpr4
                                        ; implicit-def: $vgpr5
.LBB125_33:
	s_delay_alu instid0(SALU_CYCLE_1)
	s_and_not1_b32 vcc_lo, exec_lo, s4
	s_cbranch_vccnz .LBB125_36
; %bb.34:
	s_clause 0x1
	s_load_b128 s[4:7], s[0:1], 0x4
	s_load_b128 s[8:11], s[0:1], 0xc4
	s_cmp_lt_u32 s22, 2
	s_waitcnt lgkmcnt(0)
	v_mul_hi_u32 v3, s5, v7
	s_delay_alu instid0(VALU_DEP_1) | instskip(NEXT) | instid1(VALU_DEP_1)
	v_add_nc_u32_e32 v3, v7, v3
	v_lshrrev_b32_e32 v8, s6, v3
	s_delay_alu instid0(VALU_DEP_1) | instskip(NEXT) | instid1(VALU_DEP_1)
	v_mul_lo_u32 v3, v8, s4
	v_sub_nc_u32_e32 v5, v7, v3
	s_delay_alu instid0(VALU_DEP_1)
	v_mul_lo_u32 v3, v5, s8
	v_mul_lo_u32 v4, v5, s9
	v_mul_lo_u32 v5, v5, s10
	s_cbranch_scc1 .LBB125_36
; %bb.35:
	s_clause 0x1
	s_load_b128 s[4:7], s[0:1], 0x10
	s_load_b128 s[8:11], s[0:1], 0xd0
	s_waitcnt lgkmcnt(0)
	v_mul_hi_u32 v7, s5, v8
	s_delay_alu instid0(VALU_DEP_1) | instskip(NEXT) | instid1(VALU_DEP_1)
	v_add_nc_u32_e32 v7, v8, v7
	v_lshrrev_b32_e32 v7, s6, v7
	s_delay_alu instid0(VALU_DEP_1) | instskip(NEXT) | instid1(VALU_DEP_1)
	v_mul_lo_u32 v7, v7, s4
	v_sub_nc_u32_e32 v15, v8, v7
	s_delay_alu instid0(VALU_DEP_1) | instskip(SKIP_2) | instid1(VALU_DEP_2)
	v_mad_u64_u32 v[7:8], null, v15, s8, v[3:4]
	v_mad_u64_u32 v[10:11], null, v15, s9, v[4:5]
	;; [unrolled: 1-line block ×3, first 2 shown]
	v_dual_mov_b32 v3, v7 :: v_dual_mov_b32 v4, v10
	s_delay_alu instid0(VALU_DEP_2)
	v_mov_b32_e32 v5, v13
.LBB125_36:
	v_cmp_ne_u32_e32 vcc_lo, 1, v9
	v_add_nc_u32_e32 v10, 0x100, v6
	s_cbranch_vccnz .LBB125_42
; %bb.37:
	v_dual_mov_b32 v6, 0 :: v_dual_mov_b32 v7, 0
	v_mov_b32_e32 v8, 0
	s_cmp_lg_u32 s22, 0
	s_mov_b32 s4, 0
	s_cbranch_scc0 .LBB125_43
; %bb.38:
	s_min_u32 s5, s23, 15
	v_dual_mov_b32 v8, 0 :: v_dual_mov_b32 v7, 0
	s_add_i32 s2, s5, 1
	v_dual_mov_b32 v6, 0 :: v_dual_mov_b32 v11, v10
	s_and_b32 s6, s2, 30
	s_add_u32 s2, s0, 0xffffffec
	s_addc_u32 s3, s1, -1
	s_set_inst_prefetch_distance 0x1
	.p2align	6
.LBB125_39:                             ; =>This Inner Loop Header: Depth=1
	s_clause 0x2
	s_load_b128 s[8:11], s[2:3], 0x18
	s_load_b64 s[16:17], s[2:3], 0x28
	s_load_b128 s[12:15], s[2:3], 0xd8
	s_waitcnt lgkmcnt(0)
	v_mul_hi_u32 v13, s9, v11
	s_delay_alu instid0(VALU_DEP_1) | instskip(NEXT) | instid1(VALU_DEP_1)
	v_add_nc_u32_e32 v13, v11, v13
	v_lshrrev_b32_e32 v13, s10, v13
	s_delay_alu instid0(VALU_DEP_1)
	v_mul_hi_u32 v14, s16, v13
	v_mul_lo_u32 v15, v13, s8
	s_load_b64 s[8:9], s[2:3], 0xe8
	s_add_u32 s2, s2, 24
	s_addc_u32 s3, s3, 0
	s_add_i32 s6, s6, -2
	s_delay_alu instid0(SALU_CYCLE_1) | instskip(NEXT) | instid1(VALU_DEP_2)
	s_cmp_lg_u32 s6, 0
	v_add_nc_u32_e32 v14, v13, v14
	s_delay_alu instid0(VALU_DEP_2) | instskip(NEXT) | instid1(VALU_DEP_2)
	v_sub_nc_u32_e32 v15, v11, v15
	v_lshrrev_b32_e32 v11, s17, v14
	s_delay_alu instid0(VALU_DEP_2) | instskip(NEXT) | instid1(VALU_DEP_2)
	v_mul_lo_u32 v16, v15, s12
	v_mul_lo_u32 v14, v11, s11
	s_delay_alu instid0(VALU_DEP_1) | instskip(SKIP_2) | instid1(VALU_DEP_3)
	v_sub_nc_u32_e32 v13, v13, v14
	v_mul_lo_u32 v14, v15, s13
	v_mul_lo_u32 v15, v15, s14
	;; [unrolled: 1-line block ×3, first 2 shown]
	s_waitcnt lgkmcnt(0)
	v_mul_lo_u32 v18, v13, s8
	v_mul_lo_u32 v13, v13, s9
	s_delay_alu instid0(VALU_DEP_3) | instskip(NEXT) | instid1(VALU_DEP_3)
	v_add3_u32 v6, v16, v6, v17
	v_add3_u32 v7, v14, v7, v18
	s_delay_alu instid0(VALU_DEP_3)
	v_add3_u32 v8, v15, v8, v13
	s_cbranch_scc1 .LBB125_39
; %bb.40:
	s_set_inst_prefetch_distance 0x2
	s_bitcmp1_b32 s5, 0
	s_cselect_b32 s5, -1, 0
	s_delay_alu instid0(SALU_CYCLE_1)
	s_and_b32 vcc_lo, exec_lo, s5
	s_cbranch_vccnz .LBB125_43
; %bb.41:
	s_clause 0x3
	s_load_b64 s[6:7], s[2:3], 0x18
	s_load_b32 s5, s[2:3], 0x20
	s_load_b64 s[8:9], s[2:3], 0xd8
	s_load_b32 s2, s[2:3], 0xe0
	s_waitcnt lgkmcnt(0)
	v_mul_hi_u32 v13, s7, v11
	s_delay_alu instid0(VALU_DEP_1) | instskip(NEXT) | instid1(VALU_DEP_1)
	v_add_nc_u32_e32 v13, v11, v13
	v_lshrrev_b32_e32 v13, s5, v13
	s_delay_alu instid0(VALU_DEP_1) | instskip(NEXT) | instid1(VALU_DEP_1)
	v_mul_lo_u32 v13, v13, s6
	v_sub_nc_u32_e32 v11, v11, v13
	s_delay_alu instid0(VALU_DEP_1) | instskip(SKIP_2) | instid1(VALU_DEP_2)
	v_mad_u64_u32 v[13:14], null, v11, s8, v[6:7]
	v_mad_u64_u32 v[14:15], null, v11, s9, v[7:8]
	;; [unrolled: 1-line block ×3, first 2 shown]
	v_dual_mov_b32 v6, v13 :: v_dual_mov_b32 v7, v14
	s_delay_alu instid0(VALU_DEP_2)
	v_mov_b32_e32 v8, v15
	s_branch .LBB125_43
.LBB125_42:
	s_mov_b32 s4, -1
                                        ; implicit-def: $vgpr6
                                        ; implicit-def: $vgpr7
                                        ; implicit-def: $vgpr8
.LBB125_43:
	s_delay_alu instid0(SALU_CYCLE_1)
	s_and_not1_b32 vcc_lo, exec_lo, s4
	s_cbranch_vccnz .LBB125_46
; %bb.44:
	s_clause 0x1
	s_load_b128 s[4:7], s[0:1], 0x4
	s_load_b128 s[8:11], s[0:1], 0xc4
	s_cmp_lt_u32 s22, 2
	s_waitcnt lgkmcnt(0)
	v_mul_hi_u32 v6, s5, v10
	s_delay_alu instid0(VALU_DEP_1) | instskip(NEXT) | instid1(VALU_DEP_1)
	v_add_nc_u32_e32 v6, v10, v6
	v_lshrrev_b32_e32 v11, s6, v6
	s_delay_alu instid0(VALU_DEP_1) | instskip(NEXT) | instid1(VALU_DEP_1)
	v_mul_lo_u32 v6, v11, s4
	v_sub_nc_u32_e32 v8, v10, v6
	s_delay_alu instid0(VALU_DEP_1)
	v_mul_lo_u32 v6, v8, s8
	v_mul_lo_u32 v7, v8, s9
	;; [unrolled: 1-line block ×3, first 2 shown]
	s_cbranch_scc1 .LBB125_46
; %bb.45:
	s_clause 0x1
	s_load_b128 s[4:7], s[0:1], 0x10
	s_load_b128 s[8:11], s[0:1], 0xd0
	s_waitcnt lgkmcnt(0)
	v_mul_hi_u32 v10, s5, v11
	s_delay_alu instid0(VALU_DEP_1) | instskip(NEXT) | instid1(VALU_DEP_1)
	v_add_nc_u32_e32 v10, v11, v10
	v_lshrrev_b32_e32 v10, s6, v10
	s_delay_alu instid0(VALU_DEP_1) | instskip(NEXT) | instid1(VALU_DEP_1)
	v_mul_lo_u32 v10, v10, s4
	v_sub_nc_u32_e32 v16, v11, v10
	s_delay_alu instid0(VALU_DEP_1) | instskip(SKIP_2) | instid1(VALU_DEP_2)
	v_mad_u64_u32 v[13:14], null, v16, s9, v[7:8]
	v_mad_u64_u32 v[10:11], null, v16, s8, v[6:7]
	v_mad_u64_u32 v[14:15], null, v16, s10, v[8:9]
	v_dual_mov_b32 v7, v13 :: v_dual_mov_b32 v6, v10
	s_delay_alu instid0(VALU_DEP_2)
	v_mov_b32_e32 v8, v14
.LBB125_46:
	v_cmp_ne_u32_e32 vcc_lo, 1, v9
	s_cbranch_vccnz .LBB125_52
; %bb.47:
	v_dual_mov_b32 v9, 0 :: v_dual_mov_b32 v10, 0
	v_mov_b32_e32 v11, 0
	s_cmp_lg_u32 s22, 0
	s_mov_b32 s4, 0
	s_cbranch_scc0 .LBB125_53
; %bb.48:
	s_min_u32 s5, s23, 15
	v_dual_mov_b32 v10, 0 :: v_dual_mov_b32 v11, 0
	s_add_i32 s2, s5, 1
	v_mov_b32_e32 v9, 0
	v_mov_b32_e32 v13, v12
	s_and_b32 s6, s2, 30
	s_add_u32 s2, s0, 0xffffffec
	s_addc_u32 s3, s1, -1
	s_set_inst_prefetch_distance 0x1
	.p2align	6
.LBB125_49:                             ; =>This Inner Loop Header: Depth=1
	s_clause 0x2
	s_load_b128 s[8:11], s[2:3], 0x18
	s_load_b64 s[16:17], s[2:3], 0x28
	s_load_b128 s[12:15], s[2:3], 0xd8
	s_waitcnt lgkmcnt(0)
	v_mul_hi_u32 v14, s9, v13
	s_delay_alu instid0(VALU_DEP_1) | instskip(NEXT) | instid1(VALU_DEP_1)
	v_add_nc_u32_e32 v14, v13, v14
	v_lshrrev_b32_e32 v14, s10, v14
	s_delay_alu instid0(VALU_DEP_1)
	v_mul_hi_u32 v15, s16, v14
	v_mul_lo_u32 v16, v14, s8
	s_load_b64 s[8:9], s[2:3], 0xe8
	s_add_u32 s2, s2, 24
	s_addc_u32 s3, s3, 0
	s_add_i32 s6, s6, -2
	s_delay_alu instid0(SALU_CYCLE_1) | instskip(NEXT) | instid1(VALU_DEP_2)
	s_cmp_lg_u32 s6, 0
	v_add_nc_u32_e32 v15, v14, v15
	s_delay_alu instid0(VALU_DEP_2) | instskip(NEXT) | instid1(VALU_DEP_2)
	v_sub_nc_u32_e32 v16, v13, v16
	v_lshrrev_b32_e32 v13, s17, v15
	s_delay_alu instid0(VALU_DEP_2) | instskip(NEXT) | instid1(VALU_DEP_2)
	v_mul_lo_u32 v17, v16, s12
	v_mul_lo_u32 v15, v13, s11
	s_delay_alu instid0(VALU_DEP_1) | instskip(SKIP_2) | instid1(VALU_DEP_3)
	v_sub_nc_u32_e32 v14, v14, v15
	v_mul_lo_u32 v15, v16, s13
	v_mul_lo_u32 v16, v16, s14
	;; [unrolled: 1-line block ×3, first 2 shown]
	s_waitcnt lgkmcnt(0)
	v_mul_lo_u32 v19, v14, s8
	v_mul_lo_u32 v14, v14, s9
	s_delay_alu instid0(VALU_DEP_3) | instskip(NEXT) | instid1(VALU_DEP_3)
	v_add3_u32 v9, v17, v9, v18
	v_add3_u32 v11, v15, v11, v19
	s_delay_alu instid0(VALU_DEP_3)
	v_add3_u32 v10, v16, v10, v14
	s_cbranch_scc1 .LBB125_49
; %bb.50:
	s_set_inst_prefetch_distance 0x2
	s_bitcmp1_b32 s5, 0
	s_cselect_b32 s5, -1, 0
	s_delay_alu instid0(SALU_CYCLE_1)
	s_and_b32 vcc_lo, exec_lo, s5
	s_cbranch_vccnz .LBB125_53
; %bb.51:
	s_clause 0x3
	s_load_b64 s[6:7], s[2:3], 0x18
	s_load_b32 s5, s[2:3], 0x20
	s_load_b64 s[8:9], s[2:3], 0xd8
	s_load_b32 s2, s[2:3], 0xe0
	s_waitcnt lgkmcnt(0)
	v_mul_hi_u32 v14, s7, v13
	s_delay_alu instid0(VALU_DEP_1) | instskip(NEXT) | instid1(VALU_DEP_1)
	v_add_nc_u32_e32 v14, v13, v14
	v_lshrrev_b32_e32 v14, s5, v14
	s_delay_alu instid0(VALU_DEP_1) | instskip(NEXT) | instid1(VALU_DEP_1)
	v_mul_lo_u32 v14, v14, s6
	v_sub_nc_u32_e32 v17, v13, v14
	s_delay_alu instid0(VALU_DEP_1) | instskip(SKIP_2) | instid1(VALU_DEP_3)
	v_mad_u64_u32 v[13:14], null, v17, s8, v[9:10]
	v_mad_u64_u32 v[14:15], null, v17, s9, v[11:12]
	;; [unrolled: 1-line block ×3, first 2 shown]
	v_mov_b32_e32 v9, v13
	s_delay_alu instid0(VALU_DEP_2)
	v_dual_mov_b32 v11, v14 :: v_dual_mov_b32 v10, v15
	s_branch .LBB125_53
.LBB125_52:
	s_mov_b32 s4, -1
                                        ; implicit-def: $vgpr9
                                        ; implicit-def: $vgpr11
                                        ; implicit-def: $vgpr10
.LBB125_53:
	s_delay_alu instid0(SALU_CYCLE_1)
	s_and_not1_b32 vcc_lo, exec_lo, s4
	s_cbranch_vccnz .LBB125_56
; %bb.54:
	s_clause 0x1
	s_load_b128 s[4:7], s[0:1], 0x4
	s_load_b128 s[8:11], s[0:1], 0xc4
	s_cmp_lt_u32 s22, 2
	s_waitcnt lgkmcnt(0)
	v_mul_hi_u32 v9, s5, v12
	s_delay_alu instid0(VALU_DEP_1) | instskip(NEXT) | instid1(VALU_DEP_1)
	v_add_nc_u32_e32 v9, v12, v9
	v_lshrrev_b32_e32 v13, s6, v9
	s_delay_alu instid0(VALU_DEP_1) | instskip(NEXT) | instid1(VALU_DEP_1)
	v_mul_lo_u32 v9, v13, s4
	v_sub_nc_u32_e32 v10, v12, v9
	s_delay_alu instid0(VALU_DEP_1)
	v_mul_lo_u32 v9, v10, s8
	v_mul_lo_u32 v11, v10, s9
	;; [unrolled: 1-line block ×3, first 2 shown]
	s_cbranch_scc1 .LBB125_56
; %bb.55:
	s_clause 0x1
	s_load_b128 s[4:7], s[0:1], 0x10
	s_load_b128 s[8:11], s[0:1], 0xd0
	s_waitcnt lgkmcnt(0)
	v_mul_hi_u32 v12, s5, v13
	s_delay_alu instid0(VALU_DEP_1) | instskip(NEXT) | instid1(VALU_DEP_1)
	v_add_nc_u32_e32 v12, v13, v12
	v_lshrrev_b32_e32 v12, s6, v12
	s_delay_alu instid0(VALU_DEP_1) | instskip(NEXT) | instid1(VALU_DEP_1)
	v_mul_lo_u32 v12, v12, s4
	v_sub_nc_u32_e32 v16, v13, v12
	s_delay_alu instid0(VALU_DEP_1) | instskip(NEXT) | instid1(VALU_DEP_1)
	v_mad_u64_u32 v[12:13], null, v16, s8, v[9:10]
	v_mad_u64_u32 v[13:14], null, v16, s9, v[11:12]
	;; [unrolled: 1-line block ×3, first 2 shown]
	v_mov_b32_e32 v9, v12
	s_delay_alu instid0(VALU_DEP_2)
	v_dual_mov_b32 v11, v13 :: v_dual_mov_b32 v10, v14
.LBB125_56:
	s_clause 0x2
	s_load_b64 s[2:3], s[0:1], 0x198
	s_load_b128 s[4:7], s[0:1], 0x188
	s_load_b32 s0, s[0:1], 0x1a0
	s_waitcnt lgkmcnt(0)
	s_clause 0x3
	global_load_u8 v2, v2, s[2:3]
	global_load_u8 v5, v5, s[2:3]
	;; [unrolled: 1-line block ×4, first 2 shown]
	s_clause 0x3
	global_load_b32 v1, v1, s[6:7]
	global_load_b32 v4, v4, s[6:7]
	;; [unrolled: 1-line block ×4, first 2 shown]
	s_waitcnt vmcnt(7)
	v_cmp_ne_u16_e32 vcc_lo, 0, v2
	v_cndmask_b32_e64 v2, 0, 1.0, vcc_lo
	s_waitcnt vmcnt(6)
	v_cmp_ne_u16_e32 vcc_lo, 0, v5
	v_cndmask_b32_e64 v5, 0, 1.0, vcc_lo
	s_waitcnt vmcnt(5)
	v_cmp_ne_u16_e32 vcc_lo, 0, v8
	s_waitcnt vmcnt(2)
	s_delay_alu instid0(VALU_DEP_2) | instskip(SKIP_3) | instid1(VALU_DEP_2)
	v_dual_mul_f32 v1, v1, v2 :: v_dual_mul_f32 v2, v4, v5
	v_cndmask_b32_e64 v8, 0, 1.0, vcc_lo
	v_cmp_ne_u16_e32 vcc_lo, 0, v10
	s_waitcnt vmcnt(1)
	v_dual_mul_f32 v1, s0, v1 :: v_dual_mul_f32 v4, v7, v8
	v_cndmask_b32_e64 v10, 0, 1.0, vcc_lo
	s_waitcnt vmcnt(0)
	s_delay_alu instid0(VALU_DEP_1) | instskip(NEXT) | instid1(VALU_DEP_1)
	v_dual_mul_f32 v4, s0, v4 :: v_dual_mul_f32 v5, v11, v10
	v_dual_mul_f32 v2, s0, v2 :: v_dual_mul_f32 v5, s0, v5
	s_clause 0x3
	global_store_b32 v0, v1, s[4:5]
	global_store_b32 v3, v2, s[4:5]
	;; [unrolled: 1-line block ×4, first 2 shown]
	s_nop 0
	s_sendmsg sendmsg(MSG_DEALLOC_VGPRS)
	s_endpgm
.LBB125_57:
	s_mov_b32 s33, -1
                                        ; implicit-def: $vgpr0
                                        ; implicit-def: $vgpr2
                                        ; implicit-def: $vgpr1
.LBB125_58:
	s_delay_alu instid0(SALU_CYCLE_1)
	s_and_not1_b32 vcc_lo, exec_lo, s33
	s_cbranch_vccnz .LBB125_61
; %bb.59:
	s_waitcnt lgkmcnt(0)
	v_mul_hi_u32 v0, s13, v6
	s_and_not1_b32 vcc_lo, exec_lo, s27
	s_delay_alu instid0(VALU_DEP_1) | instskip(NEXT) | instid1(VALU_DEP_1)
	v_add_nc_u32_e32 v0, v6, v0
	v_lshrrev_b32_e32 v3, s14, v0
	s_delay_alu instid0(VALU_DEP_1) | instskip(NEXT) | instid1(VALU_DEP_1)
	v_mul_lo_u32 v0, v3, s12
	v_sub_nc_u32_e32 v1, v6, v0
	s_delay_alu instid0(VALU_DEP_1)
	v_mul_lo_u32 v0, v1, s8
	v_mul_lo_u32 v2, v1, s9
	;; [unrolled: 1-line block ×3, first 2 shown]
	s_cbranch_vccnz .LBB125_61
; %bb.60:
	v_mul_hi_u32 v4, s18, v3
	s_delay_alu instid0(VALU_DEP_1) | instskip(NEXT) | instid1(VALU_DEP_1)
	v_add_nc_u32_e32 v4, v3, v4
	v_lshrrev_b32_e32 v4, s19, v4
	s_delay_alu instid0(VALU_DEP_1) | instskip(NEXT) | instid1(VALU_DEP_1)
	v_mul_lo_u32 v4, v4, s15
	v_sub_nc_u32_e32 v9, v3, v4
	s_delay_alu instid0(VALU_DEP_1) | instskip(SKIP_1) | instid1(VALU_DEP_2)
	v_mad_u64_u32 v[3:4], null, v9, s11, v[0:1]
	v_mad_u64_u32 v[7:8], null, v9, s17, v[1:2]
	;; [unrolled: 1-line block ×3, first 2 shown]
	v_mov_b32_e32 v0, v3
	s_delay_alu instid0(VALU_DEP_2)
	v_dual_mov_b32 v1, v7 :: v_dual_mov_b32 v2, v4
.LBB125_61:
	s_waitcnt lgkmcnt(0)
	global_load_u8 v1, v1, s[2:3]
	global_load_b32 v2, v2, s[6:7]
	v_add_nc_u32_e32 v6, 0x80, v6
	s_waitcnt vmcnt(1)
	v_cmp_ne_u16_e32 vcc_lo, 0, v1
	v_cndmask_b32_e64 v1, 0, 1.0, vcc_lo
	s_waitcnt vmcnt(0)
	s_delay_alu instid0(VALU_DEP_1) | instskip(NEXT) | instid1(VALU_DEP_1)
	v_mul_f32_e32 v1, v2, v1
	v_mul_f32_e32 v1, s26, v1
	global_store_b32 v0, v1, s[4:5]
	s_or_b32 exec_lo, exec_lo, s31
	s_delay_alu instid0(SALU_CYCLE_1)
	s_mov_b32 s31, exec_lo
	v_cmpx_gt_i32_e64 s29, v6
	s_cbranch_execnz .LBB125_16
.LBB125_62:
	s_or_b32 exec_lo, exec_lo, s31
	s_delay_alu instid0(SALU_CYCLE_1)
	s_mov_b32 s31, exec_lo
	v_cmpx_gt_i32_e64 s29, v6
	s_cbranch_execz .LBB125_74
.LBB125_63:
	s_and_not1_b32 vcc_lo, exec_lo, s24
	s_cbranch_vccnz .LBB125_77
; %bb.64:
	v_dual_mov_b32 v0, 0 :: v_dual_mov_b32 v1, 0
	v_mov_b32_e32 v2, 0
	s_and_not1_b32 vcc_lo, exec_lo, s30
	s_mov_b32 s33, 0
	s_cbranch_vccnz .LBB125_78
; %bb.65:
	s_add_i32 s20, s28, 1
	v_dual_mov_b32 v1, 0 :: v_dual_mov_b32 v2, 0
	v_dual_mov_b32 v0, 0 :: v_dual_mov_b32 v3, v6
	s_and_b32 s34, s20, 30
	s_add_u32 s20, s0, 0xffffffec
	s_addc_u32 s21, s1, -1
	s_set_inst_prefetch_distance 0x1
	.p2align	6
.LBB125_66:                             ; =>This Inner Loop Header: Depth=1
	s_clause 0x2
	s_load_b128 s[36:39], s[20:21], 0x18
	s_load_b64 s[44:45], s[20:21], 0x28
	s_load_b128 s[40:43], s[20:21], 0xd8
	s_waitcnt lgkmcnt(0)
	v_mul_hi_u32 v4, s37, v3
	s_delay_alu instid0(VALU_DEP_1) | instskip(NEXT) | instid1(VALU_DEP_1)
	v_add_nc_u32_e32 v4, v3, v4
	v_lshrrev_b32_e32 v4, s38, v4
	s_delay_alu instid0(VALU_DEP_1)
	v_mul_hi_u32 v5, s44, v4
	v_mul_lo_u32 v7, v4, s36
	s_load_b64 s[36:37], s[20:21], 0xe8
	s_add_u32 s20, s20, 24
	s_addc_u32 s21, s21, 0
	s_add_i32 s34, s34, -2
	s_delay_alu instid0(SALU_CYCLE_1) | instskip(NEXT) | instid1(VALU_DEP_2)
	s_cmp_eq_u32 s34, 0
	v_add_nc_u32_e32 v5, v4, v5
	s_delay_alu instid0(VALU_DEP_2) | instskip(NEXT) | instid1(VALU_DEP_2)
	v_sub_nc_u32_e32 v7, v3, v7
	v_lshrrev_b32_e32 v3, s45, v5
	s_delay_alu instid0(VALU_DEP_2) | instskip(NEXT) | instid1(VALU_DEP_2)
	v_mul_lo_u32 v8, v7, s40
	v_mul_lo_u32 v5, v3, s39
	s_delay_alu instid0(VALU_DEP_1) | instskip(SKIP_2) | instid1(VALU_DEP_3)
	v_sub_nc_u32_e32 v4, v4, v5
	v_mul_lo_u32 v5, v7, s41
	v_mul_lo_u32 v7, v7, s42
	;; [unrolled: 1-line block ×3, first 2 shown]
	s_waitcnt lgkmcnt(0)
	v_mul_lo_u32 v10, v4, s36
	v_mul_lo_u32 v4, v4, s37
	s_delay_alu instid0(VALU_DEP_3) | instskip(NEXT) | instid1(VALU_DEP_3)
	v_add3_u32 v0, v8, v0, v9
	v_add3_u32 v2, v5, v2, v10
	s_delay_alu instid0(VALU_DEP_3)
	v_add3_u32 v1, v7, v1, v4
	s_cbranch_scc0 .LBB125_66
; %bb.67:
	s_set_inst_prefetch_distance 0x2
	s_bitcmp1_b32 s28, 0
	s_cselect_b32 s34, -1, 0
	s_delay_alu instid0(SALU_CYCLE_1)
	s_and_b32 vcc_lo, exec_lo, s34
	s_cbranch_vccnz .LBB125_78
; %bb.68:
	s_clause 0x3
	s_load_b64 s[34:35], s[20:21], 0x18
	s_load_b32 s38, s[20:21], 0x20
	s_load_b64 s[36:37], s[20:21], 0xd8
	s_load_b32 s20, s[20:21], 0xe0
	s_waitcnt lgkmcnt(0)
	v_mul_hi_u32 v4, s35, v3
	s_delay_alu instid0(VALU_DEP_1) | instskip(NEXT) | instid1(VALU_DEP_1)
	v_add_nc_u32_e32 v4, v3, v4
	v_lshrrev_b32_e32 v4, s38, v4
	s_delay_alu instid0(VALU_DEP_1) | instskip(NEXT) | instid1(VALU_DEP_1)
	v_mul_lo_u32 v4, v4, s34
	v_sub_nc_u32_e32 v9, v3, v4
	s_delay_alu instid0(VALU_DEP_1) | instskip(SKIP_1) | instid1(VALU_DEP_2)
	v_mad_u64_u32 v[3:4], null, v9, s36, v[0:1]
	v_mad_u64_u32 v[7:8], null, v9, s20, v[1:2]
	;; [unrolled: 1-line block ×3, first 2 shown]
	v_mov_b32_e32 v0, v3
	s_delay_alu instid0(VALU_DEP_2)
	v_dual_mov_b32 v1, v7 :: v_dual_mov_b32 v2, v4
	s_branch .LBB125_78
.LBB125_69:
	s_mov_b32 s33, -1
                                        ; implicit-def: $vgpr0
                                        ; implicit-def: $vgpr2
                                        ; implicit-def: $vgpr1
.LBB125_70:
	s_delay_alu instid0(SALU_CYCLE_1)
	s_and_not1_b32 vcc_lo, exec_lo, s33
	s_cbranch_vccnz .LBB125_73
; %bb.71:
	s_waitcnt lgkmcnt(0)
	v_mul_hi_u32 v0, s13, v6
	s_and_not1_b32 vcc_lo, exec_lo, s27
	s_delay_alu instid0(VALU_DEP_1) | instskip(NEXT) | instid1(VALU_DEP_1)
	v_add_nc_u32_e32 v0, v6, v0
	v_lshrrev_b32_e32 v3, s14, v0
	s_delay_alu instid0(VALU_DEP_1) | instskip(NEXT) | instid1(VALU_DEP_1)
	v_mul_lo_u32 v0, v3, s12
	v_sub_nc_u32_e32 v1, v6, v0
	s_delay_alu instid0(VALU_DEP_1)
	v_mul_lo_u32 v0, v1, s8
	v_mul_lo_u32 v2, v1, s9
	;; [unrolled: 1-line block ×3, first 2 shown]
	s_cbranch_vccnz .LBB125_73
; %bb.72:
	v_mul_hi_u32 v4, s18, v3
	s_delay_alu instid0(VALU_DEP_1) | instskip(NEXT) | instid1(VALU_DEP_1)
	v_add_nc_u32_e32 v4, v3, v4
	v_lshrrev_b32_e32 v4, s19, v4
	s_delay_alu instid0(VALU_DEP_1) | instskip(NEXT) | instid1(VALU_DEP_1)
	v_mul_lo_u32 v4, v4, s15
	v_sub_nc_u32_e32 v9, v3, v4
	s_delay_alu instid0(VALU_DEP_1) | instskip(SKIP_1) | instid1(VALU_DEP_2)
	v_mad_u64_u32 v[3:4], null, v9, s11, v[0:1]
	v_mad_u64_u32 v[7:8], null, v9, s17, v[1:2]
	;; [unrolled: 1-line block ×3, first 2 shown]
	v_mov_b32_e32 v0, v3
	s_delay_alu instid0(VALU_DEP_2)
	v_dual_mov_b32 v1, v7 :: v_dual_mov_b32 v2, v4
.LBB125_73:
	s_waitcnt lgkmcnt(0)
	global_load_u8 v1, v1, s[2:3]
	global_load_b32 v2, v2, s[6:7]
	v_add_nc_u32_e32 v6, 0x80, v6
	s_waitcnt vmcnt(1)
	v_cmp_ne_u16_e32 vcc_lo, 0, v1
	v_cndmask_b32_e64 v1, 0, 1.0, vcc_lo
	s_waitcnt vmcnt(0)
	s_delay_alu instid0(VALU_DEP_1) | instskip(NEXT) | instid1(VALU_DEP_1)
	v_mul_f32_e32 v1, v2, v1
	v_mul_f32_e32 v1, s26, v1
	global_store_b32 v0, v1, s[4:5]
	s_or_b32 exec_lo, exec_lo, s31
	s_delay_alu instid0(SALU_CYCLE_1)
	s_mov_b32 s31, exec_lo
	v_cmpx_gt_i32_e64 s29, v6
	s_cbranch_execnz .LBB125_63
.LBB125_74:
	s_or_b32 exec_lo, exec_lo, s31
	v_cmp_gt_i32_e32 vcc_lo, s29, v6
	s_and_saveexec_b32 s29, vcc_lo
	s_cbranch_execnz .LBB125_82
.LBB125_75:
	s_or_b32 exec_lo, exec_lo, s29
                                        ; implicit-def: $vgpr12
                                        ; implicit-def: $vgpr6
	s_waitcnt lgkmcnt(0)
	s_and_not1_saveexec_b32 s2, s25
	s_cbranch_execnz .LBB125_9
.LBB125_76:
	s_nop 0
	s_sendmsg sendmsg(MSG_DEALLOC_VGPRS)
	s_endpgm
.LBB125_77:
	s_mov_b32 s33, -1
                                        ; implicit-def: $vgpr0
                                        ; implicit-def: $vgpr2
                                        ; implicit-def: $vgpr1
.LBB125_78:
	s_delay_alu instid0(SALU_CYCLE_1)
	s_and_not1_b32 vcc_lo, exec_lo, s33
	s_cbranch_vccnz .LBB125_81
; %bb.79:
	s_waitcnt lgkmcnt(0)
	v_mul_hi_u32 v0, s13, v6
	s_and_not1_b32 vcc_lo, exec_lo, s27
	s_delay_alu instid0(VALU_DEP_1) | instskip(NEXT) | instid1(VALU_DEP_1)
	v_add_nc_u32_e32 v0, v6, v0
	v_lshrrev_b32_e32 v3, s14, v0
	s_delay_alu instid0(VALU_DEP_1) | instskip(NEXT) | instid1(VALU_DEP_1)
	v_mul_lo_u32 v0, v3, s12
	v_sub_nc_u32_e32 v1, v6, v0
	s_delay_alu instid0(VALU_DEP_1)
	v_mul_lo_u32 v0, v1, s8
	v_mul_lo_u32 v2, v1, s9
	;; [unrolled: 1-line block ×3, first 2 shown]
	s_cbranch_vccnz .LBB125_81
; %bb.80:
	v_mul_hi_u32 v4, s18, v3
	s_delay_alu instid0(VALU_DEP_1) | instskip(NEXT) | instid1(VALU_DEP_1)
	v_add_nc_u32_e32 v4, v3, v4
	v_lshrrev_b32_e32 v4, s19, v4
	s_delay_alu instid0(VALU_DEP_1) | instskip(NEXT) | instid1(VALU_DEP_1)
	v_mul_lo_u32 v4, v4, s15
	v_sub_nc_u32_e32 v9, v3, v4
	s_delay_alu instid0(VALU_DEP_1) | instskip(SKIP_1) | instid1(VALU_DEP_2)
	v_mad_u64_u32 v[3:4], null, v9, s11, v[0:1]
	v_mad_u64_u32 v[7:8], null, v9, s17, v[1:2]
	;; [unrolled: 1-line block ×3, first 2 shown]
	v_mov_b32_e32 v0, v3
	s_delay_alu instid0(VALU_DEP_2)
	v_dual_mov_b32 v1, v7 :: v_dual_mov_b32 v2, v4
.LBB125_81:
	s_waitcnt lgkmcnt(0)
	global_load_u8 v1, v1, s[2:3]
	global_load_b32 v2, v2, s[6:7]
	v_add_nc_u32_e32 v6, 0x80, v6
	s_waitcnt vmcnt(1)
	v_cmp_ne_u16_e32 vcc_lo, 0, v1
	v_cndmask_b32_e64 v1, 0, 1.0, vcc_lo
	s_waitcnt vmcnt(0)
	s_delay_alu instid0(VALU_DEP_1) | instskip(NEXT) | instid1(VALU_DEP_1)
	v_mul_f32_e32 v1, v2, v1
	v_mul_f32_e32 v1, s26, v1
	global_store_b32 v0, v1, s[4:5]
	s_or_b32 exec_lo, exec_lo, s31
	v_cmp_gt_i32_e32 vcc_lo, s29, v6
	s_and_saveexec_b32 s29, vcc_lo
	s_cbranch_execz .LBB125_75
.LBB125_82:
	s_and_not1_b32 vcc_lo, exec_lo, s24
	s_cbranch_vccnz .LBB125_88
; %bb.83:
	v_dual_mov_b32 v0, 0 :: v_dual_mov_b32 v1, 0
	v_mov_b32_e32 v2, 0
	s_and_not1_b32 vcc_lo, exec_lo, s30
	s_mov_b32 s30, 0
	s_cbranch_vccnz .LBB125_89
; %bb.84:
	s_add_i32 s20, s28, 1
	v_dual_mov_b32 v1, 0 :: v_dual_mov_b32 v2, 0
	v_dual_mov_b32 v0, 0 :: v_dual_mov_b32 v3, v6
	s_and_b32 s31, s20, 30
	s_add_u32 s20, s0, 0xffffffec
	s_addc_u32 s21, s1, -1
	s_set_inst_prefetch_distance 0x1
	.p2align	6
.LBB125_85:                             ; =>This Inner Loop Header: Depth=1
	s_clause 0x2
	s_load_b128 s[36:39], s[20:21], 0x18
	s_load_b64 s[34:35], s[20:21], 0x28
	s_load_b128 s[40:43], s[20:21], 0xd8
	s_waitcnt lgkmcnt(0)
	v_mul_hi_u32 v4, s37, v3
	s_delay_alu instid0(VALU_DEP_1) | instskip(NEXT) | instid1(VALU_DEP_1)
	v_add_nc_u32_e32 v4, v3, v4
	v_lshrrev_b32_e32 v4, s38, v4
	s_delay_alu instid0(VALU_DEP_1)
	v_mul_hi_u32 v5, s34, v4
	v_mul_lo_u32 v7, v4, s36
	s_load_b64 s[36:37], s[20:21], 0xe8
	s_add_u32 s20, s20, 24
	s_addc_u32 s21, s21, 0
	s_add_i32 s31, s31, -2
	s_delay_alu instid0(SALU_CYCLE_1) | instskip(NEXT) | instid1(VALU_DEP_2)
	s_cmp_eq_u32 s31, 0
	v_add_nc_u32_e32 v5, v4, v5
	s_delay_alu instid0(VALU_DEP_2) | instskip(NEXT) | instid1(VALU_DEP_2)
	v_sub_nc_u32_e32 v7, v3, v7
	v_lshrrev_b32_e32 v3, s35, v5
	s_delay_alu instid0(VALU_DEP_2) | instskip(NEXT) | instid1(VALU_DEP_2)
	v_mul_lo_u32 v8, v7, s40
	v_mul_lo_u32 v5, v3, s39
	s_delay_alu instid0(VALU_DEP_1) | instskip(SKIP_2) | instid1(VALU_DEP_3)
	v_sub_nc_u32_e32 v4, v4, v5
	v_mul_lo_u32 v5, v7, s41
	v_mul_lo_u32 v7, v7, s42
	;; [unrolled: 1-line block ×3, first 2 shown]
	s_waitcnt lgkmcnt(0)
	v_mul_lo_u32 v10, v4, s36
	v_mul_lo_u32 v4, v4, s37
	s_delay_alu instid0(VALU_DEP_3) | instskip(NEXT) | instid1(VALU_DEP_3)
	v_add3_u32 v0, v8, v0, v9
	v_add3_u32 v2, v5, v2, v10
	s_delay_alu instid0(VALU_DEP_3)
	v_add3_u32 v1, v7, v1, v4
	s_cbranch_scc0 .LBB125_85
; %bb.86:
	s_set_inst_prefetch_distance 0x2
	s_bitcmp1_b32 s28, 0
	s_cselect_b32 s28, -1, 0
	s_delay_alu instid0(SALU_CYCLE_1)
	s_and_b32 vcc_lo, exec_lo, s28
	s_cbranch_vccnz .LBB125_89
; %bb.87:
	s_clause 0x3
	s_load_b64 s[34:35], s[20:21], 0x18
	s_load_b32 s28, s[20:21], 0x20
	s_load_b64 s[36:37], s[20:21], 0xd8
	s_load_b32 s20, s[20:21], 0xe0
	s_waitcnt lgkmcnt(0)
	v_mul_hi_u32 v4, s35, v3
	s_delay_alu instid0(VALU_DEP_1) | instskip(NEXT) | instid1(VALU_DEP_1)
	v_add_nc_u32_e32 v4, v3, v4
	v_lshrrev_b32_e32 v4, s28, v4
	s_delay_alu instid0(VALU_DEP_1) | instskip(NEXT) | instid1(VALU_DEP_1)
	v_mul_lo_u32 v4, v4, s34
	v_sub_nc_u32_e32 v9, v3, v4
	s_delay_alu instid0(VALU_DEP_1) | instskip(SKIP_1) | instid1(VALU_DEP_2)
	v_mad_u64_u32 v[3:4], null, v9, s36, v[0:1]
	v_mad_u64_u32 v[7:8], null, v9, s20, v[1:2]
	;; [unrolled: 1-line block ×3, first 2 shown]
	v_mov_b32_e32 v0, v3
	s_delay_alu instid0(VALU_DEP_2)
	v_dual_mov_b32 v1, v7 :: v_dual_mov_b32 v2, v4
	s_branch .LBB125_89
.LBB125_88:
	s_mov_b32 s30, -1
                                        ; implicit-def: $vgpr0
                                        ; implicit-def: $vgpr2
                                        ; implicit-def: $vgpr1
.LBB125_89:
	s_delay_alu instid0(SALU_CYCLE_1)
	s_and_not1_b32 vcc_lo, exec_lo, s30
	s_cbranch_vccnz .LBB125_92
; %bb.90:
	s_waitcnt lgkmcnt(0)
	v_mul_hi_u32 v0, s13, v6
	s_and_not1_b32 vcc_lo, exec_lo, s27
	s_delay_alu instid0(VALU_DEP_1) | instskip(NEXT) | instid1(VALU_DEP_1)
	v_add_nc_u32_e32 v0, v6, v0
	v_lshrrev_b32_e32 v3, s14, v0
	s_delay_alu instid0(VALU_DEP_1) | instskip(NEXT) | instid1(VALU_DEP_1)
	v_mul_lo_u32 v0, v3, s12
	v_sub_nc_u32_e32 v1, v6, v0
	s_delay_alu instid0(VALU_DEP_1)
	v_mul_lo_u32 v0, v1, s8
	v_mul_lo_u32 v2, v1, s9
	;; [unrolled: 1-line block ×3, first 2 shown]
	s_cbranch_vccnz .LBB125_92
; %bb.91:
	v_mul_hi_u32 v4, s18, v3
	s_delay_alu instid0(VALU_DEP_1) | instskip(NEXT) | instid1(VALU_DEP_1)
	v_add_nc_u32_e32 v4, v3, v4
	v_lshrrev_b32_e32 v4, s19, v4
	s_delay_alu instid0(VALU_DEP_1) | instskip(NEXT) | instid1(VALU_DEP_1)
	v_mul_lo_u32 v4, v4, s15
	v_sub_nc_u32_e32 v7, v3, v4
	s_delay_alu instid0(VALU_DEP_1) | instskip(NEXT) | instid1(VALU_DEP_1)
	v_mad_u64_u32 v[3:4], null, v7, s11, v[0:1]
	v_mad_u64_u32 v[4:5], null, v7, s16, v[2:3]
	;; [unrolled: 1-line block ×3, first 2 shown]
	v_mov_b32_e32 v0, v3
	s_delay_alu instid0(VALU_DEP_2)
	v_dual_mov_b32 v2, v4 :: v_dual_mov_b32 v1, v5
.LBB125_92:
	s_waitcnt lgkmcnt(0)
	global_load_u8 v1, v1, s[2:3]
	global_load_b32 v2, v2, s[6:7]
	s_waitcnt vmcnt(1)
	v_cmp_ne_u16_e32 vcc_lo, 0, v1
	v_cndmask_b32_e64 v1, 0, 1.0, vcc_lo
	s_waitcnt vmcnt(0)
	s_delay_alu instid0(VALU_DEP_1) | instskip(NEXT) | instid1(VALU_DEP_1)
	v_mul_f32_e32 v1, v2, v1
	v_mul_f32_e32 v1, s26, v1
	global_store_b32 v0, v1, s[4:5]
	s_or_b32 exec_lo, exec_lo, s29
                                        ; implicit-def: $vgpr12
                                        ; implicit-def: $vgpr6
	s_and_not1_saveexec_b32 s2, s25
	s_cbranch_execz .LBB125_76
	s_branch .LBB125_9
	.section	.rodata,"a",@progbits
	.p2align	6, 0x0
	.amdhsa_kernel _ZN2at6native32elementwise_kernel_manual_unrollILi128ELi4EZNS0_22gpu_kernel_impl_nocastIZNS0_12_GLOBAL__N_119masked_scale_kernelIbffEEvRNS_6TensorERKS5_S8_T1_EUlfbE_EEvRNS_18TensorIteratorBaseERKT_EUlibE_EEviS9_
		.amdhsa_group_segment_fixed_size 0
		.amdhsa_private_segment_fixed_size 0
		.amdhsa_kernarg_size 432
		.amdhsa_user_sgpr_count 15
		.amdhsa_user_sgpr_dispatch_ptr 0
		.amdhsa_user_sgpr_queue_ptr 0
		.amdhsa_user_sgpr_kernarg_segment_ptr 1
		.amdhsa_user_sgpr_dispatch_id 0
		.amdhsa_user_sgpr_private_segment_size 0
		.amdhsa_wavefront_size32 1
		.amdhsa_uses_dynamic_stack 0
		.amdhsa_enable_private_segment 0
		.amdhsa_system_sgpr_workgroup_id_x 1
		.amdhsa_system_sgpr_workgroup_id_y 0
		.amdhsa_system_sgpr_workgroup_id_z 0
		.amdhsa_system_sgpr_workgroup_info 0
		.amdhsa_system_vgpr_workitem_id 0
		.amdhsa_next_free_vgpr 20
		.amdhsa_next_free_sgpr 46
		.amdhsa_reserve_vcc 1
		.amdhsa_float_round_mode_32 0
		.amdhsa_float_round_mode_16_64 0
		.amdhsa_float_denorm_mode_32 3
		.amdhsa_float_denorm_mode_16_64 3
		.amdhsa_dx10_clamp 1
		.amdhsa_ieee_mode 1
		.amdhsa_fp16_overflow 0
		.amdhsa_workgroup_processor_mode 1
		.amdhsa_memory_ordered 1
		.amdhsa_forward_progress 0
		.amdhsa_shared_vgpr_count 0
		.amdhsa_exception_fp_ieee_invalid_op 0
		.amdhsa_exception_fp_denorm_src 0
		.amdhsa_exception_fp_ieee_div_zero 0
		.amdhsa_exception_fp_ieee_overflow 0
		.amdhsa_exception_fp_ieee_underflow 0
		.amdhsa_exception_fp_ieee_inexact 0
		.amdhsa_exception_int_div_zero 0
	.end_amdhsa_kernel
	.section	.text._ZN2at6native32elementwise_kernel_manual_unrollILi128ELi4EZNS0_22gpu_kernel_impl_nocastIZNS0_12_GLOBAL__N_119masked_scale_kernelIbffEEvRNS_6TensorERKS5_S8_T1_EUlfbE_EEvRNS_18TensorIteratorBaseERKT_EUlibE_EEviS9_,"axG",@progbits,_ZN2at6native32elementwise_kernel_manual_unrollILi128ELi4EZNS0_22gpu_kernel_impl_nocastIZNS0_12_GLOBAL__N_119masked_scale_kernelIbffEEvRNS_6TensorERKS5_S8_T1_EUlfbE_EEvRNS_18TensorIteratorBaseERKT_EUlibE_EEviS9_,comdat
.Lfunc_end125:
	.size	_ZN2at6native32elementwise_kernel_manual_unrollILi128ELi4EZNS0_22gpu_kernel_impl_nocastIZNS0_12_GLOBAL__N_119masked_scale_kernelIbffEEvRNS_6TensorERKS5_S8_T1_EUlfbE_EEvRNS_18TensorIteratorBaseERKT_EUlibE_EEviS9_, .Lfunc_end125-_ZN2at6native32elementwise_kernel_manual_unrollILi128ELi4EZNS0_22gpu_kernel_impl_nocastIZNS0_12_GLOBAL__N_119masked_scale_kernelIbffEEvRNS_6TensorERKS5_S8_T1_EUlfbE_EEvRNS_18TensorIteratorBaseERKT_EUlibE_EEviS9_
                                        ; -- End function
	.section	.AMDGPU.csdata,"",@progbits
; Kernel info:
; codeLenInByte = 6028
; NumSgprs: 48
; NumVgprs: 20
; ScratchSize: 0
; MemoryBound: 0
; FloatMode: 240
; IeeeMode: 1
; LDSByteSize: 0 bytes/workgroup (compile time only)
; SGPRBlocks: 5
; VGPRBlocks: 2
; NumSGPRsForWavesPerEU: 48
; NumVGPRsForWavesPerEU: 20
; Occupancy: 16
; WaveLimiterHint : 1
; COMPUTE_PGM_RSRC2:SCRATCH_EN: 0
; COMPUTE_PGM_RSRC2:USER_SGPR: 15
; COMPUTE_PGM_RSRC2:TRAP_HANDLER: 0
; COMPUTE_PGM_RSRC2:TGID_X_EN: 1
; COMPUTE_PGM_RSRC2:TGID_Y_EN: 0
; COMPUTE_PGM_RSRC2:TGID_Z_EN: 0
; COMPUTE_PGM_RSRC2:TIDIG_COMP_CNT: 0
	.section	.text._ZN2at6native32elementwise_kernel_manual_unrollILi128ELi4EZNS0_15gpu_kernel_implIZNS0_12_GLOBAL__N_119masked_scale_kernelIbffEEvRNS_6TensorERKS5_S8_T1_EUlfbE_EEvRNS_18TensorIteratorBaseERKT_EUlibE_EEviS9_,"axG",@progbits,_ZN2at6native32elementwise_kernel_manual_unrollILi128ELi4EZNS0_15gpu_kernel_implIZNS0_12_GLOBAL__N_119masked_scale_kernelIbffEEvRNS_6TensorERKS5_S8_T1_EUlfbE_EEvRNS_18TensorIteratorBaseERKT_EUlibE_EEviS9_,comdat
	.globl	_ZN2at6native32elementwise_kernel_manual_unrollILi128ELi4EZNS0_15gpu_kernel_implIZNS0_12_GLOBAL__N_119masked_scale_kernelIbffEEvRNS_6TensorERKS5_S8_T1_EUlfbE_EEvRNS_18TensorIteratorBaseERKT_EUlibE_EEviS9_ ; -- Begin function _ZN2at6native32elementwise_kernel_manual_unrollILi128ELi4EZNS0_15gpu_kernel_implIZNS0_12_GLOBAL__N_119masked_scale_kernelIbffEEvRNS_6TensorERKS5_S8_T1_EUlfbE_EEvRNS_18TensorIteratorBaseERKT_EUlibE_EEviS9_
	.p2align	8
	.type	_ZN2at6native32elementwise_kernel_manual_unrollILi128ELi4EZNS0_15gpu_kernel_implIZNS0_12_GLOBAL__N_119masked_scale_kernelIbffEEvRNS_6TensorERKS5_S8_T1_EUlfbE_EEvRNS_18TensorIteratorBaseERKT_EUlibE_EEviS9_,@function
_ZN2at6native32elementwise_kernel_manual_unrollILi128ELi4EZNS0_15gpu_kernel_implIZNS0_12_GLOBAL__N_119masked_scale_kernelIbffEEvRNS_6TensorERKS5_S8_T1_EUlfbE_EEvRNS_18TensorIteratorBaseERKT_EUlibE_EEviS9_: ; @_ZN2at6native32elementwise_kernel_manual_unrollILi128ELi4EZNS0_15gpu_kernel_implIZNS0_12_GLOBAL__N_119masked_scale_kernelIbffEEvRNS_6TensorERKS5_S8_T1_EUlfbE_EEvRNS_18TensorIteratorBaseERKT_EUlibE_EEviS9_
; %bb.0:
	s_clause 0x4
	s_load_b32 s12, s[0:1], 0x30
	s_load_b32 s17, s[0:1], 0x0
	s_load_b128 s[4:7], s[0:1], 0x8
	s_load_b64 s[2:3], s[0:1], 0x18
	s_load_b128 s[8:11], s[0:1], 0x20
	v_lshl_or_b32 v4, s15, 9, v0
	s_mov_b32 s13, 0
	s_mov_b32 s16, 0
	s_mov_b32 s0, exec_lo
	s_delay_alu instid0(VALU_DEP_1) | instskip(SKIP_3) | instid1(VALU_DEP_1)
	v_or_b32_e32 v0, 0x180, v4
	s_waitcnt lgkmcnt(0)
	s_lshr_b32 s14, s12, 8
	s_lshr_b32 s1, s12, 16
	v_cmpx_le_i32_e64 s17, v0
	s_xor_b32 s15, exec_lo, s0
	s_cbranch_execz .LBB126_1544
; %bb.1:
	s_mov_b32 s23, -1
	s_mov_b32 s21, 0
	s_mov_b32 s19, 0
	;; [unrolled: 1-line block ×3, first 2 shown]
	s_mov_b32 s20, exec_lo
	v_cmpx_gt_i32_e64 s17, v4
	s_cbranch_execz .LBB126_380
; %bb.2:
	v_mul_lo_u32 v0, v4, s9
	v_and_b32_e64 v3, 0xff, s14
	s_delay_alu instid0(VALU_DEP_1) | instskip(NEXT) | instid1(VALU_DEP_3)
	v_cmp_gt_i16_e32 vcc_lo, 11, v3
	v_ashrrev_i32_e32 v1, 31, v0
	v_add_co_u32 v0, s0, s6, v0
	s_delay_alu instid0(VALU_DEP_1)
	v_add_co_ci_u32_e64 v1, s0, s7, v1, s0
	s_cbranch_vccnz .LBB126_9
; %bb.3:
	v_cmp_lt_i16_e32 vcc_lo, 25, v3
	s_cbranch_vccz .LBB126_18
; %bb.4:
	v_cmp_lt_i16_e32 vcc_lo, 28, v3
	s_cbranch_vccz .LBB126_28
	;; [unrolled: 3-line block ×4, first 2 shown]
; %bb.7:
	v_cmp_eq_u16_e32 vcc_lo, 46, v3
	s_cbranch_vccz .LBB126_37
; %bb.8:
	global_load_b32 v2, v[0:1], off
	s_mov_b32 s0, -1
	s_waitcnt vmcnt(0)
	v_lshlrev_b32_e32 v2, 16, v2
	s_branch .LBB126_39
.LBB126_9:
	s_mov_b32 s0, 0
                                        ; implicit-def: $vgpr2
	s_cbranch_execnz .LBB126_105
.LBB126_10:
	s_and_not1_b32 vcc_lo, exec_lo, s0
	s_cbranch_vccnz .LBB126_152
.LBB126_11:
	v_mul_lo_u32 v0, v4, s10
	v_and_b32_e64 v3, 0xff, s1
	s_delay_alu instid0(VALU_DEP_1) | instskip(NEXT) | instid1(VALU_DEP_3)
	v_cmp_gt_i16_e32 vcc_lo, 11, v3
	v_ashrrev_i32_e32 v1, 31, v0
	v_add_co_u32 v0, s0, s2, v0
	s_delay_alu instid0(VALU_DEP_1)
	v_add_co_ci_u32_e64 v1, s0, s3, v1, s0
	s_cbranch_vccnz .LBB126_19
; %bb.12:
	v_cmp_lt_i16_e32 vcc_lo, 25, v3
	s_cbranch_vccz .LBB126_29
; %bb.13:
	v_cmp_lt_i16_e32 vcc_lo, 28, v3
	s_cbranch_vccz .LBB126_32
	;; [unrolled: 3-line block ×4, first 2 shown]
; %bb.16:
	v_cmp_eq_u16_e32 vcc_lo, 46, v3
	s_mov_b32 s22, 0
	s_cbranch_vccz .LBB126_153
; %bb.17:
	global_load_b32 v5, v[0:1], off
	s_mov_b32 s18, 0
	s_mov_b32 s0, -1
	s_waitcnt vmcnt(0)
	v_and_b32_e32 v5, 0x7fff7fff, v5
	s_delay_alu instid0(VALU_DEP_1)
	v_cmp_ne_u32_e32 vcc_lo, 0, v5
	s_and_b32 s16, vcc_lo, exec_lo
	s_branch .LBB126_155
.LBB126_18:
	s_mov_b32 s0, 0
                                        ; implicit-def: $vgpr2
	s_cbranch_execnz .LBB126_70
	s_branch .LBB126_104
.LBB126_19:
	s_mov_b32 s18, 0
	s_mov_b32 s0, 0
                                        ; implicit-def: $sgpr16
	s_cbranch_execnz .LBB126_218
.LBB126_20:
	s_and_not1_b32 vcc_lo, exec_lo, s0
	s_cbranch_vccnz .LBB126_266
.LBB126_21:
	v_mul_lo_u32 v1, v4, s8
	v_cndmask_b32_e64 v0, 0, 1.0, s16
	v_and_b32_e64 v5, 0xff, s12
	s_waitcnt vmcnt(0)
	s_delay_alu instid0(VALU_DEP_2) | instskip(NEXT) | instid1(VALU_DEP_2)
	v_mul_f32_e32 v0, v2, v0
	v_cmp_gt_i16_e32 vcc_lo, 11, v5
	v_ashrrev_i32_e32 v3, 31, v1
	s_delay_alu instid0(VALU_DEP_3) | instskip(SKIP_1) | instid1(VALU_DEP_1)
	v_mul_f32_e32 v2, s11, v0
	v_add_co_u32 v0, s0, s4, v1
	v_add_co_ci_u32_e64 v1, s0, s5, v3, s0
	s_cbranch_vccnz .LBB126_30
; %bb.22:
	v_cmp_lt_i16_e32 vcc_lo, 25, v5
	s_cbranch_vccz .LBB126_33
; %bb.23:
	v_cmp_lt_i16_e32 vcc_lo, 28, v5
	s_cbranch_vccz .LBB126_36
	;; [unrolled: 3-line block ×4, first 2 shown]
; %bb.26:
	v_cmp_eq_u16_e32 vcc_lo, 46, v5
	s_mov_b32 s18, 0
	s_mov_b32 s0, -1
	s_mov_b32 s16, 0
	s_cbranch_vccz .LBB126_268
; %bb.27:
	v_bfe_u32 v3, v2, 16, 1
	v_cmp_o_f32_e32 vcc_lo, v2, v2
	s_mov_b32 s16, -1
	s_mov_b32 s0, 0
	s_delay_alu instid0(VALU_DEP_2) | instskip(NEXT) | instid1(VALU_DEP_1)
	v_add3_u32 v3, v2, v3, 0x7fff
	v_lshrrev_b32_e32 v3, 16, v3
	s_delay_alu instid0(VALU_DEP_1)
	v_cndmask_b32_e32 v3, 0x7fc0, v3, vcc_lo
	global_store_b32 v[0:1], v3, off
	s_branch .LBB126_268
.LBB126_28:
	s_mov_b32 s16, -1
	s_mov_b32 s0, 0
                                        ; implicit-def: $vgpr2
	s_branch .LBB126_51
.LBB126_29:
	s_mov_b32 s22, -1
	s_mov_b32 s18, 0
	s_mov_b32 s0, 0
                                        ; implicit-def: $sgpr16
	s_branch .LBB126_182
.LBB126_30:
	s_mov_b32 s18, -1
	s_mov_b32 s0, 0
	s_mov_b32 s16, 0
	s_branch .LBB126_337
.LBB126_31:
	s_mov_b32 s16, -1
	s_mov_b32 s0, 0
                                        ; implicit-def: $vgpr2
	s_branch .LBB126_46
.LBB126_32:
	s_mov_b32 s22, -1
	s_mov_b32 s18, 0
	s_mov_b32 s0, 0
                                        ; implicit-def: $sgpr16
	s_branch .LBB126_163
.LBB126_33:
	s_mov_b32 s18, -1
	s_mov_b32 s0, 0
	s_mov_b32 s16, 0
	s_branch .LBB126_295
.LBB126_34:
	s_mov_b32 s16, -1
	s_branch .LBB126_38
.LBB126_35:
	s_mov_b32 s22, -1
	s_mov_b32 s18, 0
	s_mov_b32 s0, 0
                                        ; implicit-def: $sgpr16
	s_branch .LBB126_158
.LBB126_36:
	s_mov_b32 s18, -1
	s_mov_b32 s0, 0
	s_mov_b32 s16, 0
	s_branch .LBB126_278
.LBB126_37:
	s_mov_b32 s19, -1
.LBB126_38:
	s_mov_b32 s0, 0
                                        ; implicit-def: $vgpr2
.LBB126_39:
	s_and_b32 vcc_lo, exec_lo, s16
	s_cbranch_vccz .LBB126_45
; %bb.40:
	v_cmp_eq_u16_e32 vcc_lo, 44, v3
	s_cbranch_vccz .LBB126_44
; %bb.41:
	global_load_u8 v2, v[0:1], off
	s_mov_b32 s19, 0
	s_mov_b32 s0, -1
	s_waitcnt vmcnt(0)
	v_lshlrev_b32_e32 v5, 23, v2
	v_cmp_ne_u32_e32 vcc_lo, 0xff, v2
	s_delay_alu instid0(VALU_DEP_2) | instskip(SKIP_1) | instid1(VALU_DEP_2)
	v_cndmask_b32_e32 v5, 0x7f800001, v5, vcc_lo
	v_cmp_ne_u32_e32 vcc_lo, 0, v2
	v_cndmask_b32_e32 v2, 0x400000, v5, vcc_lo
	s_branch .LBB126_45
.LBB126_42:
	s_mov_b32 s22, -1
	s_mov_b32 s18, 0
	s_branch .LBB126_154
.LBB126_43:
	s_mov_b32 s18, -1
	s_mov_b32 s0, 0
	s_mov_b32 s16, 0
	s_branch .LBB126_274
.LBB126_44:
	s_mov_b32 s19, -1
                                        ; implicit-def: $vgpr2
.LBB126_45:
	s_mov_b32 s16, 0
.LBB126_46:
	s_delay_alu instid0(SALU_CYCLE_1)
	s_and_b32 vcc_lo, exec_lo, s16
	s_cbranch_vccz .LBB126_50
; %bb.47:
	v_cmp_eq_u16_e32 vcc_lo, 29, v3
	s_cbranch_vccz .LBB126_49
; %bb.48:
	global_load_b64 v[5:6], v[0:1], off
	s_mov_b32 s0, -1
	s_mov_b32 s19, 0
	s_mov_b32 s16, 0
	s_waitcnt vmcnt(0)
	v_clz_i32_u32_e32 v2, v6
	s_delay_alu instid0(VALU_DEP_1) | instskip(NEXT) | instid1(VALU_DEP_1)
	v_min_u32_e32 v2, 32, v2
	v_lshlrev_b64 v[5:6], v2, v[5:6]
	v_sub_nc_u32_e32 v2, 32, v2
	s_delay_alu instid0(VALU_DEP_2) | instskip(NEXT) | instid1(VALU_DEP_1)
	v_min_u32_e32 v5, 1, v5
	v_or_b32_e32 v5, v6, v5
	s_delay_alu instid0(VALU_DEP_1) | instskip(NEXT) | instid1(VALU_DEP_1)
	v_cvt_f32_u32_e32 v5, v5
	v_ldexp_f32 v2, v5, v2
	s_branch .LBB126_51
.LBB126_49:
	s_mov_b32 s19, -1
                                        ; implicit-def: $vgpr2
.LBB126_50:
	s_mov_b32 s16, 0
.LBB126_51:
	s_delay_alu instid0(SALU_CYCLE_1)
	s_and_b32 vcc_lo, exec_lo, s16
	s_cbranch_vccz .LBB126_69
; %bb.52:
	v_cmp_gt_i16_e32 vcc_lo, 27, v3
	s_cbranch_vccnz .LBB126_55
; %bb.53:
	v_cmp_lt_i16_e32 vcc_lo, 27, v3
	s_cbranch_vccz .LBB126_56
; %bb.54:
	global_load_b32 v2, v[0:1], off
	s_mov_b32 s0, 0
	s_waitcnt vmcnt(0)
	v_cvt_f32_u32_e32 v2, v2
	s_branch .LBB126_57
.LBB126_55:
	s_mov_b32 s0, -1
                                        ; implicit-def: $vgpr2
	s_branch .LBB126_60
.LBB126_56:
	s_mov_b32 s0, -1
                                        ; implicit-def: $vgpr2
.LBB126_57:
	s_delay_alu instid0(SALU_CYCLE_1)
	s_and_not1_b32 vcc_lo, exec_lo, s0
	s_cbranch_vccnz .LBB126_59
; %bb.58:
	global_load_u16 v2, v[0:1], off
	s_waitcnt vmcnt(0)
	v_cvt_f32_u32_e32 v2, v2
.LBB126_59:
	s_mov_b32 s0, 0
.LBB126_60:
	s_delay_alu instid0(SALU_CYCLE_1)
	s_and_not1_b32 vcc_lo, exec_lo, s0
	s_cbranch_vccnz .LBB126_68
; %bb.61:
	global_load_u8 v5, v[0:1], off
	s_mov_b32 s0, 0
	s_mov_b32 s18, exec_lo
                                        ; implicit-def: $sgpr16
	s_waitcnt vmcnt(0)
	v_cmpx_lt_i16_e32 0x7f, v5
	s_xor_b32 s18, exec_lo, s18
	s_cbranch_execz .LBB126_81
; %bb.62:
	s_mov_b32 s0, -1
	s_mov_b32 s22, exec_lo
                                        ; implicit-def: $sgpr16
	v_cmpx_eq_u16_e32 0x80, v5
; %bb.63:
	s_mov_b32 s16, 0x7f800001
	s_xor_b32 s0, exec_lo, -1
; %bb.64:
	s_or_b32 exec_lo, exec_lo, s22
	s_delay_alu instid0(SALU_CYCLE_1)
	s_and_b32 s0, s0, exec_lo
	s_or_saveexec_b32 s18, s18
	v_mov_b32_e32 v2, s16
	s_xor_b32 exec_lo, exec_lo, s18
	s_cbranch_execnz .LBB126_82
.LBB126_65:
	s_or_b32 exec_lo, exec_lo, s18
	s_and_saveexec_b32 s16, s0
	s_cbranch_execz .LBB126_67
.LBB126_66:
	v_and_b32_e32 v2, 0xffff, v5
	s_delay_alu instid0(VALU_DEP_1) | instskip(NEXT) | instid1(VALU_DEP_1)
	v_and_b32_e32 v6, 7, v2
	v_clz_i32_u32_e32 v7, v6
	s_delay_alu instid0(VALU_DEP_1) | instskip(NEXT) | instid1(VALU_DEP_1)
	v_min_u32_e32 v7, 32, v7
	v_subrev_nc_u32_e32 v8, 28, v7
	v_sub_nc_u32_e32 v7, 29, v7
	s_delay_alu instid0(VALU_DEP_2) | instskip(SKIP_1) | instid1(VALU_DEP_2)
	v_lshlrev_b32_e32 v8, v8, v2
	v_bfe_u32 v2, v2, 3, 4
	v_and_b32_e32 v8, 7, v8
	s_delay_alu instid0(VALU_DEP_2) | instskip(SKIP_1) | instid1(VALU_DEP_1)
	v_cmp_eq_u32_e32 vcc_lo, 0, v2
	v_dual_cndmask_b32 v2, v2, v7 :: v_dual_lshlrev_b32 v5, 24, v5
	v_dual_cndmask_b32 v6, v6, v8 :: v_dual_and_b32 v5, 0x80000000, v5
	s_delay_alu instid0(VALU_DEP_2) | instskip(NEXT) | instid1(VALU_DEP_2)
	v_lshl_add_u32 v2, v2, 23, 0x3b800000
	v_lshlrev_b32_e32 v6, 20, v6
	s_delay_alu instid0(VALU_DEP_1)
	v_or3_b32 v2, v5, v2, v6
.LBB126_67:
	s_or_b32 exec_lo, exec_lo, s16
.LBB126_68:
	s_mov_b32 s0, -1
.LBB126_69:
	s_branch .LBB126_104
.LBB126_70:
	v_cmp_lt_i16_e32 vcc_lo, 22, v3
	s_cbranch_vccz .LBB126_80
; %bb.71:
	v_cmp_gt_i16_e32 vcc_lo, 24, v3
	s_cbranch_vccnz .LBB126_83
; %bb.72:
	v_cmp_lt_i16_e32 vcc_lo, 24, v3
	s_cbranch_vccz .LBB126_84
; %bb.73:
	global_load_u8 v5, v[0:1], off
	s_mov_b32 s0, 0
	s_mov_b32 s18, exec_lo
                                        ; implicit-def: $sgpr16
	s_waitcnt vmcnt(0)
	v_cmpx_lt_i16_e32 0x7f, v5
	s_xor_b32 s18, exec_lo, s18
	s_cbranch_execz .LBB126_96
; %bb.74:
	s_mov_b32 s0, -1
	s_mov_b32 s22, exec_lo
                                        ; implicit-def: $sgpr16
	v_cmpx_eq_u16_e32 0x80, v5
; %bb.75:
	s_mov_b32 s16, 0x7f800001
	s_xor_b32 s0, exec_lo, -1
; %bb.76:
	s_or_b32 exec_lo, exec_lo, s22
	s_delay_alu instid0(SALU_CYCLE_1)
	s_and_b32 s0, s0, exec_lo
	s_or_saveexec_b32 s18, s18
	v_mov_b32_e32 v2, s16
	s_xor_b32 exec_lo, exec_lo, s18
	s_cbranch_execnz .LBB126_97
.LBB126_77:
	s_or_b32 exec_lo, exec_lo, s18
	s_and_saveexec_b32 s16, s0
	s_cbranch_execz .LBB126_79
.LBB126_78:
	v_and_b32_e32 v2, 0xffff, v5
	s_delay_alu instid0(VALU_DEP_1) | instskip(NEXT) | instid1(VALU_DEP_1)
	v_and_b32_e32 v6, 3, v2
	v_clz_i32_u32_e32 v7, v6
	s_delay_alu instid0(VALU_DEP_1) | instskip(NEXT) | instid1(VALU_DEP_1)
	v_min_u32_e32 v7, 32, v7
	v_subrev_nc_u32_e32 v8, 29, v7
	v_sub_nc_u32_e32 v7, 30, v7
	s_delay_alu instid0(VALU_DEP_2) | instskip(SKIP_1) | instid1(VALU_DEP_2)
	v_lshlrev_b32_e32 v8, v8, v2
	v_bfe_u32 v2, v2, 2, 5
	v_and_b32_e32 v8, 3, v8
	s_delay_alu instid0(VALU_DEP_2) | instskip(SKIP_1) | instid1(VALU_DEP_1)
	v_cmp_eq_u32_e32 vcc_lo, 0, v2
	v_dual_cndmask_b32 v2, v2, v7 :: v_dual_lshlrev_b32 v5, 24, v5
	v_dual_cndmask_b32 v6, v6, v8 :: v_dual_and_b32 v5, 0x80000000, v5
	s_delay_alu instid0(VALU_DEP_2) | instskip(NEXT) | instid1(VALU_DEP_2)
	v_lshl_add_u32 v2, v2, 23, 0x37800000
	v_lshlrev_b32_e32 v6, 21, v6
	s_delay_alu instid0(VALU_DEP_1)
	v_or3_b32 v2, v5, v2, v6
.LBB126_79:
	s_or_b32 exec_lo, exec_lo, s16
	s_mov_b32 s0, 0
	s_branch .LBB126_85
.LBB126_80:
	s_mov_b32 s16, -1
                                        ; implicit-def: $vgpr2
	s_branch .LBB126_91
.LBB126_81:
	s_or_saveexec_b32 s18, s18
	v_mov_b32_e32 v2, s16
	s_xor_b32 exec_lo, exec_lo, s18
	s_cbranch_execz .LBB126_65
.LBB126_82:
	v_cmp_ne_u16_e32 vcc_lo, 0, v5
	v_mov_b32_e32 v2, 0
	s_and_not1_b32 s0, s0, exec_lo
	s_and_b32 s16, vcc_lo, exec_lo
	s_delay_alu instid0(SALU_CYCLE_1)
	s_or_b32 s0, s0, s16
	s_or_b32 exec_lo, exec_lo, s18
	s_and_saveexec_b32 s16, s0
	s_cbranch_execnz .LBB126_66
	s_branch .LBB126_67
.LBB126_83:
	s_mov_b32 s0, -1
                                        ; implicit-def: $vgpr2
	s_branch .LBB126_88
.LBB126_84:
	s_mov_b32 s0, -1
                                        ; implicit-def: $vgpr2
.LBB126_85:
	s_delay_alu instid0(SALU_CYCLE_1)
	s_and_b32 vcc_lo, exec_lo, s0
	s_cbranch_vccz .LBB126_87
; %bb.86:
	global_load_u8 v2, v[0:1], off
	s_waitcnt vmcnt(0)
	v_lshlrev_b32_e32 v2, 24, v2
	s_delay_alu instid0(VALU_DEP_1) | instskip(NEXT) | instid1(VALU_DEP_1)
	v_and_b32_e32 v5, 0x7f000000, v2
	v_clz_i32_u32_e32 v6, v5
	v_cmp_ne_u32_e32 vcc_lo, 0, v5
	v_add_nc_u32_e32 v8, 0x1000000, v5
	s_delay_alu instid0(VALU_DEP_3) | instskip(NEXT) | instid1(VALU_DEP_1)
	v_min_u32_e32 v6, 32, v6
	v_sub_nc_u32_e64 v6, v6, 4 clamp
	s_delay_alu instid0(VALU_DEP_1) | instskip(SKIP_1) | instid1(VALU_DEP_2)
	v_lshlrev_b32_e32 v7, v6, v5
	v_lshlrev_b32_e32 v6, 23, v6
	v_lshrrev_b32_e32 v7, 4, v7
	s_delay_alu instid0(VALU_DEP_1) | instskip(SKIP_1) | instid1(VALU_DEP_2)
	v_sub_nc_u32_e32 v6, v7, v6
	v_ashrrev_i32_e32 v7, 8, v8
	v_add_nc_u32_e32 v6, 0x3c000000, v6
	s_delay_alu instid0(VALU_DEP_1) | instskip(NEXT) | instid1(VALU_DEP_1)
	v_and_or_b32 v6, 0x7f800000, v7, v6
	v_cndmask_b32_e32 v5, 0, v6, vcc_lo
	s_delay_alu instid0(VALU_DEP_1)
	v_and_or_b32 v2, 0x80000000, v2, v5
.LBB126_87:
	s_mov_b32 s0, 0
.LBB126_88:
	s_delay_alu instid0(SALU_CYCLE_1)
	s_and_not1_b32 vcc_lo, exec_lo, s0
	s_cbranch_vccnz .LBB126_90
; %bb.89:
	global_load_u8 v2, v[0:1], off
	s_waitcnt vmcnt(0)
	v_lshlrev_b32_e32 v5, 25, v2
	v_lshlrev_b16 v2, 8, v2
	s_delay_alu instid0(VALU_DEP_2) | instskip(NEXT) | instid1(VALU_DEP_2)
	v_lshrrev_b32_e32 v6, 4, v5
	v_and_or_b32 v7, 0x7f00, v2, 0.5
	v_cmp_gt_u32_e32 vcc_lo, 0x8000000, v5
	v_bfe_i32 v2, v2, 0, 16
	s_delay_alu instid0(VALU_DEP_4) | instskip(NEXT) | instid1(VALU_DEP_1)
	v_or_b32_e32 v6, 0x70000000, v6
	v_dual_add_f32 v7, -0.5, v7 :: v_dual_mul_f32 v6, 0x7800000, v6
	s_delay_alu instid0(VALU_DEP_1) | instskip(NEXT) | instid1(VALU_DEP_1)
	v_cndmask_b32_e32 v5, v6, v7, vcc_lo
	v_and_or_b32 v2, 0x80000000, v2, v5
.LBB126_90:
	s_mov_b32 s16, 0
	s_mov_b32 s0, -1
.LBB126_91:
	s_and_not1_b32 vcc_lo, exec_lo, s16
	s_cbranch_vccnz .LBB126_104
; %bb.92:
	v_cmp_lt_i16_e32 vcc_lo, 14, v3
	s_cbranch_vccz .LBB126_95
; %bb.93:
	v_cmp_eq_u16_e32 vcc_lo, 15, v3
	s_cbranch_vccz .LBB126_98
; %bb.94:
	global_load_u16 v2, v[0:1], off
	s_mov_b32 s0, -1
	s_mov_b32 s19, 0
	s_waitcnt vmcnt(0)
	v_lshlrev_b32_e32 v2, 16, v2
	s_branch .LBB126_99
.LBB126_95:
	s_mov_b32 s16, -1
                                        ; implicit-def: $vgpr2
	s_branch .LBB126_100
.LBB126_96:
	s_or_saveexec_b32 s18, s18
	v_mov_b32_e32 v2, s16
	s_xor_b32 exec_lo, exec_lo, s18
	s_cbranch_execz .LBB126_77
.LBB126_97:
	v_cmp_ne_u16_e32 vcc_lo, 0, v5
	v_mov_b32_e32 v2, 0
	s_and_not1_b32 s0, s0, exec_lo
	s_and_b32 s16, vcc_lo, exec_lo
	s_delay_alu instid0(SALU_CYCLE_1)
	s_or_b32 s0, s0, s16
	s_or_b32 exec_lo, exec_lo, s18
	s_and_saveexec_b32 s16, s0
	s_cbranch_execnz .LBB126_78
	s_branch .LBB126_79
.LBB126_98:
	s_mov_b32 s19, -1
                                        ; implicit-def: $vgpr2
.LBB126_99:
	s_mov_b32 s16, 0
.LBB126_100:
	s_delay_alu instid0(SALU_CYCLE_1)
	s_and_b32 vcc_lo, exec_lo, s16
	s_cbranch_vccz .LBB126_104
; %bb.101:
	v_cmp_eq_u16_e32 vcc_lo, 11, v3
	s_cbranch_vccz .LBB126_103
; %bb.102:
	global_load_u8 v2, v[0:1], off
	s_mov_b32 s19, 0
	s_mov_b32 s0, -1
	s_waitcnt vmcnt(0)
	v_cmp_ne_u16_e32 vcc_lo, 0, v2
	v_cndmask_b32_e64 v2, 0, 1.0, vcc_lo
	s_branch .LBB126_104
.LBB126_103:
	s_mov_b32 s19, -1
                                        ; implicit-def: $vgpr2
.LBB126_104:
	s_branch .LBB126_10
.LBB126_105:
	v_cmp_gt_i16_e32 vcc_lo, 5, v3
	s_cbranch_vccnz .LBB126_110
; %bb.106:
	v_cmp_gt_i16_e32 vcc_lo, 8, v3
	s_cbranch_vccnz .LBB126_111
; %bb.107:
	;; [unrolled: 3-line block ×3, first 2 shown]
	v_cmp_lt_i16_e32 vcc_lo, 9, v3
	s_cbranch_vccz .LBB126_113
; %bb.109:
	global_load_b64 v[5:6], v[0:1], off
	s_mov_b32 s0, 0
	s_waitcnt vmcnt(0)
	v_cvt_f32_f64_e32 v2, v[5:6]
	s_branch .LBB126_114
.LBB126_110:
                                        ; implicit-def: $vgpr2
	s_branch .LBB126_132
.LBB126_111:
	s_mov_b32 s0, -1
                                        ; implicit-def: $vgpr2
	s_branch .LBB126_120
.LBB126_112:
	s_mov_b32 s0, -1
                                        ; implicit-def: $vgpr2
	s_branch .LBB126_117
.LBB126_113:
	s_mov_b32 s0, -1
                                        ; implicit-def: $vgpr2
.LBB126_114:
	s_delay_alu instid0(SALU_CYCLE_1)
	s_and_not1_b32 vcc_lo, exec_lo, s0
	s_cbranch_vccnz .LBB126_116
; %bb.115:
	global_load_b32 v2, v[0:1], off
.LBB126_116:
	s_mov_b32 s0, 0
.LBB126_117:
	s_delay_alu instid0(SALU_CYCLE_1)
	s_and_not1_b32 vcc_lo, exec_lo, s0
	s_cbranch_vccnz .LBB126_119
; %bb.118:
	global_load_b32 v2, v[0:1], off
	s_waitcnt vmcnt(0)
	v_cvt_f32_f16_e32 v2, v2
.LBB126_119:
	s_mov_b32 s0, 0
.LBB126_120:
	s_delay_alu instid0(SALU_CYCLE_1)
	s_and_not1_b32 vcc_lo, exec_lo, s0
	s_cbranch_vccnz .LBB126_131
; %bb.121:
	v_cmp_gt_i16_e32 vcc_lo, 6, v3
	s_cbranch_vccnz .LBB126_124
; %bb.122:
	v_cmp_lt_i16_e32 vcc_lo, 6, v3
	s_cbranch_vccz .LBB126_125
; %bb.123:
	global_load_b64 v[5:6], v[0:1], off
	s_mov_b32 s0, 0
	s_waitcnt vmcnt(0)
	v_cvt_f32_f64_e32 v2, v[5:6]
	s_branch .LBB126_126
.LBB126_124:
	s_mov_b32 s0, -1
                                        ; implicit-def: $vgpr2
	s_branch .LBB126_129
.LBB126_125:
	s_mov_b32 s0, -1
                                        ; implicit-def: $vgpr2
.LBB126_126:
	s_delay_alu instid0(SALU_CYCLE_1)
	s_and_not1_b32 vcc_lo, exec_lo, s0
	s_cbranch_vccnz .LBB126_128
; %bb.127:
	global_load_b32 v2, v[0:1], off
.LBB126_128:
	s_mov_b32 s0, 0
.LBB126_129:
	s_delay_alu instid0(SALU_CYCLE_1)
	s_and_not1_b32 vcc_lo, exec_lo, s0
	s_cbranch_vccnz .LBB126_131
; %bb.130:
	global_load_u16 v2, v[0:1], off
	s_waitcnt vmcnt(0)
	v_cvt_f32_f16_e32 v2, v2
.LBB126_131:
	s_cbranch_execnz .LBB126_151
.LBB126_132:
	v_cmp_gt_i16_e32 vcc_lo, 2, v3
	s_cbranch_vccnz .LBB126_136
; %bb.133:
	v_cmp_gt_i16_e32 vcc_lo, 3, v3
	s_cbranch_vccnz .LBB126_137
; %bb.134:
	v_cmp_lt_i16_e32 vcc_lo, 3, v3
	s_cbranch_vccz .LBB126_138
; %bb.135:
	global_load_b64 v[5:6], v[0:1], off
	s_mov_b32 s0, 0
	s_waitcnt vmcnt(0)
	v_xor_b32_e32 v2, v5, v6
	v_cls_i32_e32 v7, v6
	s_delay_alu instid0(VALU_DEP_2) | instskip(NEXT) | instid1(VALU_DEP_2)
	v_ashrrev_i32_e32 v2, 31, v2
	v_add_nc_u32_e32 v7, -1, v7
	s_delay_alu instid0(VALU_DEP_2) | instskip(NEXT) | instid1(VALU_DEP_1)
	v_add_nc_u32_e32 v2, 32, v2
	v_min_u32_e32 v2, v7, v2
	s_delay_alu instid0(VALU_DEP_1) | instskip(SKIP_1) | instid1(VALU_DEP_2)
	v_lshlrev_b64 v[5:6], v2, v[5:6]
	v_sub_nc_u32_e32 v2, 32, v2
	v_min_u32_e32 v5, 1, v5
	s_delay_alu instid0(VALU_DEP_1) | instskip(NEXT) | instid1(VALU_DEP_1)
	v_or_b32_e32 v5, v6, v5
	v_cvt_f32_i32_e32 v5, v5
	s_delay_alu instid0(VALU_DEP_1)
	v_ldexp_f32 v2, v5, v2
	s_branch .LBB126_139
.LBB126_136:
	s_mov_b32 s0, -1
                                        ; implicit-def: $vgpr2
	s_branch .LBB126_145
.LBB126_137:
	s_mov_b32 s0, -1
                                        ; implicit-def: $vgpr2
	s_branch .LBB126_142
.LBB126_138:
	s_mov_b32 s0, -1
                                        ; implicit-def: $vgpr2
.LBB126_139:
	s_delay_alu instid0(SALU_CYCLE_1)
	s_and_not1_b32 vcc_lo, exec_lo, s0
	s_cbranch_vccnz .LBB126_141
; %bb.140:
	global_load_b32 v2, v[0:1], off
	s_waitcnt vmcnt(0)
	v_cvt_f32_i32_e32 v2, v2
.LBB126_141:
	s_mov_b32 s0, 0
.LBB126_142:
	s_delay_alu instid0(SALU_CYCLE_1)
	s_and_not1_b32 vcc_lo, exec_lo, s0
	s_cbranch_vccnz .LBB126_144
; %bb.143:
	global_load_i16 v2, v[0:1], off
	s_waitcnt vmcnt(0)
	v_cvt_f32_i32_e32 v2, v2
.LBB126_144:
	s_mov_b32 s0, 0
.LBB126_145:
	s_delay_alu instid0(SALU_CYCLE_1)
	s_and_not1_b32 vcc_lo, exec_lo, s0
	s_cbranch_vccnz .LBB126_151
; %bb.146:
	v_cmp_lt_i16_e32 vcc_lo, 0, v3
	s_mov_b32 s0, 0
	s_cbranch_vccz .LBB126_148
; %bb.147:
	global_load_i8 v2, v[0:1], off
	s_waitcnt vmcnt(0)
	v_cvt_f32_i32_e32 v2, v2
	s_branch .LBB126_149
.LBB126_148:
	s_mov_b32 s0, -1
                                        ; implicit-def: $vgpr2
.LBB126_149:
	s_delay_alu instid0(SALU_CYCLE_1)
	s_and_not1_b32 vcc_lo, exec_lo, s0
	s_cbranch_vccnz .LBB126_151
; %bb.150:
	global_load_u8 v0, v[0:1], off
	s_waitcnt vmcnt(0)
	v_cvt_f32_ubyte0_e32 v2, v0
.LBB126_151:
	s_branch .LBB126_11
.LBB126_152:
	s_mov_b32 s0, 0
	s_mov_b32 s18, 0
	s_branch .LBB126_378
.LBB126_153:
	s_mov_b32 s18, -1
.LBB126_154:
	s_mov_b32 s0, 0
                                        ; implicit-def: $sgpr16
.LBB126_155:
	s_and_b32 vcc_lo, exec_lo, s22
	s_cbranch_vccz .LBB126_157
; %bb.156:
	v_cmp_eq_u16_e64 s0, 44, v3
	s_mov_b32 s18, -1
	s_or_b32 s16, s16, exec_lo
.LBB126_157:
	s_mov_b32 s22, 0
.LBB126_158:
	s_delay_alu instid0(SALU_CYCLE_1)
	s_and_b32 vcc_lo, exec_lo, s22
	s_cbranch_vccz .LBB126_162
; %bb.159:
	v_cmp_eq_u16_e32 vcc_lo, 29, v3
	s_cbranch_vccz .LBB126_161
; %bb.160:
	global_load_b64 v[5:6], v[0:1], off
	s_mov_b32 s0, -1
	s_mov_b32 s18, 0
	s_mov_b32 s22, 0
	s_waitcnt vmcnt(0)
	v_cmp_ne_u64_e32 vcc_lo, 0, v[5:6]
	s_and_b32 s16, vcc_lo, exec_lo
	s_branch .LBB126_163
.LBB126_161:
	s_mov_b32 s18, -1
                                        ; implicit-def: $sgpr16
.LBB126_162:
	s_mov_b32 s22, 0
.LBB126_163:
	s_delay_alu instid0(SALU_CYCLE_1)
	s_and_b32 vcc_lo, exec_lo, s22
	s_cbranch_vccz .LBB126_181
; %bb.164:
	v_cmp_gt_i16_e32 vcc_lo, 27, v3
	s_cbranch_vccnz .LBB126_167
; %bb.165:
	v_cmp_lt_i16_e32 vcc_lo, 27, v3
	s_cbranch_vccz .LBB126_168
; %bb.166:
	global_load_b32 v5, v[0:1], off
	s_mov_b32 s0, 0
	s_waitcnt vmcnt(0)
	v_cmp_ne_u32_e32 vcc_lo, 0, v5
	s_and_b32 s16, vcc_lo, exec_lo
	s_branch .LBB126_169
.LBB126_167:
	s_mov_b32 s0, -1
                                        ; implicit-def: $sgpr16
	s_branch .LBB126_172
.LBB126_168:
	s_mov_b32 s0, -1
                                        ; implicit-def: $sgpr16
.LBB126_169:
	s_delay_alu instid0(SALU_CYCLE_1)
	s_and_not1_b32 vcc_lo, exec_lo, s0
	s_cbranch_vccnz .LBB126_171
; %bb.170:
	global_load_u16 v5, v[0:1], off
	s_and_not1_b32 s0, s16, exec_lo
	s_waitcnt vmcnt(0)
	v_cmp_ne_u16_e32 vcc_lo, 0, v5
	s_and_b32 s16, vcc_lo, exec_lo
	s_delay_alu instid0(SALU_CYCLE_1)
	s_or_b32 s16, s0, s16
.LBB126_171:
	s_mov_b32 s0, 0
.LBB126_172:
	s_delay_alu instid0(SALU_CYCLE_1)
	s_and_not1_b32 vcc_lo, exec_lo, s0
	s_cbranch_vccnz .LBB126_180
; %bb.173:
	global_load_u8 v5, v[0:1], off
	s_mov_b32 s0, 0
	s_mov_b32 s22, exec_lo
                                        ; implicit-def: $sgpr16
	s_waitcnt vmcnt(0)
	v_cmpx_lt_i16_e32 0x7f, v5
	s_xor_b32 s22, exec_lo, s22
	s_cbranch_execz .LBB126_194
; %bb.174:
	s_mov_b32 s0, -1
	s_mov_b32 s23, exec_lo
                                        ; implicit-def: $sgpr16
	v_cmpx_eq_u16_e32 0x80, v5
; %bb.175:
	s_mov_b32 s16, -1
	s_xor_b32 s0, exec_lo, -1
; %bb.176:
	s_or_b32 exec_lo, exec_lo, s23
	s_delay_alu instid0(SALU_CYCLE_1)
	s_and_b32 s0, s0, exec_lo
	s_and_not1_saveexec_b32 s22, s22
	s_cbranch_execnz .LBB126_195
.LBB126_177:
	s_or_b32 exec_lo, exec_lo, s22
	s_and_saveexec_b32 s22, s0
	s_cbranch_execz .LBB126_179
.LBB126_178:
	v_and_b32_e32 v5, 0xffff, v5
	s_and_not1_b32 s0, s16, exec_lo
	s_delay_alu instid0(VALU_DEP_1) | instskip(NEXT) | instid1(VALU_DEP_1)
	v_and_b32_e32 v6, 7, v5
	v_clz_i32_u32_e32 v7, v6
	s_delay_alu instid0(VALU_DEP_1) | instskip(NEXT) | instid1(VALU_DEP_1)
	v_min_u32_e32 v7, 32, v7
	v_subrev_nc_u32_e32 v8, 28, v7
	v_sub_nc_u32_e32 v7, 29, v7
	s_delay_alu instid0(VALU_DEP_2) | instskip(SKIP_1) | instid1(VALU_DEP_2)
	v_lshlrev_b32_e32 v8, v8, v5
	v_bfe_u32 v5, v5, 3, 4
	v_and_b32_e32 v8, 7, v8
	s_delay_alu instid0(VALU_DEP_2) | instskip(NEXT) | instid1(VALU_DEP_2)
	v_cmp_eq_u32_e32 vcc_lo, 0, v5
	v_dual_cndmask_b32 v5, v5, v7 :: v_dual_cndmask_b32 v6, v6, v8
	s_delay_alu instid0(VALU_DEP_1) | instskip(NEXT) | instid1(VALU_DEP_2)
	v_lshl_add_u32 v5, v5, 23, 0x3b800000
	v_lshlrev_b32_e32 v6, 20, v6
	s_delay_alu instid0(VALU_DEP_1) | instskip(NEXT) | instid1(VALU_DEP_1)
	v_and_or_b32 v5, 0x7f800000, v5, v6
	v_cmp_ne_u32_e32 vcc_lo, 0, v5
	s_and_b32 s16, vcc_lo, exec_lo
	s_delay_alu instid0(SALU_CYCLE_1)
	s_or_b32 s16, s0, s16
.LBB126_179:
	s_or_b32 exec_lo, exec_lo, s22
.LBB126_180:
	s_mov_b32 s0, -1
.LBB126_181:
	s_mov_b32 s22, 0
.LBB126_182:
	s_delay_alu instid0(SALU_CYCLE_1)
	s_and_b32 vcc_lo, exec_lo, s22
	s_cbranch_vccz .LBB126_217
; %bb.183:
	v_cmp_lt_i16_e32 vcc_lo, 22, v3
	s_cbranch_vccz .LBB126_193
; %bb.184:
	v_cmp_gt_i16_e32 vcc_lo, 24, v3
	s_cbranch_vccnz .LBB126_196
; %bb.185:
	v_cmp_lt_i16_e32 vcc_lo, 24, v3
	s_cbranch_vccz .LBB126_197
; %bb.186:
	global_load_u8 v5, v[0:1], off
	s_mov_b32 s0, 0
	s_mov_b32 s22, exec_lo
                                        ; implicit-def: $sgpr16
	s_waitcnt vmcnt(0)
	v_cmpx_lt_i16_e32 0x7f, v5
	s_xor_b32 s22, exec_lo, s22
	s_cbranch_execz .LBB126_209
; %bb.187:
	s_mov_b32 s0, -1
	s_mov_b32 s23, exec_lo
                                        ; implicit-def: $sgpr16
	v_cmpx_eq_u16_e32 0x80, v5
; %bb.188:
	s_mov_b32 s16, -1
	s_xor_b32 s0, exec_lo, -1
; %bb.189:
	s_or_b32 exec_lo, exec_lo, s23
	s_delay_alu instid0(SALU_CYCLE_1)
	s_and_b32 s0, s0, exec_lo
	s_and_not1_saveexec_b32 s22, s22
	s_cbranch_execnz .LBB126_210
.LBB126_190:
	s_or_b32 exec_lo, exec_lo, s22
	s_and_saveexec_b32 s22, s0
	s_cbranch_execz .LBB126_192
.LBB126_191:
	v_and_b32_e32 v5, 0xffff, v5
	s_and_not1_b32 s0, s16, exec_lo
	s_delay_alu instid0(VALU_DEP_1) | instskip(NEXT) | instid1(VALU_DEP_1)
	v_and_b32_e32 v6, 3, v5
	v_clz_i32_u32_e32 v7, v6
	s_delay_alu instid0(VALU_DEP_1) | instskip(NEXT) | instid1(VALU_DEP_1)
	v_min_u32_e32 v7, 32, v7
	v_subrev_nc_u32_e32 v8, 29, v7
	v_sub_nc_u32_e32 v7, 30, v7
	s_delay_alu instid0(VALU_DEP_2) | instskip(SKIP_1) | instid1(VALU_DEP_2)
	v_lshlrev_b32_e32 v8, v8, v5
	v_bfe_u32 v5, v5, 2, 5
	v_and_b32_e32 v8, 3, v8
	s_delay_alu instid0(VALU_DEP_2) | instskip(NEXT) | instid1(VALU_DEP_2)
	v_cmp_eq_u32_e32 vcc_lo, 0, v5
	v_dual_cndmask_b32 v5, v5, v7 :: v_dual_cndmask_b32 v6, v6, v8
	s_delay_alu instid0(VALU_DEP_1) | instskip(NEXT) | instid1(VALU_DEP_2)
	v_lshl_add_u32 v5, v5, 23, 0x37800000
	v_lshlrev_b32_e32 v6, 21, v6
	s_delay_alu instid0(VALU_DEP_1) | instskip(NEXT) | instid1(VALU_DEP_1)
	v_and_or_b32 v5, 0x7f800000, v5, v6
	v_cmp_ne_u32_e32 vcc_lo, 0, v5
	s_and_b32 s16, vcc_lo, exec_lo
	s_delay_alu instid0(SALU_CYCLE_1)
	s_or_b32 s16, s0, s16
.LBB126_192:
	s_or_b32 exec_lo, exec_lo, s22
	s_mov_b32 s0, 0
	s_branch .LBB126_198
.LBB126_193:
	s_mov_b32 s22, -1
                                        ; implicit-def: $sgpr16
	s_branch .LBB126_204
.LBB126_194:
	s_and_not1_saveexec_b32 s22, s22
	s_cbranch_execz .LBB126_177
.LBB126_195:
	v_cmp_ne_u16_e32 vcc_lo, 0, v5
	s_and_not1_b32 s0, s0, exec_lo
	s_and_not1_b32 s16, s16, exec_lo
	s_and_b32 s23, vcc_lo, exec_lo
	s_delay_alu instid0(SALU_CYCLE_1)
	s_or_b32 s0, s0, s23
	s_or_b32 exec_lo, exec_lo, s22
	s_and_saveexec_b32 s22, s0
	s_cbranch_execnz .LBB126_178
	s_branch .LBB126_179
.LBB126_196:
	s_mov_b32 s0, -1
                                        ; implicit-def: $sgpr16
	s_branch .LBB126_201
.LBB126_197:
	s_mov_b32 s0, -1
                                        ; implicit-def: $sgpr16
.LBB126_198:
	s_delay_alu instid0(SALU_CYCLE_1)
	s_and_b32 vcc_lo, exec_lo, s0
	s_cbranch_vccz .LBB126_200
; %bb.199:
	global_load_u8 v5, v[0:1], off
	s_and_not1_b32 s16, s16, exec_lo
	s_waitcnt vmcnt(0)
	v_lshlrev_b32_e32 v5, 24, v5
	s_delay_alu instid0(VALU_DEP_1) | instskip(NEXT) | instid1(VALU_DEP_1)
	v_and_b32_e32 v5, 0x7f000000, v5
	v_clz_i32_u32_e32 v6, v5
	v_add_nc_u32_e32 v8, 0x1000000, v5
	v_cmp_ne_u32_e32 vcc_lo, 0, v5
	s_delay_alu instid0(VALU_DEP_3) | instskip(NEXT) | instid1(VALU_DEP_3)
	v_min_u32_e32 v6, 32, v6
	v_ashrrev_i32_e32 v8, 8, v8
	s_delay_alu instid0(VALU_DEP_2) | instskip(NEXT) | instid1(VALU_DEP_1)
	v_sub_nc_u32_e64 v6, v6, 4 clamp
	v_lshlrev_b32_e32 v7, v6, v5
	v_lshlrev_b32_e32 v6, 23, v6
	s_delay_alu instid0(VALU_DEP_2) | instskip(NEXT) | instid1(VALU_DEP_1)
	v_lshrrev_b32_e32 v7, 4, v7
	v_sub_nc_u32_e32 v6, v7, v6
	v_and_b32_e32 v7, 0x7f800000, v8
	s_delay_alu instid0(VALU_DEP_2) | instskip(NEXT) | instid1(VALU_DEP_1)
	v_add_nc_u32_e32 v6, 0x3c000000, v6
	v_and_or_b32 v6, 0x7ff00000, v6, v7
	s_delay_alu instid0(VALU_DEP_1) | instskip(NEXT) | instid1(VALU_DEP_1)
	v_cmp_ne_u32_e64 s0, 0, v6
	s_and_b32 s0, vcc_lo, s0
	s_delay_alu instid0(SALU_CYCLE_1) | instskip(NEXT) | instid1(SALU_CYCLE_1)
	s_and_b32 s0, s0, exec_lo
	s_or_b32 s16, s16, s0
.LBB126_200:
	s_mov_b32 s0, 0
.LBB126_201:
	s_delay_alu instid0(SALU_CYCLE_1)
	s_and_not1_b32 vcc_lo, exec_lo, s0
	s_cbranch_vccnz .LBB126_203
; %bb.202:
	global_load_u8 v5, v[0:1], off
	s_and_not1_b32 s0, s16, exec_lo
	s_waitcnt vmcnt(0)
	v_lshlrev_b32_e32 v6, 25, v5
	v_lshlrev_b32_e32 v5, 8, v5
	s_delay_alu instid0(VALU_DEP_2) | instskip(NEXT) | instid1(VALU_DEP_2)
	v_lshrrev_b32_e32 v7, 4, v6
	v_and_or_b32 v5, 0x7f00, v5, 0.5
	s_delay_alu instid0(VALU_DEP_2) | instskip(NEXT) | instid1(VALU_DEP_2)
	v_or_b32_e32 v7, 0x70000000, v7
	v_add_f32_e32 v5, -0.5, v5
	s_delay_alu instid0(VALU_DEP_2) | instskip(SKIP_1) | instid1(VALU_DEP_2)
	v_mul_f32_e32 v7, 0x7800000, v7
	v_cmp_gt_u32_e32 vcc_lo, 0x8000000, v6
	v_cndmask_b32_e32 v5, v7, v5, vcc_lo
	s_delay_alu instid0(VALU_DEP_1) | instskip(SKIP_1) | instid1(SALU_CYCLE_1)
	v_cmp_neq_f32_e32 vcc_lo, 0, v5
	s_and_b32 s16, vcc_lo, exec_lo
	s_or_b32 s16, s0, s16
.LBB126_203:
	s_mov_b32 s22, 0
	s_mov_b32 s0, -1
.LBB126_204:
	s_and_not1_b32 vcc_lo, exec_lo, s22
	s_cbranch_vccnz .LBB126_217
; %bb.205:
	v_cmp_lt_i16_e32 vcc_lo, 14, v3
	s_cbranch_vccz .LBB126_208
; %bb.206:
	v_cmp_eq_u16_e32 vcc_lo, 15, v3
	s_cbranch_vccz .LBB126_211
; %bb.207:
	global_load_u16 v5, v[0:1], off
	s_mov_b32 s18, 0
	s_mov_b32 s0, -1
	s_waitcnt vmcnt(0)
	v_and_b32_e32 v5, 0x7fff, v5
	s_delay_alu instid0(VALU_DEP_1)
	v_cmp_ne_u16_e32 vcc_lo, 0, v5
	s_and_b32 s16, vcc_lo, exec_lo
	s_branch .LBB126_212
.LBB126_208:
	s_mov_b32 s22, -1
                                        ; implicit-def: $sgpr16
	s_branch .LBB126_213
.LBB126_209:
	s_and_not1_saveexec_b32 s22, s22
	s_cbranch_execz .LBB126_190
.LBB126_210:
	v_cmp_ne_u16_e32 vcc_lo, 0, v5
	s_and_not1_b32 s0, s0, exec_lo
	s_and_not1_b32 s16, s16, exec_lo
	s_and_b32 s23, vcc_lo, exec_lo
	s_delay_alu instid0(SALU_CYCLE_1)
	s_or_b32 s0, s0, s23
	s_or_b32 exec_lo, exec_lo, s22
	s_and_saveexec_b32 s22, s0
	s_cbranch_execnz .LBB126_191
	s_branch .LBB126_192
.LBB126_211:
	s_mov_b32 s18, -1
                                        ; implicit-def: $sgpr16
.LBB126_212:
	s_mov_b32 s22, 0
.LBB126_213:
	s_delay_alu instid0(SALU_CYCLE_1)
	s_and_b32 vcc_lo, exec_lo, s22
	s_cbranch_vccz .LBB126_217
; %bb.214:
	v_cmp_eq_u16_e32 vcc_lo, 11, v3
	s_cbranch_vccz .LBB126_216
; %bb.215:
	global_load_u8 v5, v[0:1], off
	s_mov_b32 s18, 0
	s_mov_b32 s0, -1
	s_waitcnt vmcnt(0)
	v_cmp_ne_u16_e32 vcc_lo, 0, v5
	s_and_b32 s16, vcc_lo, exec_lo
	s_branch .LBB126_217
.LBB126_216:
	s_mov_b32 s18, -1
                                        ; implicit-def: $sgpr16
.LBB126_217:
	s_branch .LBB126_20
.LBB126_218:
	v_cmp_gt_i16_e32 vcc_lo, 5, v3
	s_cbranch_vccnz .LBB126_223
; %bb.219:
	v_cmp_gt_i16_e32 vcc_lo, 8, v3
	s_cbranch_vccnz .LBB126_224
; %bb.220:
	;; [unrolled: 3-line block ×3, first 2 shown]
	v_cmp_lt_i16_e32 vcc_lo, 9, v3
	s_cbranch_vccz .LBB126_226
; %bb.222:
	global_load_b128 v[5:8], v[0:1], off
	s_waitcnt vmcnt(0)
	v_cmp_neq_f64_e32 vcc_lo, 0, v[5:6]
	v_cmp_neq_f64_e64 s0, 0, v[7:8]
	s_delay_alu instid0(VALU_DEP_1)
	s_or_b32 s16, vcc_lo, s0
	s_mov_b32 s0, 0
	s_and_b32 s16, s16, exec_lo
	s_branch .LBB126_227
.LBB126_223:
	s_mov_b32 s0, -1
                                        ; implicit-def: $sgpr16
	s_branch .LBB126_245
.LBB126_224:
	s_mov_b32 s0, -1
                                        ; implicit-def: $sgpr16
	s_branch .LBB126_233
.LBB126_225:
	s_mov_b32 s0, -1
                                        ; implicit-def: $sgpr16
	s_branch .LBB126_230
.LBB126_226:
	s_mov_b32 s0, -1
                                        ; implicit-def: $sgpr16
.LBB126_227:
	s_delay_alu instid0(SALU_CYCLE_1)
	s_and_not1_b32 vcc_lo, exec_lo, s0
	s_cbranch_vccnz .LBB126_229
; %bb.228:
	global_load_b64 v[5:6], v[0:1], off
	s_and_not1_b32 s0, s16, exec_lo
	s_waitcnt vmcnt(0)
	v_or_b32_e32 v5, v5, v6
	s_delay_alu instid0(VALU_DEP_1) | instskip(NEXT) | instid1(VALU_DEP_1)
	v_and_b32_e32 v5, 0x7fffffff, v5
	v_cmp_ne_u32_e32 vcc_lo, 0, v5
	s_and_b32 s16, vcc_lo, exec_lo
	s_delay_alu instid0(SALU_CYCLE_1)
	s_or_b32 s16, s0, s16
.LBB126_229:
	s_mov_b32 s0, 0
.LBB126_230:
	s_delay_alu instid0(SALU_CYCLE_1)
	s_and_not1_b32 vcc_lo, exec_lo, s0
	s_cbranch_vccnz .LBB126_232
; %bb.231:
	global_load_b32 v5, v[0:1], off
	s_and_not1_b32 s0, s16, exec_lo
	s_waitcnt vmcnt(0)
	v_and_b32_e32 v5, 0x7fff7fff, v5
	s_delay_alu instid0(VALU_DEP_1) | instskip(SKIP_1) | instid1(SALU_CYCLE_1)
	v_cmp_ne_u32_e32 vcc_lo, 0, v5
	s_and_b32 s16, vcc_lo, exec_lo
	s_or_b32 s16, s0, s16
.LBB126_232:
	s_mov_b32 s0, 0
.LBB126_233:
	s_delay_alu instid0(SALU_CYCLE_1)
	s_and_not1_b32 vcc_lo, exec_lo, s0
	s_cbranch_vccnz .LBB126_244
; %bb.234:
	v_cmp_gt_i16_e32 vcc_lo, 6, v3
	s_cbranch_vccnz .LBB126_237
; %bb.235:
	v_cmp_lt_i16_e32 vcc_lo, 6, v3
	s_cbranch_vccz .LBB126_238
; %bb.236:
	global_load_b64 v[5:6], v[0:1], off
	s_mov_b32 s0, 0
	s_waitcnt vmcnt(0)
	v_cmp_neq_f64_e32 vcc_lo, 0, v[5:6]
	s_and_b32 s16, vcc_lo, exec_lo
	s_branch .LBB126_239
.LBB126_237:
	s_mov_b32 s0, -1
                                        ; implicit-def: $sgpr16
	s_branch .LBB126_242
.LBB126_238:
	s_mov_b32 s0, -1
                                        ; implicit-def: $sgpr16
.LBB126_239:
	s_delay_alu instid0(SALU_CYCLE_1)
	s_and_not1_b32 vcc_lo, exec_lo, s0
	s_cbranch_vccnz .LBB126_241
; %bb.240:
	global_load_b32 v5, v[0:1], off
	s_and_not1_b32 s0, s16, exec_lo
	s_waitcnt vmcnt(0)
	v_cmp_neq_f32_e32 vcc_lo, 0, v5
	s_and_b32 s16, vcc_lo, exec_lo
	s_delay_alu instid0(SALU_CYCLE_1)
	s_or_b32 s16, s0, s16
.LBB126_241:
	s_mov_b32 s0, 0
.LBB126_242:
	s_delay_alu instid0(SALU_CYCLE_1)
	s_and_not1_b32 vcc_lo, exec_lo, s0
	s_cbranch_vccnz .LBB126_244
; %bb.243:
	global_load_u16 v5, v[0:1], off
	s_and_not1_b32 s0, s16, exec_lo
	s_waitcnt vmcnt(0)
	v_and_b32_e32 v5, 0x7fff, v5
	s_delay_alu instid0(VALU_DEP_1) | instskip(SKIP_1) | instid1(SALU_CYCLE_1)
	v_cmp_ne_u16_e32 vcc_lo, 0, v5
	s_and_b32 s16, vcc_lo, exec_lo
	s_or_b32 s16, s0, s16
.LBB126_244:
	s_mov_b32 s0, 0
.LBB126_245:
	s_delay_alu instid0(SALU_CYCLE_1)
	s_and_not1_b32 vcc_lo, exec_lo, s0
	s_cbranch_vccnz .LBB126_265
; %bb.246:
	v_cmp_gt_i16_e32 vcc_lo, 2, v3
	s_cbranch_vccnz .LBB126_250
; %bb.247:
	v_cmp_gt_i16_e32 vcc_lo, 3, v3
	s_cbranch_vccnz .LBB126_251
; %bb.248:
	v_cmp_lt_i16_e32 vcc_lo, 3, v3
	s_cbranch_vccz .LBB126_252
; %bb.249:
	global_load_b64 v[5:6], v[0:1], off
	s_mov_b32 s0, 0
	s_waitcnt vmcnt(0)
	v_cmp_ne_u64_e32 vcc_lo, 0, v[5:6]
	s_and_b32 s16, vcc_lo, exec_lo
	s_branch .LBB126_253
.LBB126_250:
	s_mov_b32 s0, -1
                                        ; implicit-def: $sgpr16
	s_branch .LBB126_259
.LBB126_251:
	s_mov_b32 s0, -1
                                        ; implicit-def: $sgpr16
	s_branch .LBB126_256
.LBB126_252:
	s_mov_b32 s0, -1
                                        ; implicit-def: $sgpr16
.LBB126_253:
	s_delay_alu instid0(SALU_CYCLE_1)
	s_and_not1_b32 vcc_lo, exec_lo, s0
	s_cbranch_vccnz .LBB126_255
; %bb.254:
	global_load_b32 v5, v[0:1], off
	s_and_not1_b32 s0, s16, exec_lo
	s_waitcnt vmcnt(0)
	v_cmp_ne_u32_e32 vcc_lo, 0, v5
	s_and_b32 s16, vcc_lo, exec_lo
	s_delay_alu instid0(SALU_CYCLE_1)
	s_or_b32 s16, s0, s16
.LBB126_255:
	s_mov_b32 s0, 0
.LBB126_256:
	s_delay_alu instid0(SALU_CYCLE_1)
	s_and_not1_b32 vcc_lo, exec_lo, s0
	s_cbranch_vccnz .LBB126_258
; %bb.257:
	global_load_u16 v5, v[0:1], off
	s_and_not1_b32 s0, s16, exec_lo
	s_waitcnt vmcnt(0)
	v_cmp_ne_u16_e32 vcc_lo, 0, v5
	s_and_b32 s16, vcc_lo, exec_lo
	s_delay_alu instid0(SALU_CYCLE_1)
	s_or_b32 s16, s0, s16
.LBB126_258:
	s_mov_b32 s0, 0
.LBB126_259:
	s_delay_alu instid0(SALU_CYCLE_1)
	s_and_not1_b32 vcc_lo, exec_lo, s0
	s_cbranch_vccnz .LBB126_265
; %bb.260:
	v_cmp_lt_i16_e32 vcc_lo, 0, v3
	s_mov_b32 s0, 0
	s_cbranch_vccz .LBB126_262
; %bb.261:
	global_load_u8 v3, v[0:1], off
	s_waitcnt vmcnt(0)
	v_cmp_ne_u16_e32 vcc_lo, 0, v3
	s_and_b32 s16, vcc_lo, exec_lo
	s_branch .LBB126_263
.LBB126_262:
	s_mov_b32 s0, -1
                                        ; implicit-def: $sgpr16
.LBB126_263:
	s_delay_alu instid0(SALU_CYCLE_1)
	s_and_not1_b32 vcc_lo, exec_lo, s0
	s_cbranch_vccnz .LBB126_265
; %bb.264:
	global_load_u8 v0, v[0:1], off
	s_and_not1_b32 s0, s16, exec_lo
	s_waitcnt vmcnt(0)
	v_cmp_ne_u16_e32 vcc_lo, 0, v0
	s_and_b32 s16, vcc_lo, exec_lo
	s_delay_alu instid0(SALU_CYCLE_1)
	s_or_b32 s16, s0, s16
.LBB126_265:
	s_branch .LBB126_21
.LBB126_266:
	s_mov_b32 s0, 0
	s_branch .LBB126_378
.LBB126_267:
	s_mov_b32 s18, -1
	s_mov_b32 s0, 0
	s_mov_b32 s16, 0
.LBB126_268:
	s_and_b32 vcc_lo, exec_lo, s18
	s_cbranch_vccz .LBB126_273
; %bb.269:
	v_cmp_eq_u16_e32 vcc_lo, 44, v5
	s_mov_b32 s0, -1
	s_cbranch_vccz .LBB126_273
; %bb.270:
	v_bfe_u32 v6, v2, 23, 8
	v_mov_b32_e32 v3, 0xff
	s_mov_b32 s16, exec_lo
	s_delay_alu instid0(VALU_DEP_2)
	v_cmpx_ne_u32_e32 0xff, v6
; %bb.271:
	v_and_b32_e32 v3, 0x400000, v2
	v_and_or_b32 v6, 0x3fffff, v2, v6
	s_delay_alu instid0(VALU_DEP_2) | instskip(NEXT) | instid1(VALU_DEP_2)
	v_cmp_ne_u32_e32 vcc_lo, 0, v3
	v_cmp_ne_u32_e64 s0, 0, v6
	v_lshrrev_b32_e32 v3, 23, v2
	s_delay_alu instid0(VALU_DEP_2) | instskip(NEXT) | instid1(SALU_CYCLE_1)
	s_and_b32 s0, vcc_lo, s0
	v_cndmask_b32_e64 v6, 0, 1, s0
	s_delay_alu instid0(VALU_DEP_1)
	v_add_nc_u32_e32 v3, v3, v6
; %bb.272:
	s_or_b32 exec_lo, exec_lo, s16
	s_mov_b32 s16, -1
	s_mov_b32 s0, 0
	global_store_b8 v[0:1], v3, off
.LBB126_273:
	s_mov_b32 s18, 0
.LBB126_274:
	s_delay_alu instid0(SALU_CYCLE_1)
	s_and_b32 vcc_lo, exec_lo, s18
	s_cbranch_vccz .LBB126_277
; %bb.275:
	v_cmp_eq_u16_e32 vcc_lo, 29, v5
	s_mov_b32 s0, -1
	s_cbranch_vccz .LBB126_277
; %bb.276:
	v_trunc_f32_e32 v3, v2
	s_mov_b32 s16, -1
	s_mov_b32 s0, 0
	s_mov_b32 s18, 0
	s_delay_alu instid0(VALU_DEP_1) | instskip(NEXT) | instid1(VALU_DEP_1)
	v_mul_f32_e32 v6, 0x2f800000, v3
	v_floor_f32_e32 v6, v6
	s_delay_alu instid0(VALU_DEP_1) | instskip(SKIP_1) | instid1(VALU_DEP_2)
	v_fmamk_f32 v3, v6, 0xcf800000, v3
	v_cvt_u32_f32_e32 v7, v6
	v_cvt_u32_f32_e32 v6, v3
	global_store_b64 v[0:1], v[6:7], off
	s_branch .LBB126_278
.LBB126_277:
	s_mov_b32 s18, 0
.LBB126_278:
	s_delay_alu instid0(SALU_CYCLE_1)
	s_and_b32 vcc_lo, exec_lo, s18
	s_cbranch_vccz .LBB126_294
; %bb.279:
	v_cmp_gt_i16_e32 vcc_lo, 27, v5
	s_mov_b32 s16, -1
	s_cbranch_vccnz .LBB126_285
; %bb.280:
	v_cmp_lt_i16_e32 vcc_lo, 27, v5
	s_cbranch_vccz .LBB126_282
; %bb.281:
	v_cvt_u32_f32_e32 v3, v2
	s_mov_b32 s16, 0
	global_store_b32 v[0:1], v3, off
.LBB126_282:
	s_and_not1_b32 vcc_lo, exec_lo, s16
	s_cbranch_vccnz .LBB126_284
; %bb.283:
	v_cvt_u32_f32_e32 v3, v2
	global_store_b16 v[0:1], v3, off
.LBB126_284:
	s_mov_b32 s16, 0
.LBB126_285:
	s_delay_alu instid0(SALU_CYCLE_1)
	s_and_not1_b32 vcc_lo, exec_lo, s16
	s_cbranch_vccnz .LBB126_293
; %bb.286:
	v_and_b32_e32 v3, 0x7fffffff, v2
	v_mov_b32_e32 v6, 0x80
	s_mov_b32 s16, exec_lo
	s_delay_alu instid0(VALU_DEP_2)
	v_cmpx_gt_u32_e32 0x43800000, v3
	s_cbranch_execz .LBB126_292
; %bb.287:
	v_cmp_lt_u32_e32 vcc_lo, 0x3bffffff, v3
	s_mov_b32 s18, 0
                                        ; implicit-def: $vgpr3
	s_and_saveexec_b32 s22, vcc_lo
	s_delay_alu instid0(SALU_CYCLE_1)
	s_xor_b32 s22, exec_lo, s22
	s_cbranch_execz .LBB126_406
; %bb.288:
	v_bfe_u32 v3, v2, 20, 1
	s_mov_b32 s18, exec_lo
	s_delay_alu instid0(VALU_DEP_1) | instskip(NEXT) | instid1(VALU_DEP_1)
	v_add3_u32 v3, v2, v3, 0x487ffff
	v_lshrrev_b32_e32 v3, 20, v3
	s_or_saveexec_b32 s22, s22
                                        ; implicit-def: $sgpr23
	s_delay_alu instid0(SALU_CYCLE_1)
	s_xor_b32 exec_lo, exec_lo, s22
	s_cbranch_execnz .LBB126_407
.LBB126_289:
	s_or_b32 exec_lo, exec_lo, s22
	v_mov_b32_e32 v6, s23
	s_and_saveexec_b32 s22, s18
.LBB126_290:
	v_lshrrev_b32_e32 v6, 24, v2
	s_delay_alu instid0(VALU_DEP_1)
	v_and_or_b32 v6, 0x80, v6, v3
.LBB126_291:
	s_or_b32 exec_lo, exec_lo, s22
.LBB126_292:
	s_delay_alu instid0(SALU_CYCLE_1)
	s_or_b32 exec_lo, exec_lo, s16
	global_store_b8 v[0:1], v6, off
.LBB126_293:
	s_mov_b32 s16, -1
.LBB126_294:
	s_mov_b32 s18, 0
.LBB126_295:
	s_delay_alu instid0(SALU_CYCLE_1)
	s_and_b32 vcc_lo, exec_lo, s18
	s_cbranch_vccz .LBB126_336
; %bb.296:
	v_cmp_lt_i16_e32 vcc_lo, 22, v5
	s_mov_b32 s18, -1
	s_cbranch_vccz .LBB126_328
; %bb.297:
	v_cmp_gt_i16_e32 vcc_lo, 24, v5
	s_mov_b32 s16, -1
	s_cbranch_vccnz .LBB126_317
; %bb.298:
	v_cmp_lt_i16_e32 vcc_lo, 24, v5
	s_cbranch_vccz .LBB126_306
; %bb.299:
	v_and_b32_e32 v3, 0x7fffffff, v2
	v_mov_b32_e32 v6, 0x80
	s_mov_b32 s16, exec_lo
	s_delay_alu instid0(VALU_DEP_2)
	v_cmpx_gt_u32_e32 0x47800000, v3
	s_cbranch_execz .LBB126_305
; %bb.300:
	v_cmp_lt_u32_e32 vcc_lo, 0x37ffffff, v3
	s_mov_b32 s18, 0
                                        ; implicit-def: $vgpr3
	s_and_saveexec_b32 s22, vcc_lo
	s_delay_alu instid0(SALU_CYCLE_1)
	s_xor_b32 s22, exec_lo, s22
	s_cbranch_execz .LBB126_525
; %bb.301:
	v_bfe_u32 v3, v2, 21, 1
	s_mov_b32 s18, exec_lo
	s_delay_alu instid0(VALU_DEP_1) | instskip(NEXT) | instid1(VALU_DEP_1)
	v_add3_u32 v3, v2, v3, 0x88fffff
	v_lshrrev_b32_e32 v3, 21, v3
	s_or_saveexec_b32 s22, s22
                                        ; implicit-def: $sgpr23
	s_delay_alu instid0(SALU_CYCLE_1)
	s_xor_b32 exec_lo, exec_lo, s22
	s_cbranch_execnz .LBB126_526
.LBB126_302:
	s_or_b32 exec_lo, exec_lo, s22
	v_mov_b32_e32 v6, s23
	s_and_saveexec_b32 s22, s18
.LBB126_303:
	v_lshrrev_b32_e32 v6, 24, v2
	s_delay_alu instid0(VALU_DEP_1)
	v_and_or_b32 v6, 0x80, v6, v3
.LBB126_304:
	s_or_b32 exec_lo, exec_lo, s22
.LBB126_305:
	s_delay_alu instid0(SALU_CYCLE_1)
	s_or_b32 exec_lo, exec_lo, s16
	s_mov_b32 s16, 0
	global_store_b8 v[0:1], v6, off
.LBB126_306:
	s_and_b32 vcc_lo, exec_lo, s16
	s_cbranch_vccz .LBB126_316
; %bb.307:
	v_and_b32_e32 v6, 0x7fffffff, v2
	s_mov_b32 s16, exec_lo
                                        ; implicit-def: $vgpr3
	s_delay_alu instid0(VALU_DEP_1)
	v_cmpx_gt_u32_e32 0x43f00000, v6
	s_xor_b32 s16, exec_lo, s16
	s_cbranch_execz .LBB126_313
; %bb.308:
	s_mov_b32 s18, exec_lo
                                        ; implicit-def: $vgpr3
	v_cmpx_lt_u32_e32 0x3c7fffff, v6
	s_xor_b32 s18, exec_lo, s18
; %bb.309:
	v_bfe_u32 v3, v2, 20, 1
	s_delay_alu instid0(VALU_DEP_1) | instskip(NEXT) | instid1(VALU_DEP_1)
	v_add3_u32 v3, v2, v3, 0x407ffff
	v_and_b32_e32 v6, 0xff00000, v3
	v_lshrrev_b32_e32 v3, 20, v3
	s_delay_alu instid0(VALU_DEP_2) | instskip(NEXT) | instid1(VALU_DEP_2)
	v_cmp_ne_u32_e32 vcc_lo, 0x7f00000, v6
	v_cndmask_b32_e32 v3, 0x7e, v3, vcc_lo
; %bb.310:
	s_and_not1_saveexec_b32 s18, s18
; %bb.311:
	v_add_f32_e64 v3, 0x46800000, |v2|
; %bb.312:
	s_or_b32 exec_lo, exec_lo, s18
                                        ; implicit-def: $vgpr6
.LBB126_313:
	s_and_not1_saveexec_b32 s16, s16
; %bb.314:
	v_mov_b32_e32 v3, 0x7f
	v_cmp_lt_u32_e32 vcc_lo, 0x7f800000, v6
	s_delay_alu instid0(VALU_DEP_2)
	v_cndmask_b32_e32 v3, 0x7e, v3, vcc_lo
; %bb.315:
	s_or_b32 exec_lo, exec_lo, s16
	v_lshrrev_b32_e32 v6, 24, v2
	s_delay_alu instid0(VALU_DEP_1)
	v_and_or_b32 v3, 0x80, v6, v3
	global_store_b8 v[0:1], v3, off
.LBB126_316:
	s_mov_b32 s16, 0
.LBB126_317:
	s_delay_alu instid0(SALU_CYCLE_1)
	s_and_not1_b32 vcc_lo, exec_lo, s16
	s_cbranch_vccnz .LBB126_327
; %bb.318:
	v_and_b32_e32 v6, 0x7fffffff, v2
	s_mov_b32 s16, exec_lo
                                        ; implicit-def: $vgpr3
	s_delay_alu instid0(VALU_DEP_1)
	v_cmpx_gt_u32_e32 0x47800000, v6
	s_xor_b32 s16, exec_lo, s16
	s_cbranch_execz .LBB126_324
; %bb.319:
	s_mov_b32 s18, exec_lo
                                        ; implicit-def: $vgpr3
	v_cmpx_lt_u32_e32 0x387fffff, v6
	s_xor_b32 s18, exec_lo, s18
; %bb.320:
	v_bfe_u32 v3, v2, 21, 1
	s_delay_alu instid0(VALU_DEP_1) | instskip(NEXT) | instid1(VALU_DEP_1)
	v_add3_u32 v3, v2, v3, 0x80fffff
	v_lshrrev_b32_e32 v3, 21, v3
; %bb.321:
	s_and_not1_saveexec_b32 s18, s18
; %bb.322:
	v_add_f32_e64 v3, 0x43000000, |v2|
; %bb.323:
	s_or_b32 exec_lo, exec_lo, s18
                                        ; implicit-def: $vgpr6
.LBB126_324:
	s_and_not1_saveexec_b32 s16, s16
; %bb.325:
	v_mov_b32_e32 v3, 0x7f
	v_cmp_lt_u32_e32 vcc_lo, 0x7f800000, v6
	s_delay_alu instid0(VALU_DEP_2)
	v_cndmask_b32_e32 v3, 0x7c, v3, vcc_lo
; %bb.326:
	s_or_b32 exec_lo, exec_lo, s16
	v_lshrrev_b32_e32 v6, 24, v2
	s_delay_alu instid0(VALU_DEP_1)
	v_and_or_b32 v3, 0x80, v6, v3
	global_store_b8 v[0:1], v3, off
.LBB126_327:
	s_mov_b32 s18, 0
	s_mov_b32 s16, -1
.LBB126_328:
	s_and_not1_b32 vcc_lo, exec_lo, s18
	s_cbranch_vccnz .LBB126_336
; %bb.329:
	v_cmp_lt_i16_e32 vcc_lo, 14, v5
	s_mov_b32 s18, -1
	s_cbranch_vccz .LBB126_333
; %bb.330:
	v_cmp_eq_u16_e32 vcc_lo, 15, v5
	s_mov_b32 s0, -1
	s_cbranch_vccz .LBB126_332
; %bb.331:
	v_bfe_u32 v3, v2, 16, 1
	v_cmp_o_f32_e32 vcc_lo, v2, v2
	s_mov_b32 s16, -1
	s_mov_b32 s0, 0
	s_delay_alu instid0(VALU_DEP_2) | instskip(NEXT) | instid1(VALU_DEP_1)
	v_add3_u32 v3, v2, v3, 0x7fff
	v_lshrrev_b32_e32 v3, 16, v3
	s_delay_alu instid0(VALU_DEP_1)
	v_cndmask_b32_e32 v3, 0x7fc0, v3, vcc_lo
	global_store_b16 v[0:1], v3, off
.LBB126_332:
	s_mov_b32 s18, 0
.LBB126_333:
	s_delay_alu instid0(SALU_CYCLE_1)
	s_and_b32 vcc_lo, exec_lo, s18
	s_cbranch_vccz .LBB126_336
; %bb.334:
	v_cmp_eq_u16_e32 vcc_lo, 11, v5
	s_mov_b32 s0, -1
	s_cbranch_vccz .LBB126_336
; %bb.335:
	v_cmp_neq_f32_e32 vcc_lo, 0, v2
	s_mov_b32 s0, 0
	s_mov_b32 s16, -1
	v_cndmask_b32_e64 v3, 0, 1, vcc_lo
	global_store_b8 v[0:1], v3, off
.LBB126_336:
	s_mov_b32 s18, 0
.LBB126_337:
	s_delay_alu instid0(SALU_CYCLE_1)
	s_and_b32 vcc_lo, exec_lo, s18
	s_cbranch_vccz .LBB126_376
; %bb.338:
	v_cmp_gt_i16_e32 vcc_lo, 5, v5
	s_mov_b32 s16, -1
	s_cbranch_vccnz .LBB126_359
; %bb.339:
	v_cmp_gt_i16_e32 vcc_lo, 8, v5
	s_cbranch_vccnz .LBB126_349
; %bb.340:
	v_cmp_gt_i16_e32 vcc_lo, 9, v5
	s_cbranch_vccnz .LBB126_346
; %bb.341:
	v_cmp_lt_i16_e32 vcc_lo, 9, v5
	s_cbranch_vccz .LBB126_343
; %bb.342:
	v_cvt_f64_f32_e32 v[6:7], v2
	v_mov_b32_e32 v8, 0
	s_mov_b32 s16, 0
	s_delay_alu instid0(VALU_DEP_1)
	v_mov_b32_e32 v9, v8
	global_store_b128 v[0:1], v[6:9], off
.LBB126_343:
	s_and_not1_b32 vcc_lo, exec_lo, s16
	s_cbranch_vccnz .LBB126_345
; %bb.344:
	v_mov_b32_e32 v3, 0
	global_store_b64 v[0:1], v[2:3], off
.LBB126_345:
	s_mov_b32 s16, 0
.LBB126_346:
	s_delay_alu instid0(SALU_CYCLE_1)
	s_and_not1_b32 vcc_lo, exec_lo, s16
	s_cbranch_vccnz .LBB126_348
; %bb.347:
	v_cvt_f16_f32_e32 v3, v2
	s_delay_alu instid0(VALU_DEP_1)
	v_and_b32_e32 v3, 0xffff, v3
	global_store_b32 v[0:1], v3, off
.LBB126_348:
	s_mov_b32 s16, 0
.LBB126_349:
	s_delay_alu instid0(SALU_CYCLE_1)
	s_and_not1_b32 vcc_lo, exec_lo, s16
	s_cbranch_vccnz .LBB126_358
; %bb.350:
	v_cmp_gt_i16_e32 vcc_lo, 6, v5
	s_mov_b32 s16, -1
	s_cbranch_vccnz .LBB126_356
; %bb.351:
	v_cmp_lt_i16_e32 vcc_lo, 6, v5
	s_cbranch_vccz .LBB126_353
; %bb.352:
	v_cvt_f64_f32_e32 v[6:7], v2
	s_mov_b32 s16, 0
	global_store_b64 v[0:1], v[6:7], off
.LBB126_353:
	s_and_not1_b32 vcc_lo, exec_lo, s16
	s_cbranch_vccnz .LBB126_355
; %bb.354:
	global_store_b32 v[0:1], v2, off
.LBB126_355:
	s_mov_b32 s16, 0
.LBB126_356:
	s_delay_alu instid0(SALU_CYCLE_1)
	s_and_not1_b32 vcc_lo, exec_lo, s16
	s_cbranch_vccnz .LBB126_358
; %bb.357:
	v_cvt_f16_f32_e32 v3, v2
	global_store_b16 v[0:1], v3, off
.LBB126_358:
	s_mov_b32 s16, 0
.LBB126_359:
	s_delay_alu instid0(SALU_CYCLE_1)
	s_and_not1_b32 vcc_lo, exec_lo, s16
	s_cbranch_vccnz .LBB126_375
; %bb.360:
	v_cmp_gt_i16_e32 vcc_lo, 2, v5
	s_mov_b32 s16, -1
	s_cbranch_vccnz .LBB126_370
; %bb.361:
	v_cmp_gt_i16_e32 vcc_lo, 3, v5
	s_cbranch_vccnz .LBB126_367
; %bb.362:
	v_cmp_lt_i16_e32 vcc_lo, 3, v5
	s_cbranch_vccz .LBB126_364
; %bb.363:
	v_trunc_f32_e32 v3, v2
	s_mov_b32 s16, 0
	s_delay_alu instid0(VALU_DEP_1) | instskip(NEXT) | instid1(VALU_DEP_1)
	v_mul_f32_e64 v6, 0x2f800000, |v3|
	v_floor_f32_e32 v6, v6
	s_delay_alu instid0(VALU_DEP_1) | instskip(SKIP_2) | instid1(VALU_DEP_3)
	v_fma_f32 v7, 0xcf800000, v6, |v3|
	v_ashrrev_i32_e32 v3, 31, v3
	v_cvt_u32_f32_e32 v6, v6
	v_cvt_u32_f32_e32 v7, v7
	s_delay_alu instid0(VALU_DEP_2) | instskip(NEXT) | instid1(VALU_DEP_2)
	v_xor_b32_e32 v8, v6, v3
	v_xor_b32_e32 v7, v7, v3
	s_delay_alu instid0(VALU_DEP_1) | instskip(NEXT) | instid1(VALU_DEP_3)
	v_sub_co_u32 v6, vcc_lo, v7, v3
	v_sub_co_ci_u32_e32 v7, vcc_lo, v8, v3, vcc_lo
	global_store_b64 v[0:1], v[6:7], off
.LBB126_364:
	s_and_not1_b32 vcc_lo, exec_lo, s16
	s_cbranch_vccnz .LBB126_366
; %bb.365:
	v_cvt_i32_f32_e32 v3, v2
	global_store_b32 v[0:1], v3, off
.LBB126_366:
	s_mov_b32 s16, 0
.LBB126_367:
	s_delay_alu instid0(SALU_CYCLE_1)
	s_and_not1_b32 vcc_lo, exec_lo, s16
	s_cbranch_vccnz .LBB126_369
; %bb.368:
	v_cvt_i32_f32_e32 v3, v2
	global_store_b16 v[0:1], v3, off
.LBB126_369:
	s_mov_b32 s16, 0
.LBB126_370:
	s_delay_alu instid0(SALU_CYCLE_1)
	s_and_not1_b32 vcc_lo, exec_lo, s16
	s_cbranch_vccnz .LBB126_375
; %bb.371:
	v_cmp_lt_i16_e32 vcc_lo, 0, v5
	s_mov_b32 s16, -1
	s_cbranch_vccz .LBB126_373
; %bb.372:
	v_cvt_i32_f32_e32 v3, v2
	s_mov_b32 s16, 0
	global_store_b8 v[0:1], v3, off
.LBB126_373:
	s_and_not1_b32 vcc_lo, exec_lo, s16
	s_cbranch_vccnz .LBB126_375
; %bb.374:
	v_trunc_f32_e32 v2, v2
	s_delay_alu instid0(VALU_DEP_1) | instskip(NEXT) | instid1(VALU_DEP_1)
	v_mul_f32_e64 v3, 0x2f800000, |v2|
	v_floor_f32_e32 v3, v3
	s_delay_alu instid0(VALU_DEP_1) | instskip(SKIP_1) | instid1(VALU_DEP_2)
	v_fma_f32 v3, 0xcf800000, v3, |v2|
	v_ashrrev_i32_e32 v2, 31, v2
	v_cvt_u32_f32_e32 v3, v3
	s_delay_alu instid0(VALU_DEP_1) | instskip(NEXT) | instid1(VALU_DEP_1)
	v_xor_b32_e32 v3, v3, v2
	v_sub_nc_u32_e32 v2, v3, v2
	global_store_b8 v[0:1], v2, off
.LBB126_375:
	s_mov_b32 s16, -1
.LBB126_376:
	s_delay_alu instid0(SALU_CYCLE_1)
	s_and_not1_b32 vcc_lo, exec_lo, s16
	s_mov_b32 s18, 0
	s_cbranch_vccnz .LBB126_378
; %bb.377:
	v_add_nc_u32_e32 v4, 0x80, v4
	s_mov_b32 s22, -1
	s_branch .LBB126_379
.LBB126_378:
	s_mov_b32 s22, 0
                                        ; implicit-def: $vgpr4
.LBB126_379:
	s_and_b32 s16, s0, exec_lo
	s_and_b32 s18, s18, exec_lo
	;; [unrolled: 1-line block ×3, first 2 shown]
	s_or_not1_b32 s23, s22, exec_lo
.LBB126_380:
	s_or_b32 exec_lo, exec_lo, s20
	s_mov_b32 s22, 0
	s_mov_b32 s0, 0
                                        ; implicit-def: $vgpr2
                                        ; implicit-def: $vgpr0_vgpr1
                                        ; implicit-def: $vgpr3
	s_and_saveexec_b32 s20, s23
	s_cbranch_execz .LBB126_1242
; %bb.381:
	s_mov_b32 s26, -1
	s_mov_b32 s21, s19
	s_mov_b32 s23, s18
	;; [unrolled: 1-line block ×3, first 2 shown]
	s_mov_b32 s24, exec_lo
	v_cmpx_gt_i32_e64 s17, v4
	s_cbranch_execz .LBB126_768
; %bb.382:
	v_mul_lo_u32 v0, v4, s9
	v_and_b32_e64 v3, 0xff, s14
	s_delay_alu instid0(VALU_DEP_1) | instskip(NEXT) | instid1(VALU_DEP_3)
	v_cmp_gt_i16_e32 vcc_lo, 11, v3
	v_ashrrev_i32_e32 v1, 31, v0
	v_add_co_u32 v0, s0, s6, v0
	s_delay_alu instid0(VALU_DEP_1)
	v_add_co_ci_u32_e64 v1, s0, s7, v1, s0
	s_cbranch_vccnz .LBB126_389
; %bb.383:
	v_cmp_lt_i16_e32 vcc_lo, 25, v3
	s_cbranch_vccz .LBB126_398
; %bb.384:
	v_cmp_lt_i16_e32 vcc_lo, 28, v3
	s_cbranch_vccz .LBB126_400
	;; [unrolled: 3-line block ×4, first 2 shown]
; %bb.387:
	v_cmp_eq_u16_e32 vcc_lo, 46, v3
	s_mov_b32 s22, 0
	s_cbranch_vccz .LBB126_408
; %bb.388:
	global_load_b32 v2, v[0:1], off
	s_mov_b32 s0, -1
	s_mov_b32 s21, 0
	s_waitcnt vmcnt(0)
	v_lshlrev_b32_e32 v2, 16, v2
	s_branch .LBB126_410
.LBB126_389:
	s_mov_b32 s0, 0
	s_mov_b32 s21, s19
                                        ; implicit-def: $vgpr2
	s_cbranch_execnz .LBB126_476
.LBB126_390:
	s_and_not1_b32 vcc_lo, exec_lo, s0
	s_cbranch_vccnz .LBB126_524
.LBB126_391:
	v_mul_lo_u32 v0, v4, s10
	v_and_b32_e64 v3, 0xff, s1
	s_delay_alu instid0(VALU_DEP_1) | instskip(NEXT) | instid1(VALU_DEP_3)
	v_cmp_gt_i16_e32 vcc_lo, 11, v3
	v_ashrrev_i32_e32 v1, 31, v0
	v_add_co_u32 v0, s0, s2, v0
	s_delay_alu instid0(VALU_DEP_1)
	v_add_co_ci_u32_e64 v1, s0, s3, v1, s0
	s_cbranch_vccnz .LBB126_399
; %bb.392:
	v_cmp_lt_i16_e32 vcc_lo, 25, v3
	s_cbranch_vccz .LBB126_401
; %bb.393:
	v_cmp_lt_i16_e32 vcc_lo, 28, v3
	s_cbranch_vccz .LBB126_403
	;; [unrolled: 3-line block ×4, first 2 shown]
; %bb.396:
	v_cmp_eq_u16_e32 vcc_lo, 46, v3
	s_mov_b32 s25, 0
	s_cbranch_vccz .LBB126_527
; %bb.397:
	global_load_b32 v5, v[0:1], off
	s_mov_b32 s23, 0
	s_mov_b32 s0, -1
	s_waitcnt vmcnt(0)
	v_and_b32_e32 v5, 0x7fff7fff, v5
	s_delay_alu instid0(VALU_DEP_1)
	v_cmp_ne_u32_e32 vcc_lo, 0, v5
	s_and_b32 s22, vcc_lo, exec_lo
	s_branch .LBB126_529
.LBB126_398:
	s_mov_b32 s22, -1
	s_mov_b32 s0, 0
	s_mov_b32 s21, s19
                                        ; implicit-def: $vgpr2
	s_branch .LBB126_440
.LBB126_399:
	s_mov_b32 s25, -1
	s_mov_b32 s0, 0
	s_mov_b32 s23, s18
                                        ; implicit-def: $sgpr22
	s_branch .LBB126_592
.LBB126_400:
	s_mov_b32 s22, -1
	s_mov_b32 s0, 0
	s_mov_b32 s21, s19
                                        ; implicit-def: $vgpr2
	s_branch .LBB126_421
.LBB126_401:
	s_mov_b32 s25, -1
	s_mov_b32 s0, 0
	s_mov_b32 s23, s18
                                        ; implicit-def: $sgpr22
	s_branch .LBB126_556
.LBB126_402:
	s_mov_b32 s22, -1
	s_mov_b32 s0, 0
	s_mov_b32 s21, s19
                                        ; implicit-def: $vgpr2
	s_branch .LBB126_416
.LBB126_403:
	s_mov_b32 s25, -1
	s_mov_b32 s0, 0
	s_mov_b32 s23, s18
                                        ; implicit-def: $sgpr22
	s_branch .LBB126_537
.LBB126_404:
	s_mov_b32 s22, -1
	s_mov_b32 s0, 0
	s_mov_b32 s21, s19
	s_branch .LBB126_409
.LBB126_405:
	s_mov_b32 s25, -1
	s_mov_b32 s0, 0
	s_mov_b32 s23, s18
                                        ; implicit-def: $sgpr22
	s_branch .LBB126_532
.LBB126_406:
	s_or_saveexec_b32 s22, s22
                                        ; implicit-def: $sgpr23
	s_delay_alu instid0(SALU_CYCLE_1)
	s_xor_b32 exec_lo, exec_lo, s22
	s_cbranch_execz .LBB126_289
.LBB126_407:
	v_add_f32_e64 v3, 0x46000000, |v2|
	s_and_not1_b32 s18, s18, exec_lo
	s_mov_b32 s23, 0
	s_delay_alu instid0(VALU_DEP_1) | instskip(NEXT) | instid1(VALU_DEP_1)
	v_and_b32_e32 v3, 0xff, v3
	v_cmp_ne_u32_e32 vcc_lo, 0, v3
	s_and_b32 s24, vcc_lo, exec_lo
	s_delay_alu instid0(SALU_CYCLE_1)
	s_or_b32 s18, s18, s24
	s_or_b32 exec_lo, exec_lo, s22
	v_mov_b32_e32 v6, s23
	s_and_saveexec_b32 s22, s18
	s_cbranch_execnz .LBB126_290
	s_branch .LBB126_291
.LBB126_408:
	s_mov_b32 s21, -1
	s_mov_b32 s0, 0
.LBB126_409:
                                        ; implicit-def: $vgpr2
.LBB126_410:
	s_and_b32 vcc_lo, exec_lo, s22
	s_cbranch_vccz .LBB126_415
; %bb.411:
	v_cmp_eq_u16_e32 vcc_lo, 44, v3
	s_cbranch_vccz .LBB126_414
; %bb.412:
	global_load_u8 v2, v[0:1], off
	s_mov_b32 s21, 0
	s_mov_b32 s0, -1
	s_waitcnt vmcnt(0)
	v_lshlrev_b32_e32 v5, 23, v2
	v_cmp_ne_u32_e32 vcc_lo, 0xff, v2
	s_delay_alu instid0(VALU_DEP_2) | instskip(SKIP_1) | instid1(VALU_DEP_2)
	v_cndmask_b32_e32 v5, 0x7f800001, v5, vcc_lo
	v_cmp_ne_u32_e32 vcc_lo, 0, v2
	v_cndmask_b32_e32 v2, 0x400000, v5, vcc_lo
	s_branch .LBB126_415
.LBB126_413:
	s_mov_b32 s25, -1
	s_mov_b32 s0, 0
	s_mov_b32 s23, s18
	s_branch .LBB126_528
.LBB126_414:
	s_mov_b32 s21, -1
                                        ; implicit-def: $vgpr2
.LBB126_415:
	s_mov_b32 s22, 0
.LBB126_416:
	s_delay_alu instid0(SALU_CYCLE_1)
	s_and_b32 vcc_lo, exec_lo, s22
	s_cbranch_vccz .LBB126_420
; %bb.417:
	v_cmp_eq_u16_e32 vcc_lo, 29, v3
	s_cbranch_vccz .LBB126_419
; %bb.418:
	global_load_b64 v[5:6], v[0:1], off
	s_mov_b32 s0, -1
	s_mov_b32 s21, 0
	s_mov_b32 s22, 0
	s_waitcnt vmcnt(0)
	v_clz_i32_u32_e32 v2, v6
	s_delay_alu instid0(VALU_DEP_1) | instskip(NEXT) | instid1(VALU_DEP_1)
	v_min_u32_e32 v2, 32, v2
	v_lshlrev_b64 v[5:6], v2, v[5:6]
	v_sub_nc_u32_e32 v2, 32, v2
	s_delay_alu instid0(VALU_DEP_2) | instskip(NEXT) | instid1(VALU_DEP_1)
	v_min_u32_e32 v5, 1, v5
	v_or_b32_e32 v5, v6, v5
	s_delay_alu instid0(VALU_DEP_1) | instskip(NEXT) | instid1(VALU_DEP_1)
	v_cvt_f32_u32_e32 v5, v5
	v_ldexp_f32 v2, v5, v2
	s_branch .LBB126_421
.LBB126_419:
	s_mov_b32 s21, -1
                                        ; implicit-def: $vgpr2
.LBB126_420:
	s_mov_b32 s22, 0
.LBB126_421:
	s_delay_alu instid0(SALU_CYCLE_1)
	s_and_b32 vcc_lo, exec_lo, s22
	s_cbranch_vccz .LBB126_439
; %bb.422:
	v_cmp_gt_i16_e32 vcc_lo, 27, v3
	s_cbranch_vccnz .LBB126_425
; %bb.423:
	v_cmp_lt_i16_e32 vcc_lo, 27, v3
	s_cbranch_vccz .LBB126_426
; %bb.424:
	global_load_b32 v2, v[0:1], off
	s_mov_b32 s0, 0
	s_waitcnt vmcnt(0)
	v_cvt_f32_u32_e32 v2, v2
	s_branch .LBB126_427
.LBB126_425:
	s_mov_b32 s0, -1
                                        ; implicit-def: $vgpr2
	s_branch .LBB126_430
.LBB126_426:
	s_mov_b32 s0, -1
                                        ; implicit-def: $vgpr2
.LBB126_427:
	s_delay_alu instid0(SALU_CYCLE_1)
	s_and_not1_b32 vcc_lo, exec_lo, s0
	s_cbranch_vccnz .LBB126_429
; %bb.428:
	global_load_u16 v2, v[0:1], off
	s_waitcnt vmcnt(0)
	v_cvt_f32_u32_e32 v2, v2
.LBB126_429:
	s_mov_b32 s0, 0
.LBB126_430:
	s_delay_alu instid0(SALU_CYCLE_1)
	s_and_not1_b32 vcc_lo, exec_lo, s0
	s_cbranch_vccnz .LBB126_438
; %bb.431:
	global_load_u8 v5, v[0:1], off
	s_mov_b32 s0, 0
	s_mov_b32 s23, exec_lo
                                        ; implicit-def: $sgpr22
	s_waitcnt vmcnt(0)
	v_cmpx_lt_i16_e32 0x7f, v5
	s_xor_b32 s23, exec_lo, s23
	s_cbranch_execz .LBB126_452
; %bb.432:
	s_mov_b32 s0, -1
	s_mov_b32 s25, exec_lo
                                        ; implicit-def: $sgpr22
	v_cmpx_eq_u16_e32 0x80, v5
; %bb.433:
	s_mov_b32 s22, 0x7f800001
	s_xor_b32 s0, exec_lo, -1
; %bb.434:
	s_or_b32 exec_lo, exec_lo, s25
	s_delay_alu instid0(SALU_CYCLE_1)
	s_and_b32 s0, s0, exec_lo
	s_or_saveexec_b32 s23, s23
	v_mov_b32_e32 v2, s22
	s_xor_b32 exec_lo, exec_lo, s23
	s_cbranch_execnz .LBB126_453
.LBB126_435:
	s_or_b32 exec_lo, exec_lo, s23
	s_and_saveexec_b32 s22, s0
	s_cbranch_execz .LBB126_437
.LBB126_436:
	v_and_b32_e32 v2, 0xffff, v5
	s_delay_alu instid0(VALU_DEP_1) | instskip(NEXT) | instid1(VALU_DEP_1)
	v_and_b32_e32 v6, 7, v2
	v_clz_i32_u32_e32 v7, v6
	s_delay_alu instid0(VALU_DEP_1) | instskip(NEXT) | instid1(VALU_DEP_1)
	v_min_u32_e32 v7, 32, v7
	v_subrev_nc_u32_e32 v8, 28, v7
	v_sub_nc_u32_e32 v7, 29, v7
	s_delay_alu instid0(VALU_DEP_2) | instskip(SKIP_1) | instid1(VALU_DEP_2)
	v_lshlrev_b32_e32 v8, v8, v2
	v_bfe_u32 v2, v2, 3, 4
	v_and_b32_e32 v8, 7, v8
	s_delay_alu instid0(VALU_DEP_2) | instskip(SKIP_1) | instid1(VALU_DEP_1)
	v_cmp_eq_u32_e32 vcc_lo, 0, v2
	v_dual_cndmask_b32 v2, v2, v7 :: v_dual_lshlrev_b32 v5, 24, v5
	v_dual_cndmask_b32 v6, v6, v8 :: v_dual_and_b32 v5, 0x80000000, v5
	s_delay_alu instid0(VALU_DEP_2) | instskip(NEXT) | instid1(VALU_DEP_2)
	v_lshl_add_u32 v2, v2, 23, 0x3b800000
	v_lshlrev_b32_e32 v6, 20, v6
	s_delay_alu instid0(VALU_DEP_1)
	v_or3_b32 v2, v5, v2, v6
.LBB126_437:
	s_or_b32 exec_lo, exec_lo, s22
.LBB126_438:
	s_mov_b32 s0, -1
.LBB126_439:
	s_mov_b32 s22, 0
.LBB126_440:
	s_delay_alu instid0(SALU_CYCLE_1)
	s_and_b32 vcc_lo, exec_lo, s22
	s_cbranch_vccz .LBB126_475
; %bb.441:
	v_cmp_lt_i16_e32 vcc_lo, 22, v3
	s_cbranch_vccz .LBB126_451
; %bb.442:
	v_cmp_gt_i16_e32 vcc_lo, 24, v3
	s_cbranch_vccnz .LBB126_454
; %bb.443:
	v_cmp_lt_i16_e32 vcc_lo, 24, v3
	s_cbranch_vccz .LBB126_455
; %bb.444:
	global_load_u8 v5, v[0:1], off
	s_mov_b32 s0, 0
	s_mov_b32 s23, exec_lo
                                        ; implicit-def: $sgpr22
	s_waitcnt vmcnt(0)
	v_cmpx_lt_i16_e32 0x7f, v5
	s_xor_b32 s23, exec_lo, s23
	s_cbranch_execz .LBB126_467
; %bb.445:
	s_mov_b32 s0, -1
	s_mov_b32 s25, exec_lo
                                        ; implicit-def: $sgpr22
	v_cmpx_eq_u16_e32 0x80, v5
; %bb.446:
	s_mov_b32 s22, 0x7f800001
	s_xor_b32 s0, exec_lo, -1
; %bb.447:
	s_or_b32 exec_lo, exec_lo, s25
	s_delay_alu instid0(SALU_CYCLE_1)
	s_and_b32 s0, s0, exec_lo
	s_or_saveexec_b32 s23, s23
	v_mov_b32_e32 v2, s22
	s_xor_b32 exec_lo, exec_lo, s23
	s_cbranch_execnz .LBB126_468
.LBB126_448:
	s_or_b32 exec_lo, exec_lo, s23
	s_and_saveexec_b32 s22, s0
	s_cbranch_execz .LBB126_450
.LBB126_449:
	v_and_b32_e32 v2, 0xffff, v5
	s_delay_alu instid0(VALU_DEP_1) | instskip(NEXT) | instid1(VALU_DEP_1)
	v_and_b32_e32 v6, 3, v2
	v_clz_i32_u32_e32 v7, v6
	s_delay_alu instid0(VALU_DEP_1) | instskip(NEXT) | instid1(VALU_DEP_1)
	v_min_u32_e32 v7, 32, v7
	v_subrev_nc_u32_e32 v8, 29, v7
	v_sub_nc_u32_e32 v7, 30, v7
	s_delay_alu instid0(VALU_DEP_2) | instskip(SKIP_1) | instid1(VALU_DEP_2)
	v_lshlrev_b32_e32 v8, v8, v2
	v_bfe_u32 v2, v2, 2, 5
	v_and_b32_e32 v8, 3, v8
	s_delay_alu instid0(VALU_DEP_2) | instskip(SKIP_1) | instid1(VALU_DEP_1)
	v_cmp_eq_u32_e32 vcc_lo, 0, v2
	v_dual_cndmask_b32 v2, v2, v7 :: v_dual_lshlrev_b32 v5, 24, v5
	v_dual_cndmask_b32 v6, v6, v8 :: v_dual_and_b32 v5, 0x80000000, v5
	s_delay_alu instid0(VALU_DEP_2) | instskip(NEXT) | instid1(VALU_DEP_2)
	v_lshl_add_u32 v2, v2, 23, 0x37800000
	v_lshlrev_b32_e32 v6, 21, v6
	s_delay_alu instid0(VALU_DEP_1)
	v_or3_b32 v2, v5, v2, v6
.LBB126_450:
	s_or_b32 exec_lo, exec_lo, s22
	s_mov_b32 s0, 0
	s_branch .LBB126_456
.LBB126_451:
	s_mov_b32 s22, -1
                                        ; implicit-def: $vgpr2
	s_branch .LBB126_462
.LBB126_452:
	s_or_saveexec_b32 s23, s23
	v_mov_b32_e32 v2, s22
	s_xor_b32 exec_lo, exec_lo, s23
	s_cbranch_execz .LBB126_435
.LBB126_453:
	v_cmp_ne_u16_e32 vcc_lo, 0, v5
	v_mov_b32_e32 v2, 0
	s_and_not1_b32 s0, s0, exec_lo
	s_and_b32 s22, vcc_lo, exec_lo
	s_delay_alu instid0(SALU_CYCLE_1)
	s_or_b32 s0, s0, s22
	s_or_b32 exec_lo, exec_lo, s23
	s_and_saveexec_b32 s22, s0
	s_cbranch_execnz .LBB126_436
	s_branch .LBB126_437
.LBB126_454:
	s_mov_b32 s0, -1
                                        ; implicit-def: $vgpr2
	s_branch .LBB126_459
.LBB126_455:
	s_mov_b32 s0, -1
                                        ; implicit-def: $vgpr2
.LBB126_456:
	s_delay_alu instid0(SALU_CYCLE_1)
	s_and_b32 vcc_lo, exec_lo, s0
	s_cbranch_vccz .LBB126_458
; %bb.457:
	global_load_u8 v2, v[0:1], off
	s_waitcnt vmcnt(0)
	v_lshlrev_b32_e32 v2, 24, v2
	s_delay_alu instid0(VALU_DEP_1) | instskip(NEXT) | instid1(VALU_DEP_1)
	v_and_b32_e32 v5, 0x7f000000, v2
	v_clz_i32_u32_e32 v6, v5
	v_cmp_ne_u32_e32 vcc_lo, 0, v5
	v_add_nc_u32_e32 v8, 0x1000000, v5
	s_delay_alu instid0(VALU_DEP_3) | instskip(NEXT) | instid1(VALU_DEP_1)
	v_min_u32_e32 v6, 32, v6
	v_sub_nc_u32_e64 v6, v6, 4 clamp
	s_delay_alu instid0(VALU_DEP_1) | instskip(SKIP_1) | instid1(VALU_DEP_2)
	v_lshlrev_b32_e32 v7, v6, v5
	v_lshlrev_b32_e32 v6, 23, v6
	v_lshrrev_b32_e32 v7, 4, v7
	s_delay_alu instid0(VALU_DEP_1) | instskip(SKIP_1) | instid1(VALU_DEP_2)
	v_sub_nc_u32_e32 v6, v7, v6
	v_ashrrev_i32_e32 v7, 8, v8
	v_add_nc_u32_e32 v6, 0x3c000000, v6
	s_delay_alu instid0(VALU_DEP_1) | instskip(NEXT) | instid1(VALU_DEP_1)
	v_and_or_b32 v6, 0x7f800000, v7, v6
	v_cndmask_b32_e32 v5, 0, v6, vcc_lo
	s_delay_alu instid0(VALU_DEP_1)
	v_and_or_b32 v2, 0x80000000, v2, v5
.LBB126_458:
	s_mov_b32 s0, 0
.LBB126_459:
	s_delay_alu instid0(SALU_CYCLE_1)
	s_and_not1_b32 vcc_lo, exec_lo, s0
	s_cbranch_vccnz .LBB126_461
; %bb.460:
	global_load_u8 v2, v[0:1], off
	s_waitcnt vmcnt(0)
	v_lshlrev_b32_e32 v5, 25, v2
	v_lshlrev_b16 v2, 8, v2
	s_delay_alu instid0(VALU_DEP_2) | instskip(NEXT) | instid1(VALU_DEP_2)
	v_lshrrev_b32_e32 v6, 4, v5
	v_and_or_b32 v7, 0x7f00, v2, 0.5
	v_cmp_gt_u32_e32 vcc_lo, 0x8000000, v5
	v_bfe_i32 v2, v2, 0, 16
	s_delay_alu instid0(VALU_DEP_4) | instskip(NEXT) | instid1(VALU_DEP_1)
	v_or_b32_e32 v6, 0x70000000, v6
	v_dual_add_f32 v7, -0.5, v7 :: v_dual_mul_f32 v6, 0x7800000, v6
	s_delay_alu instid0(VALU_DEP_1) | instskip(NEXT) | instid1(VALU_DEP_1)
	v_cndmask_b32_e32 v5, v6, v7, vcc_lo
	v_and_or_b32 v2, 0x80000000, v2, v5
.LBB126_461:
	s_mov_b32 s22, 0
	s_mov_b32 s0, -1
.LBB126_462:
	s_and_not1_b32 vcc_lo, exec_lo, s22
	s_cbranch_vccnz .LBB126_475
; %bb.463:
	v_cmp_lt_i16_e32 vcc_lo, 14, v3
	s_cbranch_vccz .LBB126_466
; %bb.464:
	v_cmp_eq_u16_e32 vcc_lo, 15, v3
	s_cbranch_vccz .LBB126_469
; %bb.465:
	global_load_u16 v2, v[0:1], off
	s_mov_b32 s0, -1
	s_mov_b32 s21, 0
	s_waitcnt vmcnt(0)
	v_lshlrev_b32_e32 v2, 16, v2
	s_branch .LBB126_470
.LBB126_466:
	s_mov_b32 s22, -1
                                        ; implicit-def: $vgpr2
	s_branch .LBB126_471
.LBB126_467:
	s_or_saveexec_b32 s23, s23
	v_mov_b32_e32 v2, s22
	s_xor_b32 exec_lo, exec_lo, s23
	s_cbranch_execz .LBB126_448
.LBB126_468:
	v_cmp_ne_u16_e32 vcc_lo, 0, v5
	v_mov_b32_e32 v2, 0
	s_and_not1_b32 s0, s0, exec_lo
	s_and_b32 s22, vcc_lo, exec_lo
	s_delay_alu instid0(SALU_CYCLE_1)
	s_or_b32 s0, s0, s22
	s_or_b32 exec_lo, exec_lo, s23
	s_and_saveexec_b32 s22, s0
	s_cbranch_execnz .LBB126_449
	s_branch .LBB126_450
.LBB126_469:
	s_mov_b32 s21, -1
                                        ; implicit-def: $vgpr2
.LBB126_470:
	s_mov_b32 s22, 0
.LBB126_471:
	s_delay_alu instid0(SALU_CYCLE_1)
	s_and_b32 vcc_lo, exec_lo, s22
	s_cbranch_vccz .LBB126_475
; %bb.472:
	v_cmp_eq_u16_e32 vcc_lo, 11, v3
	s_cbranch_vccz .LBB126_474
; %bb.473:
	global_load_u8 v2, v[0:1], off
	s_mov_b32 s21, 0
	s_mov_b32 s0, -1
	s_waitcnt vmcnt(0)
	v_cmp_ne_u16_e32 vcc_lo, 0, v2
	v_cndmask_b32_e64 v2, 0, 1.0, vcc_lo
	s_branch .LBB126_475
.LBB126_474:
	s_mov_b32 s21, -1
                                        ; implicit-def: $vgpr2
.LBB126_475:
	s_branch .LBB126_390
.LBB126_476:
	v_cmp_gt_i16_e32 vcc_lo, 5, v3
	s_cbranch_vccnz .LBB126_481
; %bb.477:
	v_cmp_gt_i16_e32 vcc_lo, 8, v3
	s_cbranch_vccnz .LBB126_482
; %bb.478:
	v_cmp_gt_i16_e32 vcc_lo, 9, v3
	s_cbranch_vccnz .LBB126_483
; %bb.479:
	v_cmp_lt_i16_e32 vcc_lo, 9, v3
	s_cbranch_vccz .LBB126_484
; %bb.480:
	global_load_b64 v[5:6], v[0:1], off
	s_mov_b32 s0, 0
	s_waitcnt vmcnt(0)
	v_cvt_f32_f64_e32 v2, v[5:6]
	s_branch .LBB126_485
.LBB126_481:
	s_mov_b32 s0, -1
                                        ; implicit-def: $vgpr2
	s_branch .LBB126_503
.LBB126_482:
	s_mov_b32 s0, -1
                                        ; implicit-def: $vgpr2
	s_branch .LBB126_491
.LBB126_483:
	s_mov_b32 s0, -1
                                        ; implicit-def: $vgpr2
	s_branch .LBB126_488
.LBB126_484:
	s_mov_b32 s0, -1
                                        ; implicit-def: $vgpr2
.LBB126_485:
	s_delay_alu instid0(SALU_CYCLE_1)
	s_and_not1_b32 vcc_lo, exec_lo, s0
	s_cbranch_vccnz .LBB126_487
; %bb.486:
	global_load_b32 v2, v[0:1], off
.LBB126_487:
	s_mov_b32 s0, 0
.LBB126_488:
	s_delay_alu instid0(SALU_CYCLE_1)
	s_and_not1_b32 vcc_lo, exec_lo, s0
	s_cbranch_vccnz .LBB126_490
; %bb.489:
	global_load_b32 v2, v[0:1], off
	s_waitcnt vmcnt(0)
	v_cvt_f32_f16_e32 v2, v2
.LBB126_490:
	s_mov_b32 s0, 0
.LBB126_491:
	s_delay_alu instid0(SALU_CYCLE_1)
	s_and_not1_b32 vcc_lo, exec_lo, s0
	s_cbranch_vccnz .LBB126_502
; %bb.492:
	v_cmp_gt_i16_e32 vcc_lo, 6, v3
	s_cbranch_vccnz .LBB126_495
; %bb.493:
	v_cmp_lt_i16_e32 vcc_lo, 6, v3
	s_cbranch_vccz .LBB126_496
; %bb.494:
	global_load_b64 v[5:6], v[0:1], off
	s_mov_b32 s0, 0
	s_waitcnt vmcnt(0)
	v_cvt_f32_f64_e32 v2, v[5:6]
	s_branch .LBB126_497
.LBB126_495:
	s_mov_b32 s0, -1
                                        ; implicit-def: $vgpr2
	s_branch .LBB126_500
.LBB126_496:
	s_mov_b32 s0, -1
                                        ; implicit-def: $vgpr2
.LBB126_497:
	s_delay_alu instid0(SALU_CYCLE_1)
	s_and_not1_b32 vcc_lo, exec_lo, s0
	s_cbranch_vccnz .LBB126_499
; %bb.498:
	global_load_b32 v2, v[0:1], off
.LBB126_499:
	s_mov_b32 s0, 0
.LBB126_500:
	s_delay_alu instid0(SALU_CYCLE_1)
	s_and_not1_b32 vcc_lo, exec_lo, s0
	s_cbranch_vccnz .LBB126_502
; %bb.501:
	global_load_u16 v2, v[0:1], off
	s_waitcnt vmcnt(0)
	v_cvt_f32_f16_e32 v2, v2
.LBB126_502:
	s_mov_b32 s0, 0
.LBB126_503:
	s_delay_alu instid0(SALU_CYCLE_1)
	s_and_not1_b32 vcc_lo, exec_lo, s0
	s_cbranch_vccnz .LBB126_523
; %bb.504:
	v_cmp_gt_i16_e32 vcc_lo, 2, v3
	s_cbranch_vccnz .LBB126_508
; %bb.505:
	v_cmp_gt_i16_e32 vcc_lo, 3, v3
	s_cbranch_vccnz .LBB126_509
; %bb.506:
	v_cmp_lt_i16_e32 vcc_lo, 3, v3
	s_cbranch_vccz .LBB126_510
; %bb.507:
	global_load_b64 v[5:6], v[0:1], off
	s_mov_b32 s0, 0
	s_waitcnt vmcnt(0)
	v_xor_b32_e32 v2, v5, v6
	v_cls_i32_e32 v7, v6
	s_delay_alu instid0(VALU_DEP_2) | instskip(NEXT) | instid1(VALU_DEP_2)
	v_ashrrev_i32_e32 v2, 31, v2
	v_add_nc_u32_e32 v7, -1, v7
	s_delay_alu instid0(VALU_DEP_2) | instskip(NEXT) | instid1(VALU_DEP_1)
	v_add_nc_u32_e32 v2, 32, v2
	v_min_u32_e32 v2, v7, v2
	s_delay_alu instid0(VALU_DEP_1) | instskip(SKIP_1) | instid1(VALU_DEP_2)
	v_lshlrev_b64 v[5:6], v2, v[5:6]
	v_sub_nc_u32_e32 v2, 32, v2
	v_min_u32_e32 v5, 1, v5
	s_delay_alu instid0(VALU_DEP_1) | instskip(NEXT) | instid1(VALU_DEP_1)
	v_or_b32_e32 v5, v6, v5
	v_cvt_f32_i32_e32 v5, v5
	s_delay_alu instid0(VALU_DEP_1)
	v_ldexp_f32 v2, v5, v2
	s_branch .LBB126_511
.LBB126_508:
	s_mov_b32 s0, -1
                                        ; implicit-def: $vgpr2
	s_branch .LBB126_517
.LBB126_509:
	s_mov_b32 s0, -1
                                        ; implicit-def: $vgpr2
	s_branch .LBB126_514
.LBB126_510:
	s_mov_b32 s0, -1
                                        ; implicit-def: $vgpr2
.LBB126_511:
	s_delay_alu instid0(SALU_CYCLE_1)
	s_and_not1_b32 vcc_lo, exec_lo, s0
	s_cbranch_vccnz .LBB126_513
; %bb.512:
	global_load_b32 v2, v[0:1], off
	s_waitcnt vmcnt(0)
	v_cvt_f32_i32_e32 v2, v2
.LBB126_513:
	s_mov_b32 s0, 0
.LBB126_514:
	s_delay_alu instid0(SALU_CYCLE_1)
	s_and_not1_b32 vcc_lo, exec_lo, s0
	s_cbranch_vccnz .LBB126_516
; %bb.515:
	global_load_i16 v2, v[0:1], off
	s_waitcnt vmcnt(0)
	v_cvt_f32_i32_e32 v2, v2
.LBB126_516:
	s_mov_b32 s0, 0
.LBB126_517:
	s_delay_alu instid0(SALU_CYCLE_1)
	s_and_not1_b32 vcc_lo, exec_lo, s0
	s_cbranch_vccnz .LBB126_523
; %bb.518:
	v_cmp_lt_i16_e32 vcc_lo, 0, v3
	s_mov_b32 s0, 0
	s_cbranch_vccz .LBB126_520
; %bb.519:
	global_load_i8 v2, v[0:1], off
	s_waitcnt vmcnt(0)
	v_cvt_f32_i32_e32 v2, v2
	s_branch .LBB126_521
.LBB126_520:
	s_mov_b32 s0, -1
                                        ; implicit-def: $vgpr2
.LBB126_521:
	s_delay_alu instid0(SALU_CYCLE_1)
	s_and_not1_b32 vcc_lo, exec_lo, s0
	s_cbranch_vccnz .LBB126_523
; %bb.522:
	global_load_u8 v0, v[0:1], off
	s_waitcnt vmcnt(0)
	v_cvt_f32_ubyte0_e32 v2, v0
.LBB126_523:
	s_branch .LBB126_391
.LBB126_524:
	s_mov_b32 s25, 0
	s_mov_b32 s0, s16
	;; [unrolled: 1-line block ×3, first 2 shown]
	s_branch .LBB126_766
.LBB126_525:
	s_or_saveexec_b32 s22, s22
                                        ; implicit-def: $sgpr23
	s_delay_alu instid0(SALU_CYCLE_1)
	s_xor_b32 exec_lo, exec_lo, s22
	s_cbranch_execz .LBB126_302
.LBB126_526:
	v_add_f32_e64 v3, 0x42800000, |v2|
	s_and_not1_b32 s18, s18, exec_lo
	s_mov_b32 s23, 0
	s_delay_alu instid0(VALU_DEP_1) | instskip(NEXT) | instid1(VALU_DEP_1)
	v_and_b32_e32 v3, 0xff, v3
	v_cmp_ne_u32_e32 vcc_lo, 0, v3
	s_and_b32 s24, vcc_lo, exec_lo
	s_delay_alu instid0(SALU_CYCLE_1)
	s_or_b32 s18, s18, s24
	s_or_b32 exec_lo, exec_lo, s22
	v_mov_b32_e32 v6, s23
	s_and_saveexec_b32 s22, s18
	s_cbranch_execnz .LBB126_303
	s_branch .LBB126_304
.LBB126_527:
	s_mov_b32 s23, -1
	s_mov_b32 s0, 0
.LBB126_528:
                                        ; implicit-def: $sgpr22
.LBB126_529:
	s_and_b32 vcc_lo, exec_lo, s25
	s_cbranch_vccz .LBB126_531
; %bb.530:
	v_cmp_eq_u16_e64 s0, 44, v3
	s_or_b32 s22, s22, exec_lo
	s_or_b32 s23, s23, exec_lo
.LBB126_531:
	s_mov_b32 s25, 0
.LBB126_532:
	s_delay_alu instid0(SALU_CYCLE_1)
	s_and_b32 vcc_lo, exec_lo, s25
	s_cbranch_vccz .LBB126_536
; %bb.533:
	v_cmp_eq_u16_e32 vcc_lo, 29, v3
	s_cbranch_vccz .LBB126_535
; %bb.534:
	global_load_b64 v[5:6], v[0:1], off
	s_mov_b32 s0, -1
	s_mov_b32 s23, 0
	s_mov_b32 s25, 0
	s_waitcnt vmcnt(0)
	v_cmp_ne_u64_e32 vcc_lo, 0, v[5:6]
	s_and_b32 s22, vcc_lo, exec_lo
	s_branch .LBB126_537
.LBB126_535:
	s_mov_b32 s23, -1
                                        ; implicit-def: $sgpr22
.LBB126_536:
	s_mov_b32 s25, 0
.LBB126_537:
	s_delay_alu instid0(SALU_CYCLE_1)
	s_and_b32 vcc_lo, exec_lo, s25
	s_cbranch_vccz .LBB126_555
; %bb.538:
	v_cmp_gt_i16_e32 vcc_lo, 27, v3
	s_cbranch_vccnz .LBB126_541
; %bb.539:
	v_cmp_lt_i16_e32 vcc_lo, 27, v3
	s_cbranch_vccz .LBB126_542
; %bb.540:
	global_load_b32 v5, v[0:1], off
	s_mov_b32 s0, 0
	s_waitcnt vmcnt(0)
	v_cmp_ne_u32_e32 vcc_lo, 0, v5
	s_and_b32 s22, vcc_lo, exec_lo
	s_branch .LBB126_543
.LBB126_541:
	s_mov_b32 s0, -1
                                        ; implicit-def: $sgpr22
	s_branch .LBB126_546
.LBB126_542:
	s_mov_b32 s0, -1
                                        ; implicit-def: $sgpr22
.LBB126_543:
	s_delay_alu instid0(SALU_CYCLE_1)
	s_and_not1_b32 vcc_lo, exec_lo, s0
	s_cbranch_vccnz .LBB126_545
; %bb.544:
	global_load_u16 v5, v[0:1], off
	s_and_not1_b32 s0, s22, exec_lo
	s_waitcnt vmcnt(0)
	v_cmp_ne_u16_e32 vcc_lo, 0, v5
	s_and_b32 s22, vcc_lo, exec_lo
	s_delay_alu instid0(SALU_CYCLE_1)
	s_or_b32 s22, s0, s22
.LBB126_545:
	s_mov_b32 s0, 0
.LBB126_546:
	s_delay_alu instid0(SALU_CYCLE_1)
	s_and_not1_b32 vcc_lo, exec_lo, s0
	s_cbranch_vccnz .LBB126_554
; %bb.547:
	global_load_u8 v5, v[0:1], off
	s_mov_b32 s0, 0
	s_mov_b32 s25, exec_lo
                                        ; implicit-def: $sgpr22
	s_waitcnt vmcnt(0)
	v_cmpx_lt_i16_e32 0x7f, v5
	s_xor_b32 s25, exec_lo, s25
	s_cbranch_execz .LBB126_568
; %bb.548:
	s_mov_b32 s0, -1
	s_mov_b32 s26, exec_lo
                                        ; implicit-def: $sgpr22
	v_cmpx_eq_u16_e32 0x80, v5
; %bb.549:
	s_mov_b32 s22, -1
	s_xor_b32 s0, exec_lo, -1
; %bb.550:
	s_or_b32 exec_lo, exec_lo, s26
	s_delay_alu instid0(SALU_CYCLE_1)
	s_and_b32 s0, s0, exec_lo
	s_and_not1_saveexec_b32 s25, s25
	s_cbranch_execnz .LBB126_569
.LBB126_551:
	s_or_b32 exec_lo, exec_lo, s25
	s_and_saveexec_b32 s25, s0
	s_cbranch_execz .LBB126_553
.LBB126_552:
	v_and_b32_e32 v5, 0xffff, v5
	s_and_not1_b32 s0, s22, exec_lo
	s_delay_alu instid0(VALU_DEP_1) | instskip(NEXT) | instid1(VALU_DEP_1)
	v_and_b32_e32 v6, 7, v5
	v_clz_i32_u32_e32 v7, v6
	s_delay_alu instid0(VALU_DEP_1) | instskip(NEXT) | instid1(VALU_DEP_1)
	v_min_u32_e32 v7, 32, v7
	v_subrev_nc_u32_e32 v8, 28, v7
	v_sub_nc_u32_e32 v7, 29, v7
	s_delay_alu instid0(VALU_DEP_2) | instskip(SKIP_1) | instid1(VALU_DEP_2)
	v_lshlrev_b32_e32 v8, v8, v5
	v_bfe_u32 v5, v5, 3, 4
	v_and_b32_e32 v8, 7, v8
	s_delay_alu instid0(VALU_DEP_2) | instskip(NEXT) | instid1(VALU_DEP_2)
	v_cmp_eq_u32_e32 vcc_lo, 0, v5
	v_dual_cndmask_b32 v5, v5, v7 :: v_dual_cndmask_b32 v6, v6, v8
	s_delay_alu instid0(VALU_DEP_1) | instskip(NEXT) | instid1(VALU_DEP_2)
	v_lshl_add_u32 v5, v5, 23, 0x3b800000
	v_lshlrev_b32_e32 v6, 20, v6
	s_delay_alu instid0(VALU_DEP_1) | instskip(NEXT) | instid1(VALU_DEP_1)
	v_and_or_b32 v5, 0x7f800000, v5, v6
	v_cmp_ne_u32_e32 vcc_lo, 0, v5
	s_and_b32 s22, vcc_lo, exec_lo
	s_delay_alu instid0(SALU_CYCLE_1)
	s_or_b32 s22, s0, s22
.LBB126_553:
	s_or_b32 exec_lo, exec_lo, s25
.LBB126_554:
	s_mov_b32 s0, -1
.LBB126_555:
	s_mov_b32 s25, 0
.LBB126_556:
	s_delay_alu instid0(SALU_CYCLE_1)
	s_and_b32 vcc_lo, exec_lo, s25
	s_cbranch_vccz .LBB126_591
; %bb.557:
	v_cmp_lt_i16_e32 vcc_lo, 22, v3
	s_cbranch_vccz .LBB126_567
; %bb.558:
	v_cmp_gt_i16_e32 vcc_lo, 24, v3
	s_cbranch_vccnz .LBB126_570
; %bb.559:
	v_cmp_lt_i16_e32 vcc_lo, 24, v3
	s_cbranch_vccz .LBB126_571
; %bb.560:
	global_load_u8 v5, v[0:1], off
	s_mov_b32 s0, 0
	s_mov_b32 s25, exec_lo
                                        ; implicit-def: $sgpr22
	s_waitcnt vmcnt(0)
	v_cmpx_lt_i16_e32 0x7f, v5
	s_xor_b32 s25, exec_lo, s25
	s_cbranch_execz .LBB126_583
; %bb.561:
	s_mov_b32 s0, -1
	s_mov_b32 s26, exec_lo
                                        ; implicit-def: $sgpr22
	v_cmpx_eq_u16_e32 0x80, v5
; %bb.562:
	s_mov_b32 s22, -1
	s_xor_b32 s0, exec_lo, -1
; %bb.563:
	s_or_b32 exec_lo, exec_lo, s26
	s_delay_alu instid0(SALU_CYCLE_1)
	s_and_b32 s0, s0, exec_lo
	s_and_not1_saveexec_b32 s25, s25
	s_cbranch_execnz .LBB126_584
.LBB126_564:
	s_or_b32 exec_lo, exec_lo, s25
	s_and_saveexec_b32 s25, s0
	s_cbranch_execz .LBB126_566
.LBB126_565:
	v_and_b32_e32 v5, 0xffff, v5
	s_and_not1_b32 s0, s22, exec_lo
	s_delay_alu instid0(VALU_DEP_1) | instskip(NEXT) | instid1(VALU_DEP_1)
	v_and_b32_e32 v6, 3, v5
	v_clz_i32_u32_e32 v7, v6
	s_delay_alu instid0(VALU_DEP_1) | instskip(NEXT) | instid1(VALU_DEP_1)
	v_min_u32_e32 v7, 32, v7
	v_subrev_nc_u32_e32 v8, 29, v7
	v_sub_nc_u32_e32 v7, 30, v7
	s_delay_alu instid0(VALU_DEP_2) | instskip(SKIP_1) | instid1(VALU_DEP_2)
	v_lshlrev_b32_e32 v8, v8, v5
	v_bfe_u32 v5, v5, 2, 5
	v_and_b32_e32 v8, 3, v8
	s_delay_alu instid0(VALU_DEP_2) | instskip(NEXT) | instid1(VALU_DEP_2)
	v_cmp_eq_u32_e32 vcc_lo, 0, v5
	v_dual_cndmask_b32 v5, v5, v7 :: v_dual_cndmask_b32 v6, v6, v8
	s_delay_alu instid0(VALU_DEP_1) | instskip(NEXT) | instid1(VALU_DEP_2)
	v_lshl_add_u32 v5, v5, 23, 0x37800000
	v_lshlrev_b32_e32 v6, 21, v6
	s_delay_alu instid0(VALU_DEP_1) | instskip(NEXT) | instid1(VALU_DEP_1)
	v_and_or_b32 v5, 0x7f800000, v5, v6
	v_cmp_ne_u32_e32 vcc_lo, 0, v5
	s_and_b32 s22, vcc_lo, exec_lo
	s_delay_alu instid0(SALU_CYCLE_1)
	s_or_b32 s22, s0, s22
.LBB126_566:
	s_or_b32 exec_lo, exec_lo, s25
	s_mov_b32 s0, 0
	s_branch .LBB126_572
.LBB126_567:
	s_mov_b32 s25, -1
                                        ; implicit-def: $sgpr22
	s_branch .LBB126_578
.LBB126_568:
	s_and_not1_saveexec_b32 s25, s25
	s_cbranch_execz .LBB126_551
.LBB126_569:
	v_cmp_ne_u16_e32 vcc_lo, 0, v5
	s_and_not1_b32 s0, s0, exec_lo
	s_and_not1_b32 s22, s22, exec_lo
	s_and_b32 s26, vcc_lo, exec_lo
	s_delay_alu instid0(SALU_CYCLE_1)
	s_or_b32 s0, s0, s26
	s_or_b32 exec_lo, exec_lo, s25
	s_and_saveexec_b32 s25, s0
	s_cbranch_execnz .LBB126_552
	s_branch .LBB126_553
.LBB126_570:
	s_mov_b32 s0, -1
                                        ; implicit-def: $sgpr22
	s_branch .LBB126_575
.LBB126_571:
	s_mov_b32 s0, -1
                                        ; implicit-def: $sgpr22
.LBB126_572:
	s_delay_alu instid0(SALU_CYCLE_1)
	s_and_b32 vcc_lo, exec_lo, s0
	s_cbranch_vccz .LBB126_574
; %bb.573:
	global_load_u8 v5, v[0:1], off
	s_and_not1_b32 s22, s22, exec_lo
	s_waitcnt vmcnt(0)
	v_lshlrev_b32_e32 v5, 24, v5
	s_delay_alu instid0(VALU_DEP_1) | instskip(NEXT) | instid1(VALU_DEP_1)
	v_and_b32_e32 v5, 0x7f000000, v5
	v_clz_i32_u32_e32 v6, v5
	v_add_nc_u32_e32 v8, 0x1000000, v5
	v_cmp_ne_u32_e32 vcc_lo, 0, v5
	s_delay_alu instid0(VALU_DEP_3) | instskip(NEXT) | instid1(VALU_DEP_3)
	v_min_u32_e32 v6, 32, v6
	v_ashrrev_i32_e32 v8, 8, v8
	s_delay_alu instid0(VALU_DEP_2) | instskip(NEXT) | instid1(VALU_DEP_1)
	v_sub_nc_u32_e64 v6, v6, 4 clamp
	v_lshlrev_b32_e32 v7, v6, v5
	v_lshlrev_b32_e32 v6, 23, v6
	s_delay_alu instid0(VALU_DEP_2) | instskip(NEXT) | instid1(VALU_DEP_1)
	v_lshrrev_b32_e32 v7, 4, v7
	v_sub_nc_u32_e32 v6, v7, v6
	v_and_b32_e32 v7, 0x7f800000, v8
	s_delay_alu instid0(VALU_DEP_2) | instskip(NEXT) | instid1(VALU_DEP_1)
	v_add_nc_u32_e32 v6, 0x3c000000, v6
	v_and_or_b32 v6, 0x7ff00000, v6, v7
	s_delay_alu instid0(VALU_DEP_1) | instskip(NEXT) | instid1(VALU_DEP_1)
	v_cmp_ne_u32_e64 s0, 0, v6
	s_and_b32 s0, vcc_lo, s0
	s_delay_alu instid0(SALU_CYCLE_1) | instskip(NEXT) | instid1(SALU_CYCLE_1)
	s_and_b32 s0, s0, exec_lo
	s_or_b32 s22, s22, s0
.LBB126_574:
	s_mov_b32 s0, 0
.LBB126_575:
	s_delay_alu instid0(SALU_CYCLE_1)
	s_and_not1_b32 vcc_lo, exec_lo, s0
	s_cbranch_vccnz .LBB126_577
; %bb.576:
	global_load_u8 v5, v[0:1], off
	s_and_not1_b32 s0, s22, exec_lo
	s_waitcnt vmcnt(0)
	v_lshlrev_b32_e32 v6, 25, v5
	v_lshlrev_b32_e32 v5, 8, v5
	s_delay_alu instid0(VALU_DEP_2) | instskip(NEXT) | instid1(VALU_DEP_2)
	v_lshrrev_b32_e32 v7, 4, v6
	v_and_or_b32 v5, 0x7f00, v5, 0.5
	s_delay_alu instid0(VALU_DEP_2) | instskip(NEXT) | instid1(VALU_DEP_2)
	v_or_b32_e32 v7, 0x70000000, v7
	v_add_f32_e32 v5, -0.5, v5
	s_delay_alu instid0(VALU_DEP_2) | instskip(SKIP_1) | instid1(VALU_DEP_2)
	v_mul_f32_e32 v7, 0x7800000, v7
	v_cmp_gt_u32_e32 vcc_lo, 0x8000000, v6
	v_cndmask_b32_e32 v5, v7, v5, vcc_lo
	s_delay_alu instid0(VALU_DEP_1) | instskip(SKIP_1) | instid1(SALU_CYCLE_1)
	v_cmp_neq_f32_e32 vcc_lo, 0, v5
	s_and_b32 s22, vcc_lo, exec_lo
	s_or_b32 s22, s0, s22
.LBB126_577:
	s_mov_b32 s25, 0
	s_mov_b32 s0, -1
.LBB126_578:
	s_and_not1_b32 vcc_lo, exec_lo, s25
	s_cbranch_vccnz .LBB126_591
; %bb.579:
	v_cmp_lt_i16_e32 vcc_lo, 14, v3
	s_cbranch_vccz .LBB126_582
; %bb.580:
	v_cmp_eq_u16_e32 vcc_lo, 15, v3
	s_cbranch_vccz .LBB126_585
; %bb.581:
	global_load_u16 v5, v[0:1], off
	s_mov_b32 s23, 0
	s_mov_b32 s0, -1
	s_waitcnt vmcnt(0)
	v_and_b32_e32 v5, 0x7fff, v5
	s_delay_alu instid0(VALU_DEP_1)
	v_cmp_ne_u16_e32 vcc_lo, 0, v5
	s_and_b32 s22, vcc_lo, exec_lo
	s_branch .LBB126_586
.LBB126_582:
	s_mov_b32 s25, -1
                                        ; implicit-def: $sgpr22
	s_branch .LBB126_587
.LBB126_583:
	s_and_not1_saveexec_b32 s25, s25
	s_cbranch_execz .LBB126_564
.LBB126_584:
	v_cmp_ne_u16_e32 vcc_lo, 0, v5
	s_and_not1_b32 s0, s0, exec_lo
	s_and_not1_b32 s22, s22, exec_lo
	s_and_b32 s26, vcc_lo, exec_lo
	s_delay_alu instid0(SALU_CYCLE_1)
	s_or_b32 s0, s0, s26
	s_or_b32 exec_lo, exec_lo, s25
	s_and_saveexec_b32 s25, s0
	s_cbranch_execnz .LBB126_565
	s_branch .LBB126_566
.LBB126_585:
	s_mov_b32 s23, -1
                                        ; implicit-def: $sgpr22
.LBB126_586:
	s_mov_b32 s25, 0
.LBB126_587:
	s_delay_alu instid0(SALU_CYCLE_1)
	s_and_b32 vcc_lo, exec_lo, s25
	s_cbranch_vccz .LBB126_591
; %bb.588:
	v_cmp_eq_u16_e32 vcc_lo, 11, v3
	s_cbranch_vccz .LBB126_590
; %bb.589:
	global_load_u8 v5, v[0:1], off
	s_mov_b32 s23, 0
	s_mov_b32 s0, -1
	s_waitcnt vmcnt(0)
	v_cmp_ne_u16_e32 vcc_lo, 0, v5
	s_and_b32 s22, vcc_lo, exec_lo
	s_branch .LBB126_591
.LBB126_590:
	s_mov_b32 s23, -1
                                        ; implicit-def: $sgpr22
.LBB126_591:
	s_mov_b32 s25, 0
.LBB126_592:
	s_delay_alu instid0(SALU_CYCLE_1)
	s_and_b32 vcc_lo, exec_lo, s25
	s_cbranch_vccz .LBB126_641
; %bb.593:
	v_cmp_gt_i16_e32 vcc_lo, 5, v3
	s_cbranch_vccnz .LBB126_598
; %bb.594:
	v_cmp_gt_i16_e32 vcc_lo, 8, v3
	s_cbranch_vccnz .LBB126_599
	;; [unrolled: 3-line block ×3, first 2 shown]
; %bb.596:
	v_cmp_lt_i16_e32 vcc_lo, 9, v3
	s_cbranch_vccz .LBB126_601
; %bb.597:
	global_load_b128 v[5:8], v[0:1], off
	s_waitcnt vmcnt(0)
	v_cmp_neq_f64_e32 vcc_lo, 0, v[5:6]
	v_cmp_neq_f64_e64 s0, 0, v[7:8]
	s_delay_alu instid0(VALU_DEP_1)
	s_or_b32 s22, vcc_lo, s0
	s_mov_b32 s0, 0
	s_and_b32 s22, s22, exec_lo
	s_branch .LBB126_602
.LBB126_598:
	s_mov_b32 s0, -1
                                        ; implicit-def: $sgpr22
	s_branch .LBB126_620
.LBB126_599:
	s_mov_b32 s0, -1
                                        ; implicit-def: $sgpr22
	s_branch .LBB126_608
.LBB126_600:
	s_mov_b32 s0, -1
                                        ; implicit-def: $sgpr22
	s_branch .LBB126_605
.LBB126_601:
	s_mov_b32 s0, -1
                                        ; implicit-def: $sgpr22
.LBB126_602:
	s_delay_alu instid0(SALU_CYCLE_1)
	s_and_not1_b32 vcc_lo, exec_lo, s0
	s_cbranch_vccnz .LBB126_604
; %bb.603:
	global_load_b64 v[5:6], v[0:1], off
	s_and_not1_b32 s0, s22, exec_lo
	s_waitcnt vmcnt(0)
	v_or_b32_e32 v5, v5, v6
	s_delay_alu instid0(VALU_DEP_1) | instskip(NEXT) | instid1(VALU_DEP_1)
	v_and_b32_e32 v5, 0x7fffffff, v5
	v_cmp_ne_u32_e32 vcc_lo, 0, v5
	s_and_b32 s22, vcc_lo, exec_lo
	s_delay_alu instid0(SALU_CYCLE_1)
	s_or_b32 s22, s0, s22
.LBB126_604:
	s_mov_b32 s0, 0
.LBB126_605:
	s_delay_alu instid0(SALU_CYCLE_1)
	s_and_not1_b32 vcc_lo, exec_lo, s0
	s_cbranch_vccnz .LBB126_607
; %bb.606:
	global_load_b32 v5, v[0:1], off
	s_and_not1_b32 s0, s22, exec_lo
	s_waitcnt vmcnt(0)
	v_and_b32_e32 v5, 0x7fff7fff, v5
	s_delay_alu instid0(VALU_DEP_1) | instskip(SKIP_1) | instid1(SALU_CYCLE_1)
	v_cmp_ne_u32_e32 vcc_lo, 0, v5
	s_and_b32 s22, vcc_lo, exec_lo
	s_or_b32 s22, s0, s22
.LBB126_607:
	s_mov_b32 s0, 0
.LBB126_608:
	s_delay_alu instid0(SALU_CYCLE_1)
	s_and_not1_b32 vcc_lo, exec_lo, s0
	s_cbranch_vccnz .LBB126_619
; %bb.609:
	v_cmp_gt_i16_e32 vcc_lo, 6, v3
	s_cbranch_vccnz .LBB126_612
; %bb.610:
	v_cmp_lt_i16_e32 vcc_lo, 6, v3
	s_cbranch_vccz .LBB126_613
; %bb.611:
	global_load_b64 v[5:6], v[0:1], off
	s_mov_b32 s0, 0
	s_waitcnt vmcnt(0)
	v_cmp_neq_f64_e32 vcc_lo, 0, v[5:6]
	s_and_b32 s22, vcc_lo, exec_lo
	s_branch .LBB126_614
.LBB126_612:
	s_mov_b32 s0, -1
                                        ; implicit-def: $sgpr22
	s_branch .LBB126_617
.LBB126_613:
	s_mov_b32 s0, -1
                                        ; implicit-def: $sgpr22
.LBB126_614:
	s_delay_alu instid0(SALU_CYCLE_1)
	s_and_not1_b32 vcc_lo, exec_lo, s0
	s_cbranch_vccnz .LBB126_616
; %bb.615:
	global_load_b32 v5, v[0:1], off
	s_and_not1_b32 s0, s22, exec_lo
	s_waitcnt vmcnt(0)
	v_cmp_neq_f32_e32 vcc_lo, 0, v5
	s_and_b32 s22, vcc_lo, exec_lo
	s_delay_alu instid0(SALU_CYCLE_1)
	s_or_b32 s22, s0, s22
.LBB126_616:
	s_mov_b32 s0, 0
.LBB126_617:
	s_delay_alu instid0(SALU_CYCLE_1)
	s_and_not1_b32 vcc_lo, exec_lo, s0
	s_cbranch_vccnz .LBB126_619
; %bb.618:
	global_load_u16 v5, v[0:1], off
	s_and_not1_b32 s0, s22, exec_lo
	s_waitcnt vmcnt(0)
	v_and_b32_e32 v5, 0x7fff, v5
	s_delay_alu instid0(VALU_DEP_1) | instskip(SKIP_1) | instid1(SALU_CYCLE_1)
	v_cmp_ne_u16_e32 vcc_lo, 0, v5
	s_and_b32 s22, vcc_lo, exec_lo
	s_or_b32 s22, s0, s22
.LBB126_619:
	s_mov_b32 s0, 0
.LBB126_620:
	s_delay_alu instid0(SALU_CYCLE_1)
	s_and_not1_b32 vcc_lo, exec_lo, s0
	s_cbranch_vccnz .LBB126_640
; %bb.621:
	v_cmp_gt_i16_e32 vcc_lo, 2, v3
	s_cbranch_vccnz .LBB126_625
; %bb.622:
	v_cmp_gt_i16_e32 vcc_lo, 3, v3
	s_cbranch_vccnz .LBB126_626
; %bb.623:
	v_cmp_lt_i16_e32 vcc_lo, 3, v3
	s_cbranch_vccz .LBB126_627
; %bb.624:
	global_load_b64 v[5:6], v[0:1], off
	s_mov_b32 s0, 0
	s_waitcnt vmcnt(0)
	v_cmp_ne_u64_e32 vcc_lo, 0, v[5:6]
	s_and_b32 s22, vcc_lo, exec_lo
	s_branch .LBB126_628
.LBB126_625:
	s_mov_b32 s0, -1
                                        ; implicit-def: $sgpr22
	s_branch .LBB126_634
.LBB126_626:
	s_mov_b32 s0, -1
                                        ; implicit-def: $sgpr22
	s_branch .LBB126_631
.LBB126_627:
	s_mov_b32 s0, -1
                                        ; implicit-def: $sgpr22
.LBB126_628:
	s_delay_alu instid0(SALU_CYCLE_1)
	s_and_not1_b32 vcc_lo, exec_lo, s0
	s_cbranch_vccnz .LBB126_630
; %bb.629:
	global_load_b32 v5, v[0:1], off
	s_and_not1_b32 s0, s22, exec_lo
	s_waitcnt vmcnt(0)
	v_cmp_ne_u32_e32 vcc_lo, 0, v5
	s_and_b32 s22, vcc_lo, exec_lo
	s_delay_alu instid0(SALU_CYCLE_1)
	s_or_b32 s22, s0, s22
.LBB126_630:
	s_mov_b32 s0, 0
.LBB126_631:
	s_delay_alu instid0(SALU_CYCLE_1)
	s_and_not1_b32 vcc_lo, exec_lo, s0
	s_cbranch_vccnz .LBB126_633
; %bb.632:
	global_load_u16 v5, v[0:1], off
	s_and_not1_b32 s0, s22, exec_lo
	s_waitcnt vmcnt(0)
	v_cmp_ne_u16_e32 vcc_lo, 0, v5
	s_and_b32 s22, vcc_lo, exec_lo
	s_delay_alu instid0(SALU_CYCLE_1)
	s_or_b32 s22, s0, s22
.LBB126_633:
	s_mov_b32 s0, 0
.LBB126_634:
	s_delay_alu instid0(SALU_CYCLE_1)
	s_and_not1_b32 vcc_lo, exec_lo, s0
	s_cbranch_vccnz .LBB126_640
; %bb.635:
	v_cmp_lt_i16_e32 vcc_lo, 0, v3
	s_mov_b32 s0, 0
	s_cbranch_vccz .LBB126_637
; %bb.636:
	global_load_u8 v3, v[0:1], off
	s_waitcnt vmcnt(0)
	v_cmp_ne_u16_e32 vcc_lo, 0, v3
	s_and_b32 s22, vcc_lo, exec_lo
	s_branch .LBB126_638
.LBB126_637:
	s_mov_b32 s0, -1
                                        ; implicit-def: $sgpr22
.LBB126_638:
	s_delay_alu instid0(SALU_CYCLE_1)
	s_and_not1_b32 vcc_lo, exec_lo, s0
	s_cbranch_vccnz .LBB126_640
; %bb.639:
	global_load_u8 v0, v[0:1], off
	s_and_not1_b32 s0, s22, exec_lo
	s_waitcnt vmcnt(0)
	v_cmp_ne_u16_e32 vcc_lo, 0, v0
	s_and_b32 s22, vcc_lo, exec_lo
	s_delay_alu instid0(SALU_CYCLE_1)
	s_or_b32 s22, s0, s22
.LBB126_640:
	s_mov_b32 s0, -1
.LBB126_641:
	s_delay_alu instid0(SALU_CYCLE_1)
	s_and_not1_b32 vcc_lo, exec_lo, s0
	s_cbranch_vccnz .LBB126_649
; %bb.642:
	v_mul_lo_u32 v1, v4, s8
	v_cndmask_b32_e64 v0, 0, 1.0, s22
	v_and_b32_e64 v5, 0xff, s12
	s_waitcnt vmcnt(0)
	s_delay_alu instid0(VALU_DEP_2) | instskip(NEXT) | instid1(VALU_DEP_2)
	v_mul_f32_e32 v0, v2, v0
	v_cmp_gt_i16_e32 vcc_lo, 11, v5
	v_ashrrev_i32_e32 v3, 31, v1
	s_delay_alu instid0(VALU_DEP_3) | instskip(SKIP_1) | instid1(VALU_DEP_1)
	v_mul_f32_e32 v2, s11, v0
	v_add_co_u32 v0, s0, s4, v1
	v_add_co_ci_u32_e64 v1, s0, s5, v3, s0
	s_cbranch_vccnz .LBB126_650
; %bb.643:
	v_cmp_lt_i16_e32 vcc_lo, 25, v5
	s_cbranch_vccz .LBB126_651
; %bb.644:
	v_cmp_lt_i16_e32 vcc_lo, 28, v5
	s_cbranch_vccz .LBB126_652
	;; [unrolled: 3-line block ×4, first 2 shown]
; %bb.647:
	v_cmp_eq_u16_e32 vcc_lo, 46, v5
	s_mov_b32 s23, 0
	s_mov_b32 s0, -1
	s_mov_b32 s22, 0
	s_cbranch_vccz .LBB126_655
; %bb.648:
	v_bfe_u32 v3, v2, 16, 1
	v_cmp_o_f32_e32 vcc_lo, v2, v2
	s_mov_b32 s22, -1
	s_mov_b32 s0, 0
	s_delay_alu instid0(VALU_DEP_2) | instskip(NEXT) | instid1(VALU_DEP_1)
	v_add3_u32 v3, v2, v3, 0x7fff
	v_lshrrev_b32_e32 v3, 16, v3
	s_delay_alu instid0(VALU_DEP_1)
	v_cndmask_b32_e32 v3, 0x7fc0, v3, vcc_lo
	global_store_b32 v[0:1], v3, off
	s_branch .LBB126_655
.LBB126_649:
	s_mov_b32 s25, 0
	s_mov_b32 s0, s16
	s_branch .LBB126_766
.LBB126_650:
	s_mov_b32 s23, -1
	s_mov_b32 s22, 0
	s_mov_b32 s0, s16
	s_branch .LBB126_724
.LBB126_651:
	s_mov_b32 s23, -1
	s_mov_b32 s22, 0
	s_mov_b32 s0, s16
	s_branch .LBB126_682
.LBB126_652:
	s_mov_b32 s23, -1
	s_mov_b32 s22, 0
	s_mov_b32 s0, s16
	s_branch .LBB126_665
.LBB126_653:
	s_mov_b32 s23, -1
	s_mov_b32 s22, 0
	s_mov_b32 s0, s16
	s_branch .LBB126_661
.LBB126_654:
	s_mov_b32 s23, -1
	s_mov_b32 s22, 0
	s_mov_b32 s0, s16
.LBB126_655:
	s_and_b32 vcc_lo, exec_lo, s23
	s_cbranch_vccz .LBB126_660
; %bb.656:
	v_cmp_eq_u16_e32 vcc_lo, 44, v5
	s_mov_b32 s0, -1
	s_cbranch_vccz .LBB126_660
; %bb.657:
	v_bfe_u32 v6, v2, 23, 8
	v_mov_b32_e32 v3, 0xff
	s_mov_b32 s22, exec_lo
	s_delay_alu instid0(VALU_DEP_2)
	v_cmpx_ne_u32_e32 0xff, v6
; %bb.658:
	v_and_b32_e32 v3, 0x400000, v2
	v_and_or_b32 v6, 0x3fffff, v2, v6
	s_delay_alu instid0(VALU_DEP_2) | instskip(NEXT) | instid1(VALU_DEP_2)
	v_cmp_ne_u32_e32 vcc_lo, 0, v3
	v_cmp_ne_u32_e64 s0, 0, v6
	v_lshrrev_b32_e32 v3, 23, v2
	s_delay_alu instid0(VALU_DEP_2) | instskip(NEXT) | instid1(SALU_CYCLE_1)
	s_and_b32 s0, vcc_lo, s0
	v_cndmask_b32_e64 v6, 0, 1, s0
	s_delay_alu instid0(VALU_DEP_1)
	v_add_nc_u32_e32 v3, v3, v6
; %bb.659:
	s_or_b32 exec_lo, exec_lo, s22
	s_mov_b32 s22, -1
	s_mov_b32 s0, 0
	global_store_b8 v[0:1], v3, off
.LBB126_660:
	s_mov_b32 s23, 0
.LBB126_661:
	s_delay_alu instid0(SALU_CYCLE_1)
	s_and_b32 vcc_lo, exec_lo, s23
	s_cbranch_vccz .LBB126_664
; %bb.662:
	v_cmp_eq_u16_e32 vcc_lo, 29, v5
	s_mov_b32 s0, -1
	s_cbranch_vccz .LBB126_664
; %bb.663:
	v_trunc_f32_e32 v3, v2
	s_mov_b32 s22, -1
	s_mov_b32 s0, 0
	s_mov_b32 s23, 0
	s_delay_alu instid0(VALU_DEP_1) | instskip(NEXT) | instid1(VALU_DEP_1)
	v_mul_f32_e32 v6, 0x2f800000, v3
	v_floor_f32_e32 v6, v6
	s_delay_alu instid0(VALU_DEP_1) | instskip(SKIP_1) | instid1(VALU_DEP_2)
	v_fmamk_f32 v3, v6, 0xcf800000, v3
	v_cvt_u32_f32_e32 v7, v6
	v_cvt_u32_f32_e32 v6, v3
	global_store_b64 v[0:1], v[6:7], off
	s_branch .LBB126_665
.LBB126_664:
	s_mov_b32 s23, 0
.LBB126_665:
	s_delay_alu instid0(SALU_CYCLE_1)
	s_and_b32 vcc_lo, exec_lo, s23
	s_cbranch_vccz .LBB126_681
; %bb.666:
	v_cmp_gt_i16_e32 vcc_lo, 27, v5
	s_mov_b32 s22, -1
	s_cbranch_vccnz .LBB126_672
; %bb.667:
	v_cmp_lt_i16_e32 vcc_lo, 27, v5
	s_cbranch_vccz .LBB126_669
; %bb.668:
	v_cvt_u32_f32_e32 v3, v2
	s_mov_b32 s22, 0
	global_store_b32 v[0:1], v3, off
.LBB126_669:
	s_and_not1_b32 vcc_lo, exec_lo, s22
	s_cbranch_vccnz .LBB126_671
; %bb.670:
	v_cvt_u32_f32_e32 v3, v2
	global_store_b16 v[0:1], v3, off
.LBB126_671:
	s_mov_b32 s22, 0
.LBB126_672:
	s_delay_alu instid0(SALU_CYCLE_1)
	s_and_not1_b32 vcc_lo, exec_lo, s22
	s_cbranch_vccnz .LBB126_680
; %bb.673:
	v_and_b32_e32 v3, 0x7fffffff, v2
	v_mov_b32_e32 v6, 0x80
	s_mov_b32 s22, exec_lo
	s_delay_alu instid0(VALU_DEP_2)
	v_cmpx_gt_u32_e32 0x43800000, v3
	s_cbranch_execz .LBB126_679
; %bb.674:
	v_cmp_lt_u32_e32 vcc_lo, 0x3bffffff, v3
	s_mov_b32 s23, 0
                                        ; implicit-def: $vgpr3
	s_and_saveexec_b32 s25, vcc_lo
	s_delay_alu instid0(SALU_CYCLE_1)
	s_xor_b32 s25, exec_lo, s25
	s_cbranch_execz .LBB126_782
; %bb.675:
	v_bfe_u32 v3, v2, 20, 1
	s_mov_b32 s23, exec_lo
	s_delay_alu instid0(VALU_DEP_1) | instskip(NEXT) | instid1(VALU_DEP_1)
	v_add3_u32 v3, v2, v3, 0x487ffff
	v_lshrrev_b32_e32 v3, 20, v3
	s_or_saveexec_b32 s25, s25
                                        ; implicit-def: $sgpr26
	s_delay_alu instid0(SALU_CYCLE_1)
	s_xor_b32 exec_lo, exec_lo, s25
	s_cbranch_execnz .LBB126_783
.LBB126_676:
	s_or_b32 exec_lo, exec_lo, s25
	v_mov_b32_e32 v6, s26
	s_and_saveexec_b32 s25, s23
.LBB126_677:
	v_lshrrev_b32_e32 v6, 24, v2
	s_delay_alu instid0(VALU_DEP_1)
	v_and_or_b32 v6, 0x80, v6, v3
.LBB126_678:
	s_or_b32 exec_lo, exec_lo, s25
.LBB126_679:
	s_delay_alu instid0(SALU_CYCLE_1)
	s_or_b32 exec_lo, exec_lo, s22
	global_store_b8 v[0:1], v6, off
.LBB126_680:
	s_mov_b32 s22, -1
.LBB126_681:
	s_mov_b32 s23, 0
.LBB126_682:
	s_delay_alu instid0(SALU_CYCLE_1)
	s_and_b32 vcc_lo, exec_lo, s23
	s_cbranch_vccz .LBB126_723
; %bb.683:
	v_cmp_lt_i16_e32 vcc_lo, 22, v5
	s_mov_b32 s23, -1
	s_cbranch_vccz .LBB126_715
; %bb.684:
	v_cmp_gt_i16_e32 vcc_lo, 24, v5
	s_mov_b32 s22, -1
	s_cbranch_vccnz .LBB126_704
; %bb.685:
	v_cmp_lt_i16_e32 vcc_lo, 24, v5
	s_cbranch_vccz .LBB126_693
; %bb.686:
	v_and_b32_e32 v3, 0x7fffffff, v2
	v_mov_b32_e32 v6, 0x80
	s_mov_b32 s22, exec_lo
	s_delay_alu instid0(VALU_DEP_2)
	v_cmpx_gt_u32_e32 0x47800000, v3
	s_cbranch_execz .LBB126_692
; %bb.687:
	v_cmp_lt_u32_e32 vcc_lo, 0x37ffffff, v3
	s_mov_b32 s23, 0
                                        ; implicit-def: $vgpr3
	s_and_saveexec_b32 s25, vcc_lo
	s_delay_alu instid0(SALU_CYCLE_1)
	s_xor_b32 s25, exec_lo, s25
	s_cbranch_execz .LBB126_914
; %bb.688:
	v_bfe_u32 v3, v2, 21, 1
	s_mov_b32 s23, exec_lo
	s_delay_alu instid0(VALU_DEP_1) | instskip(NEXT) | instid1(VALU_DEP_1)
	v_add3_u32 v3, v2, v3, 0x88fffff
	v_lshrrev_b32_e32 v3, 21, v3
	s_or_saveexec_b32 s25, s25
                                        ; implicit-def: $sgpr26
	s_delay_alu instid0(SALU_CYCLE_1)
	s_xor_b32 exec_lo, exec_lo, s25
	s_cbranch_execnz .LBB126_915
.LBB126_689:
	s_or_b32 exec_lo, exec_lo, s25
	v_mov_b32_e32 v6, s26
	s_and_saveexec_b32 s25, s23
.LBB126_690:
	v_lshrrev_b32_e32 v6, 24, v2
	s_delay_alu instid0(VALU_DEP_1)
	v_and_or_b32 v6, 0x80, v6, v3
.LBB126_691:
	s_or_b32 exec_lo, exec_lo, s25
.LBB126_692:
	s_delay_alu instid0(SALU_CYCLE_1)
	s_or_b32 exec_lo, exec_lo, s22
	s_mov_b32 s22, 0
	global_store_b8 v[0:1], v6, off
.LBB126_693:
	s_and_b32 vcc_lo, exec_lo, s22
	s_cbranch_vccz .LBB126_703
; %bb.694:
	v_and_b32_e32 v6, 0x7fffffff, v2
	s_mov_b32 s22, exec_lo
                                        ; implicit-def: $vgpr3
	s_delay_alu instid0(VALU_DEP_1)
	v_cmpx_gt_u32_e32 0x43f00000, v6
	s_xor_b32 s22, exec_lo, s22
	s_cbranch_execz .LBB126_700
; %bb.695:
	s_mov_b32 s23, exec_lo
                                        ; implicit-def: $vgpr3
	v_cmpx_lt_u32_e32 0x3c7fffff, v6
	s_xor_b32 s23, exec_lo, s23
; %bb.696:
	v_bfe_u32 v3, v2, 20, 1
	s_delay_alu instid0(VALU_DEP_1) | instskip(NEXT) | instid1(VALU_DEP_1)
	v_add3_u32 v3, v2, v3, 0x407ffff
	v_and_b32_e32 v6, 0xff00000, v3
	v_lshrrev_b32_e32 v3, 20, v3
	s_delay_alu instid0(VALU_DEP_2) | instskip(NEXT) | instid1(VALU_DEP_2)
	v_cmp_ne_u32_e32 vcc_lo, 0x7f00000, v6
	v_cndmask_b32_e32 v3, 0x7e, v3, vcc_lo
; %bb.697:
	s_and_not1_saveexec_b32 s23, s23
; %bb.698:
	v_add_f32_e64 v3, 0x46800000, |v2|
; %bb.699:
	s_or_b32 exec_lo, exec_lo, s23
                                        ; implicit-def: $vgpr6
.LBB126_700:
	s_and_not1_saveexec_b32 s22, s22
; %bb.701:
	v_mov_b32_e32 v3, 0x7f
	v_cmp_lt_u32_e32 vcc_lo, 0x7f800000, v6
	s_delay_alu instid0(VALU_DEP_2)
	v_cndmask_b32_e32 v3, 0x7e, v3, vcc_lo
; %bb.702:
	s_or_b32 exec_lo, exec_lo, s22
	v_lshrrev_b32_e32 v6, 24, v2
	s_delay_alu instid0(VALU_DEP_1)
	v_and_or_b32 v3, 0x80, v6, v3
	global_store_b8 v[0:1], v3, off
.LBB126_703:
	s_mov_b32 s22, 0
.LBB126_704:
	s_delay_alu instid0(SALU_CYCLE_1)
	s_and_not1_b32 vcc_lo, exec_lo, s22
	s_cbranch_vccnz .LBB126_714
; %bb.705:
	v_and_b32_e32 v6, 0x7fffffff, v2
	s_mov_b32 s22, exec_lo
                                        ; implicit-def: $vgpr3
	s_delay_alu instid0(VALU_DEP_1)
	v_cmpx_gt_u32_e32 0x47800000, v6
	s_xor_b32 s22, exec_lo, s22
	s_cbranch_execz .LBB126_711
; %bb.706:
	s_mov_b32 s23, exec_lo
                                        ; implicit-def: $vgpr3
	v_cmpx_lt_u32_e32 0x387fffff, v6
	s_xor_b32 s23, exec_lo, s23
; %bb.707:
	v_bfe_u32 v3, v2, 21, 1
	s_delay_alu instid0(VALU_DEP_1) | instskip(NEXT) | instid1(VALU_DEP_1)
	v_add3_u32 v3, v2, v3, 0x80fffff
	v_lshrrev_b32_e32 v3, 21, v3
; %bb.708:
	s_and_not1_saveexec_b32 s23, s23
; %bb.709:
	v_add_f32_e64 v3, 0x43000000, |v2|
; %bb.710:
	s_or_b32 exec_lo, exec_lo, s23
                                        ; implicit-def: $vgpr6
.LBB126_711:
	s_and_not1_saveexec_b32 s22, s22
; %bb.712:
	v_mov_b32_e32 v3, 0x7f
	v_cmp_lt_u32_e32 vcc_lo, 0x7f800000, v6
	s_delay_alu instid0(VALU_DEP_2)
	v_cndmask_b32_e32 v3, 0x7c, v3, vcc_lo
; %bb.713:
	s_or_b32 exec_lo, exec_lo, s22
	v_lshrrev_b32_e32 v6, 24, v2
	s_delay_alu instid0(VALU_DEP_1)
	v_and_or_b32 v3, 0x80, v6, v3
	global_store_b8 v[0:1], v3, off
.LBB126_714:
	s_mov_b32 s23, 0
	s_mov_b32 s22, -1
.LBB126_715:
	s_and_not1_b32 vcc_lo, exec_lo, s23
	s_cbranch_vccnz .LBB126_723
; %bb.716:
	v_cmp_lt_i16_e32 vcc_lo, 14, v5
	s_mov_b32 s23, -1
	s_cbranch_vccz .LBB126_720
; %bb.717:
	v_cmp_eq_u16_e32 vcc_lo, 15, v5
	s_mov_b32 s0, -1
	s_cbranch_vccz .LBB126_719
; %bb.718:
	v_bfe_u32 v3, v2, 16, 1
	v_cmp_o_f32_e32 vcc_lo, v2, v2
	s_mov_b32 s22, -1
	s_mov_b32 s0, 0
	s_delay_alu instid0(VALU_DEP_2) | instskip(NEXT) | instid1(VALU_DEP_1)
	v_add3_u32 v3, v2, v3, 0x7fff
	v_lshrrev_b32_e32 v3, 16, v3
	s_delay_alu instid0(VALU_DEP_1)
	v_cndmask_b32_e32 v3, 0x7fc0, v3, vcc_lo
	global_store_b16 v[0:1], v3, off
.LBB126_719:
	s_mov_b32 s23, 0
.LBB126_720:
	s_delay_alu instid0(SALU_CYCLE_1)
	s_and_b32 vcc_lo, exec_lo, s23
	s_cbranch_vccz .LBB126_723
; %bb.721:
	v_cmp_eq_u16_e32 vcc_lo, 11, v5
	s_mov_b32 s0, -1
	s_cbranch_vccz .LBB126_723
; %bb.722:
	v_cmp_neq_f32_e32 vcc_lo, 0, v2
	s_mov_b32 s0, 0
	s_mov_b32 s22, -1
	v_cndmask_b32_e64 v3, 0, 1, vcc_lo
	global_store_b8 v[0:1], v3, off
.LBB126_723:
	s_mov_b32 s23, 0
.LBB126_724:
	s_delay_alu instid0(SALU_CYCLE_1)
	s_and_b32 vcc_lo, exec_lo, s23
	s_cbranch_vccz .LBB126_763
; %bb.725:
	v_cmp_gt_i16_e32 vcc_lo, 5, v5
	s_mov_b32 s22, -1
	s_cbranch_vccnz .LBB126_746
; %bb.726:
	v_cmp_gt_i16_e32 vcc_lo, 8, v5
	s_cbranch_vccnz .LBB126_736
; %bb.727:
	v_cmp_gt_i16_e32 vcc_lo, 9, v5
	s_cbranch_vccnz .LBB126_733
; %bb.728:
	v_cmp_lt_i16_e32 vcc_lo, 9, v5
	s_cbranch_vccz .LBB126_730
; %bb.729:
	v_cvt_f64_f32_e32 v[6:7], v2
	v_mov_b32_e32 v8, 0
	s_mov_b32 s22, 0
	s_delay_alu instid0(VALU_DEP_1)
	v_mov_b32_e32 v9, v8
	global_store_b128 v[0:1], v[6:9], off
.LBB126_730:
	s_and_not1_b32 vcc_lo, exec_lo, s22
	s_cbranch_vccnz .LBB126_732
; %bb.731:
	v_mov_b32_e32 v3, 0
	global_store_b64 v[0:1], v[2:3], off
.LBB126_732:
	s_mov_b32 s22, 0
.LBB126_733:
	s_delay_alu instid0(SALU_CYCLE_1)
	s_and_not1_b32 vcc_lo, exec_lo, s22
	s_cbranch_vccnz .LBB126_735
; %bb.734:
	v_cvt_f16_f32_e32 v3, v2
	s_delay_alu instid0(VALU_DEP_1)
	v_and_b32_e32 v3, 0xffff, v3
	global_store_b32 v[0:1], v3, off
.LBB126_735:
	s_mov_b32 s22, 0
.LBB126_736:
	s_delay_alu instid0(SALU_CYCLE_1)
	s_and_not1_b32 vcc_lo, exec_lo, s22
	s_cbranch_vccnz .LBB126_745
; %bb.737:
	v_cmp_gt_i16_e32 vcc_lo, 6, v5
	s_mov_b32 s22, -1
	s_cbranch_vccnz .LBB126_743
; %bb.738:
	v_cmp_lt_i16_e32 vcc_lo, 6, v5
	s_cbranch_vccz .LBB126_740
; %bb.739:
	v_cvt_f64_f32_e32 v[6:7], v2
	s_mov_b32 s22, 0
	global_store_b64 v[0:1], v[6:7], off
.LBB126_740:
	s_and_not1_b32 vcc_lo, exec_lo, s22
	s_cbranch_vccnz .LBB126_742
; %bb.741:
	global_store_b32 v[0:1], v2, off
.LBB126_742:
	s_mov_b32 s22, 0
.LBB126_743:
	s_delay_alu instid0(SALU_CYCLE_1)
	s_and_not1_b32 vcc_lo, exec_lo, s22
	s_cbranch_vccnz .LBB126_745
; %bb.744:
	v_cvt_f16_f32_e32 v3, v2
	global_store_b16 v[0:1], v3, off
.LBB126_745:
	s_mov_b32 s22, 0
.LBB126_746:
	s_delay_alu instid0(SALU_CYCLE_1)
	s_and_not1_b32 vcc_lo, exec_lo, s22
	s_cbranch_vccnz .LBB126_762
; %bb.747:
	v_cmp_gt_i16_e32 vcc_lo, 2, v5
	s_mov_b32 s22, -1
	s_cbranch_vccnz .LBB126_757
; %bb.748:
	v_cmp_gt_i16_e32 vcc_lo, 3, v5
	s_cbranch_vccnz .LBB126_754
; %bb.749:
	v_cmp_lt_i16_e32 vcc_lo, 3, v5
	s_cbranch_vccz .LBB126_751
; %bb.750:
	v_trunc_f32_e32 v3, v2
	s_mov_b32 s22, 0
	s_delay_alu instid0(VALU_DEP_1) | instskip(NEXT) | instid1(VALU_DEP_1)
	v_mul_f32_e64 v6, 0x2f800000, |v3|
	v_floor_f32_e32 v6, v6
	s_delay_alu instid0(VALU_DEP_1) | instskip(SKIP_2) | instid1(VALU_DEP_3)
	v_fma_f32 v7, 0xcf800000, v6, |v3|
	v_ashrrev_i32_e32 v3, 31, v3
	v_cvt_u32_f32_e32 v6, v6
	v_cvt_u32_f32_e32 v7, v7
	s_delay_alu instid0(VALU_DEP_2) | instskip(NEXT) | instid1(VALU_DEP_2)
	v_xor_b32_e32 v8, v6, v3
	v_xor_b32_e32 v7, v7, v3
	s_delay_alu instid0(VALU_DEP_1) | instskip(NEXT) | instid1(VALU_DEP_3)
	v_sub_co_u32 v6, vcc_lo, v7, v3
	v_sub_co_ci_u32_e32 v7, vcc_lo, v8, v3, vcc_lo
	global_store_b64 v[0:1], v[6:7], off
.LBB126_751:
	s_and_not1_b32 vcc_lo, exec_lo, s22
	s_cbranch_vccnz .LBB126_753
; %bb.752:
	v_cvt_i32_f32_e32 v3, v2
	global_store_b32 v[0:1], v3, off
.LBB126_753:
	s_mov_b32 s22, 0
.LBB126_754:
	s_delay_alu instid0(SALU_CYCLE_1)
	s_and_not1_b32 vcc_lo, exec_lo, s22
	s_cbranch_vccnz .LBB126_756
; %bb.755:
	v_cvt_i32_f32_e32 v3, v2
	global_store_b16 v[0:1], v3, off
.LBB126_756:
	s_mov_b32 s22, 0
.LBB126_757:
	s_delay_alu instid0(SALU_CYCLE_1)
	s_and_not1_b32 vcc_lo, exec_lo, s22
	s_cbranch_vccnz .LBB126_762
; %bb.758:
	v_cmp_lt_i16_e32 vcc_lo, 0, v5
	s_mov_b32 s22, -1
	s_cbranch_vccz .LBB126_760
; %bb.759:
	v_cvt_i32_f32_e32 v3, v2
	s_mov_b32 s22, 0
	global_store_b8 v[0:1], v3, off
.LBB126_760:
	s_and_not1_b32 vcc_lo, exec_lo, s22
	s_cbranch_vccnz .LBB126_762
; %bb.761:
	v_trunc_f32_e32 v2, v2
	s_delay_alu instid0(VALU_DEP_1) | instskip(NEXT) | instid1(VALU_DEP_1)
	v_mul_f32_e64 v3, 0x2f800000, |v2|
	v_floor_f32_e32 v3, v3
	s_delay_alu instid0(VALU_DEP_1) | instskip(SKIP_1) | instid1(VALU_DEP_2)
	v_fma_f32 v3, 0xcf800000, v3, |v2|
	v_ashrrev_i32_e32 v2, 31, v2
	v_cvt_u32_f32_e32 v3, v3
	s_delay_alu instid0(VALU_DEP_1) | instskip(NEXT) | instid1(VALU_DEP_1)
	v_xor_b32_e32 v3, v3, v2
	v_sub_nc_u32_e32 v2, v3, v2
	global_store_b8 v[0:1], v2, off
.LBB126_762:
	s_mov_b32 s22, -1
.LBB126_763:
	s_delay_alu instid0(SALU_CYCLE_1)
	s_and_not1_b32 vcc_lo, exec_lo, s22
	s_mov_b32 s23, 0
	s_cbranch_vccnz .LBB126_765
; %bb.764:
	v_add_nc_u32_e32 v4, 0x80, v4
	s_mov_b32 s25, -1
	s_branch .LBB126_767
.LBB126_765:
	s_mov_b32 s25, 0
.LBB126_766:
                                        ; implicit-def: $vgpr4
.LBB126_767:
	s_and_not1_b32 s22, s16, exec_lo
	s_and_b32 s0, s0, exec_lo
	s_and_b32 s23, s23, exec_lo
	s_or_b32 s22, s22, s0
	s_and_not1_b32 s0, s18, exec_lo
	s_and_not1_b32 s26, s19, exec_lo
	s_and_b32 s21, s21, exec_lo
	s_or_b32 s23, s0, s23
	s_or_b32 s21, s26, s21
	s_or_not1_b32 s26, s25, exec_lo
.LBB126_768:
	s_or_b32 exec_lo, exec_lo, s24
	s_mov_b32 s25, 0
	s_mov_b32 s27, 0
	;; [unrolled: 1-line block ×3, first 2 shown]
                                        ; implicit-def: $vgpr2
                                        ; implicit-def: $vgpr0_vgpr1
                                        ; implicit-def: $vgpr3
	s_and_saveexec_b32 s24, s26
	s_cbranch_execz .LBB126_1241
; %bb.769:
	s_mov_b32 s31, -1
	s_mov_b32 s26, s21
	s_mov_b32 s27, s23
	;; [unrolled: 1-line block ×3, first 2 shown]
	s_mov_b32 s25, exec_lo
	v_cmpx_gt_i32_e64 s17, v4
	s_cbranch_execz .LBB126_1157
; %bb.770:
	v_mul_lo_u32 v0, v4, s9
	v_and_b32_e64 v3, 0xff, s14
	s_delay_alu instid0(VALU_DEP_1) | instskip(NEXT) | instid1(VALU_DEP_3)
	v_cmp_gt_i16_e32 vcc_lo, 11, v3
	v_ashrrev_i32_e32 v1, 31, v0
	v_add_co_u32 v0, s0, s6, v0
	s_delay_alu instid0(VALU_DEP_1)
	v_add_co_ci_u32_e64 v1, s0, s7, v1, s0
	s_cbranch_vccnz .LBB126_777
; %bb.771:
	v_cmp_lt_i16_e32 vcc_lo, 25, v3
	s_cbranch_vccz .LBB126_778
; %bb.772:
	v_cmp_lt_i16_e32 vcc_lo, 28, v3
	s_cbranch_vccz .LBB126_779
; %bb.773:
	v_cmp_lt_i16_e32 vcc_lo, 43, v3
	s_cbranch_vccz .LBB126_780
; %bb.774:
	v_cmp_lt_i16_e32 vcc_lo, 45, v3
	s_cbranch_vccz .LBB126_781
; %bb.775:
	v_cmp_eq_u16_e32 vcc_lo, 46, v3
	s_mov_b32 s27, 0
	s_cbranch_vccz .LBB126_784
; %bb.776:
	global_load_b32 v2, v[0:1], off
	s_mov_b32 s0, -1
	s_mov_b32 s26, 0
	s_waitcnt vmcnt(0)
	v_lshlrev_b32_e32 v2, 16, v2
	s_branch .LBB126_786
.LBB126_777:
	s_mov_b32 s27, -1
	s_mov_b32 s0, 0
	s_mov_b32 s26, s21
                                        ; implicit-def: $vgpr2
	s_branch .LBB126_851
.LBB126_778:
	s_mov_b32 s27, -1
	s_mov_b32 s0, 0
	s_mov_b32 s26, s21
                                        ; implicit-def: $vgpr2
	s_branch .LBB126_815
.LBB126_779:
	s_mov_b32 s27, -1
	s_mov_b32 s0, 0
	s_mov_b32 s26, s21
                                        ; implicit-def: $vgpr2
	s_branch .LBB126_796
.LBB126_780:
	s_mov_b32 s27, -1
	s_mov_b32 s0, 0
	s_mov_b32 s26, s21
                                        ; implicit-def: $vgpr2
	s_branch .LBB126_791
.LBB126_781:
	s_mov_b32 s27, -1
	s_mov_b32 s0, 0
	s_mov_b32 s26, s21
	s_branch .LBB126_785
.LBB126_782:
	s_or_saveexec_b32 s25, s25
                                        ; implicit-def: $sgpr26
	s_delay_alu instid0(SALU_CYCLE_1)
	s_xor_b32 exec_lo, exec_lo, s25
	s_cbranch_execz .LBB126_676
.LBB126_783:
	v_add_f32_e64 v3, 0x46000000, |v2|
	s_and_not1_b32 s23, s23, exec_lo
	s_mov_b32 s26, 0
	s_delay_alu instid0(VALU_DEP_1) | instskip(NEXT) | instid1(VALU_DEP_1)
	v_and_b32_e32 v3, 0xff, v3
	v_cmp_ne_u32_e32 vcc_lo, 0, v3
	s_and_b32 s27, vcc_lo, exec_lo
	s_delay_alu instid0(SALU_CYCLE_1)
	s_or_b32 s23, s23, s27
	s_or_b32 exec_lo, exec_lo, s25
	v_mov_b32_e32 v6, s26
	s_and_saveexec_b32 s25, s23
	s_cbranch_execnz .LBB126_677
	s_branch .LBB126_678
.LBB126_784:
	s_mov_b32 s26, -1
	s_mov_b32 s0, 0
.LBB126_785:
                                        ; implicit-def: $vgpr2
.LBB126_786:
	s_and_b32 vcc_lo, exec_lo, s27
	s_cbranch_vccz .LBB126_790
; %bb.787:
	v_cmp_eq_u16_e32 vcc_lo, 44, v3
	s_cbranch_vccz .LBB126_789
; %bb.788:
	global_load_u8 v2, v[0:1], off
	s_mov_b32 s26, 0
	s_mov_b32 s0, -1
	s_waitcnt vmcnt(0)
	v_lshlrev_b32_e32 v5, 23, v2
	v_cmp_ne_u32_e32 vcc_lo, 0xff, v2
	s_delay_alu instid0(VALU_DEP_2) | instskip(SKIP_1) | instid1(VALU_DEP_2)
	v_cndmask_b32_e32 v5, 0x7f800001, v5, vcc_lo
	v_cmp_ne_u32_e32 vcc_lo, 0, v2
	v_cndmask_b32_e32 v2, 0x400000, v5, vcc_lo
	s_branch .LBB126_790
.LBB126_789:
	s_mov_b32 s26, -1
                                        ; implicit-def: $vgpr2
.LBB126_790:
	s_mov_b32 s27, 0
.LBB126_791:
	s_delay_alu instid0(SALU_CYCLE_1)
	s_and_b32 vcc_lo, exec_lo, s27
	s_cbranch_vccz .LBB126_795
; %bb.792:
	v_cmp_eq_u16_e32 vcc_lo, 29, v3
	s_cbranch_vccz .LBB126_794
; %bb.793:
	global_load_b64 v[5:6], v[0:1], off
	s_mov_b32 s0, -1
	s_mov_b32 s26, 0
	s_mov_b32 s27, 0
	s_waitcnt vmcnt(0)
	v_clz_i32_u32_e32 v2, v6
	s_delay_alu instid0(VALU_DEP_1) | instskip(NEXT) | instid1(VALU_DEP_1)
	v_min_u32_e32 v2, 32, v2
	v_lshlrev_b64 v[5:6], v2, v[5:6]
	v_sub_nc_u32_e32 v2, 32, v2
	s_delay_alu instid0(VALU_DEP_2) | instskip(NEXT) | instid1(VALU_DEP_1)
	v_min_u32_e32 v5, 1, v5
	v_or_b32_e32 v5, v6, v5
	s_delay_alu instid0(VALU_DEP_1) | instskip(NEXT) | instid1(VALU_DEP_1)
	v_cvt_f32_u32_e32 v5, v5
	v_ldexp_f32 v2, v5, v2
	s_branch .LBB126_796
.LBB126_794:
	s_mov_b32 s26, -1
                                        ; implicit-def: $vgpr2
.LBB126_795:
	s_mov_b32 s27, 0
.LBB126_796:
	s_delay_alu instid0(SALU_CYCLE_1)
	s_and_b32 vcc_lo, exec_lo, s27
	s_cbranch_vccz .LBB126_814
; %bb.797:
	v_cmp_gt_i16_e32 vcc_lo, 27, v3
	s_cbranch_vccnz .LBB126_800
; %bb.798:
	v_cmp_lt_i16_e32 vcc_lo, 27, v3
	s_cbranch_vccz .LBB126_801
; %bb.799:
	global_load_b32 v2, v[0:1], off
	s_mov_b32 s0, 0
	s_waitcnt vmcnt(0)
	v_cvt_f32_u32_e32 v2, v2
	s_branch .LBB126_802
.LBB126_800:
	s_mov_b32 s0, -1
                                        ; implicit-def: $vgpr2
	s_branch .LBB126_805
.LBB126_801:
	s_mov_b32 s0, -1
                                        ; implicit-def: $vgpr2
.LBB126_802:
	s_delay_alu instid0(SALU_CYCLE_1)
	s_and_not1_b32 vcc_lo, exec_lo, s0
	s_cbranch_vccnz .LBB126_804
; %bb.803:
	global_load_u16 v2, v[0:1], off
	s_waitcnt vmcnt(0)
	v_cvt_f32_u32_e32 v2, v2
.LBB126_804:
	s_mov_b32 s0, 0
.LBB126_805:
	s_delay_alu instid0(SALU_CYCLE_1)
	s_and_not1_b32 vcc_lo, exec_lo, s0
	s_cbranch_vccnz .LBB126_813
; %bb.806:
	global_load_u8 v5, v[0:1], off
	s_mov_b32 s0, 0
	s_mov_b32 s28, exec_lo
                                        ; implicit-def: $sgpr27
	s_waitcnt vmcnt(0)
	v_cmpx_lt_i16_e32 0x7f, v5
	s_xor_b32 s28, exec_lo, s28
	s_cbranch_execz .LBB126_827
; %bb.807:
	s_mov_b32 s0, -1
	s_mov_b32 s29, exec_lo
                                        ; implicit-def: $sgpr27
	v_cmpx_eq_u16_e32 0x80, v5
; %bb.808:
	s_mov_b32 s27, 0x7f800001
	s_xor_b32 s0, exec_lo, -1
; %bb.809:
	s_or_b32 exec_lo, exec_lo, s29
	s_delay_alu instid0(SALU_CYCLE_1)
	s_and_b32 s0, s0, exec_lo
	s_or_saveexec_b32 s28, s28
	v_mov_b32_e32 v2, s27
	s_xor_b32 exec_lo, exec_lo, s28
	s_cbranch_execnz .LBB126_828
.LBB126_810:
	s_or_b32 exec_lo, exec_lo, s28
	s_and_saveexec_b32 s27, s0
	s_cbranch_execz .LBB126_812
.LBB126_811:
	v_and_b32_e32 v2, 0xffff, v5
	s_delay_alu instid0(VALU_DEP_1) | instskip(NEXT) | instid1(VALU_DEP_1)
	v_and_b32_e32 v6, 7, v2
	v_clz_i32_u32_e32 v7, v6
	s_delay_alu instid0(VALU_DEP_1) | instskip(NEXT) | instid1(VALU_DEP_1)
	v_min_u32_e32 v7, 32, v7
	v_subrev_nc_u32_e32 v8, 28, v7
	v_sub_nc_u32_e32 v7, 29, v7
	s_delay_alu instid0(VALU_DEP_2) | instskip(SKIP_1) | instid1(VALU_DEP_2)
	v_lshlrev_b32_e32 v8, v8, v2
	v_bfe_u32 v2, v2, 3, 4
	v_and_b32_e32 v8, 7, v8
	s_delay_alu instid0(VALU_DEP_2) | instskip(SKIP_1) | instid1(VALU_DEP_1)
	v_cmp_eq_u32_e32 vcc_lo, 0, v2
	v_dual_cndmask_b32 v2, v2, v7 :: v_dual_lshlrev_b32 v5, 24, v5
	v_dual_cndmask_b32 v6, v6, v8 :: v_dual_and_b32 v5, 0x80000000, v5
	s_delay_alu instid0(VALU_DEP_2) | instskip(NEXT) | instid1(VALU_DEP_2)
	v_lshl_add_u32 v2, v2, 23, 0x3b800000
	v_lshlrev_b32_e32 v6, 20, v6
	s_delay_alu instid0(VALU_DEP_1)
	v_or3_b32 v2, v5, v2, v6
.LBB126_812:
	s_or_b32 exec_lo, exec_lo, s27
.LBB126_813:
	s_mov_b32 s0, -1
.LBB126_814:
	s_mov_b32 s27, 0
.LBB126_815:
	s_delay_alu instid0(SALU_CYCLE_1)
	s_and_b32 vcc_lo, exec_lo, s27
	s_cbranch_vccz .LBB126_850
; %bb.816:
	v_cmp_lt_i16_e32 vcc_lo, 22, v3
	s_cbranch_vccz .LBB126_826
; %bb.817:
	v_cmp_gt_i16_e32 vcc_lo, 24, v3
	s_cbranch_vccnz .LBB126_829
; %bb.818:
	v_cmp_lt_i16_e32 vcc_lo, 24, v3
	s_cbranch_vccz .LBB126_830
; %bb.819:
	global_load_u8 v5, v[0:1], off
	s_mov_b32 s0, 0
	s_mov_b32 s28, exec_lo
                                        ; implicit-def: $sgpr27
	s_waitcnt vmcnt(0)
	v_cmpx_lt_i16_e32 0x7f, v5
	s_xor_b32 s28, exec_lo, s28
	s_cbranch_execz .LBB126_842
; %bb.820:
	s_mov_b32 s0, -1
	s_mov_b32 s29, exec_lo
                                        ; implicit-def: $sgpr27
	v_cmpx_eq_u16_e32 0x80, v5
; %bb.821:
	s_mov_b32 s27, 0x7f800001
	s_xor_b32 s0, exec_lo, -1
; %bb.822:
	s_or_b32 exec_lo, exec_lo, s29
	s_delay_alu instid0(SALU_CYCLE_1)
	s_and_b32 s0, s0, exec_lo
	s_or_saveexec_b32 s28, s28
	v_mov_b32_e32 v2, s27
	s_xor_b32 exec_lo, exec_lo, s28
	s_cbranch_execnz .LBB126_843
.LBB126_823:
	s_or_b32 exec_lo, exec_lo, s28
	s_and_saveexec_b32 s27, s0
	s_cbranch_execz .LBB126_825
.LBB126_824:
	v_and_b32_e32 v2, 0xffff, v5
	s_delay_alu instid0(VALU_DEP_1) | instskip(NEXT) | instid1(VALU_DEP_1)
	v_and_b32_e32 v6, 3, v2
	v_clz_i32_u32_e32 v7, v6
	s_delay_alu instid0(VALU_DEP_1) | instskip(NEXT) | instid1(VALU_DEP_1)
	v_min_u32_e32 v7, 32, v7
	v_subrev_nc_u32_e32 v8, 29, v7
	v_sub_nc_u32_e32 v7, 30, v7
	s_delay_alu instid0(VALU_DEP_2) | instskip(SKIP_1) | instid1(VALU_DEP_2)
	v_lshlrev_b32_e32 v8, v8, v2
	v_bfe_u32 v2, v2, 2, 5
	v_and_b32_e32 v8, 3, v8
	s_delay_alu instid0(VALU_DEP_2) | instskip(SKIP_1) | instid1(VALU_DEP_1)
	v_cmp_eq_u32_e32 vcc_lo, 0, v2
	v_dual_cndmask_b32 v2, v2, v7 :: v_dual_lshlrev_b32 v5, 24, v5
	v_dual_cndmask_b32 v6, v6, v8 :: v_dual_and_b32 v5, 0x80000000, v5
	s_delay_alu instid0(VALU_DEP_2) | instskip(NEXT) | instid1(VALU_DEP_2)
	v_lshl_add_u32 v2, v2, 23, 0x37800000
	v_lshlrev_b32_e32 v6, 21, v6
	s_delay_alu instid0(VALU_DEP_1)
	v_or3_b32 v2, v5, v2, v6
.LBB126_825:
	s_or_b32 exec_lo, exec_lo, s27
	s_mov_b32 s0, 0
	s_branch .LBB126_831
.LBB126_826:
	s_mov_b32 s27, -1
                                        ; implicit-def: $vgpr2
	s_branch .LBB126_837
.LBB126_827:
	s_or_saveexec_b32 s28, s28
	v_mov_b32_e32 v2, s27
	s_xor_b32 exec_lo, exec_lo, s28
	s_cbranch_execz .LBB126_810
.LBB126_828:
	v_cmp_ne_u16_e32 vcc_lo, 0, v5
	v_mov_b32_e32 v2, 0
	s_and_not1_b32 s0, s0, exec_lo
	s_and_b32 s27, vcc_lo, exec_lo
	s_delay_alu instid0(SALU_CYCLE_1)
	s_or_b32 s0, s0, s27
	s_or_b32 exec_lo, exec_lo, s28
	s_and_saveexec_b32 s27, s0
	s_cbranch_execnz .LBB126_811
	s_branch .LBB126_812
.LBB126_829:
	s_mov_b32 s0, -1
                                        ; implicit-def: $vgpr2
	s_branch .LBB126_834
.LBB126_830:
	s_mov_b32 s0, -1
                                        ; implicit-def: $vgpr2
.LBB126_831:
	s_delay_alu instid0(SALU_CYCLE_1)
	s_and_b32 vcc_lo, exec_lo, s0
	s_cbranch_vccz .LBB126_833
; %bb.832:
	global_load_u8 v2, v[0:1], off
	s_waitcnt vmcnt(0)
	v_lshlrev_b32_e32 v2, 24, v2
	s_delay_alu instid0(VALU_DEP_1) | instskip(NEXT) | instid1(VALU_DEP_1)
	v_and_b32_e32 v5, 0x7f000000, v2
	v_clz_i32_u32_e32 v6, v5
	v_cmp_ne_u32_e32 vcc_lo, 0, v5
	v_add_nc_u32_e32 v8, 0x1000000, v5
	s_delay_alu instid0(VALU_DEP_3) | instskip(NEXT) | instid1(VALU_DEP_1)
	v_min_u32_e32 v6, 32, v6
	v_sub_nc_u32_e64 v6, v6, 4 clamp
	s_delay_alu instid0(VALU_DEP_1) | instskip(SKIP_1) | instid1(VALU_DEP_2)
	v_lshlrev_b32_e32 v7, v6, v5
	v_lshlrev_b32_e32 v6, 23, v6
	v_lshrrev_b32_e32 v7, 4, v7
	s_delay_alu instid0(VALU_DEP_1) | instskip(SKIP_1) | instid1(VALU_DEP_2)
	v_sub_nc_u32_e32 v6, v7, v6
	v_ashrrev_i32_e32 v7, 8, v8
	v_add_nc_u32_e32 v6, 0x3c000000, v6
	s_delay_alu instid0(VALU_DEP_1) | instskip(NEXT) | instid1(VALU_DEP_1)
	v_and_or_b32 v6, 0x7f800000, v7, v6
	v_cndmask_b32_e32 v5, 0, v6, vcc_lo
	s_delay_alu instid0(VALU_DEP_1)
	v_and_or_b32 v2, 0x80000000, v2, v5
.LBB126_833:
	s_mov_b32 s0, 0
.LBB126_834:
	s_delay_alu instid0(SALU_CYCLE_1)
	s_and_not1_b32 vcc_lo, exec_lo, s0
	s_cbranch_vccnz .LBB126_836
; %bb.835:
	global_load_u8 v2, v[0:1], off
	s_waitcnt vmcnt(0)
	v_lshlrev_b32_e32 v5, 25, v2
	v_lshlrev_b16 v2, 8, v2
	s_delay_alu instid0(VALU_DEP_2) | instskip(NEXT) | instid1(VALU_DEP_2)
	v_lshrrev_b32_e32 v6, 4, v5
	v_and_or_b32 v7, 0x7f00, v2, 0.5
	v_cmp_gt_u32_e32 vcc_lo, 0x8000000, v5
	v_bfe_i32 v2, v2, 0, 16
	s_delay_alu instid0(VALU_DEP_4) | instskip(NEXT) | instid1(VALU_DEP_1)
	v_or_b32_e32 v6, 0x70000000, v6
	v_dual_add_f32 v7, -0.5, v7 :: v_dual_mul_f32 v6, 0x7800000, v6
	s_delay_alu instid0(VALU_DEP_1) | instskip(NEXT) | instid1(VALU_DEP_1)
	v_cndmask_b32_e32 v5, v6, v7, vcc_lo
	v_and_or_b32 v2, 0x80000000, v2, v5
.LBB126_836:
	s_mov_b32 s27, 0
	s_mov_b32 s0, -1
.LBB126_837:
	s_and_not1_b32 vcc_lo, exec_lo, s27
	s_cbranch_vccnz .LBB126_850
; %bb.838:
	v_cmp_lt_i16_e32 vcc_lo, 14, v3
	s_cbranch_vccz .LBB126_841
; %bb.839:
	v_cmp_eq_u16_e32 vcc_lo, 15, v3
	s_cbranch_vccz .LBB126_844
; %bb.840:
	global_load_u16 v2, v[0:1], off
	s_mov_b32 s0, -1
	s_mov_b32 s26, 0
	s_waitcnt vmcnt(0)
	v_lshlrev_b32_e32 v2, 16, v2
	s_branch .LBB126_845
.LBB126_841:
	s_mov_b32 s27, -1
                                        ; implicit-def: $vgpr2
	s_branch .LBB126_846
.LBB126_842:
	s_or_saveexec_b32 s28, s28
	v_mov_b32_e32 v2, s27
	s_xor_b32 exec_lo, exec_lo, s28
	s_cbranch_execz .LBB126_823
.LBB126_843:
	v_cmp_ne_u16_e32 vcc_lo, 0, v5
	v_mov_b32_e32 v2, 0
	s_and_not1_b32 s0, s0, exec_lo
	s_and_b32 s27, vcc_lo, exec_lo
	s_delay_alu instid0(SALU_CYCLE_1)
	s_or_b32 s0, s0, s27
	s_or_b32 exec_lo, exec_lo, s28
	s_and_saveexec_b32 s27, s0
	s_cbranch_execnz .LBB126_824
	s_branch .LBB126_825
.LBB126_844:
	s_mov_b32 s26, -1
                                        ; implicit-def: $vgpr2
.LBB126_845:
	s_mov_b32 s27, 0
.LBB126_846:
	s_delay_alu instid0(SALU_CYCLE_1)
	s_and_b32 vcc_lo, exec_lo, s27
	s_cbranch_vccz .LBB126_850
; %bb.847:
	v_cmp_eq_u16_e32 vcc_lo, 11, v3
	s_cbranch_vccz .LBB126_849
; %bb.848:
	global_load_u8 v2, v[0:1], off
	s_mov_b32 s26, 0
	s_mov_b32 s0, -1
	s_waitcnt vmcnt(0)
	v_cmp_ne_u16_e32 vcc_lo, 0, v2
	v_cndmask_b32_e64 v2, 0, 1.0, vcc_lo
	s_branch .LBB126_850
.LBB126_849:
	s_mov_b32 s26, -1
                                        ; implicit-def: $vgpr2
.LBB126_850:
	s_mov_b32 s27, 0
.LBB126_851:
	s_delay_alu instid0(SALU_CYCLE_1)
	s_and_b32 vcc_lo, exec_lo, s27
	s_cbranch_vccz .LBB126_900
; %bb.852:
	v_cmp_gt_i16_e32 vcc_lo, 5, v3
	s_cbranch_vccnz .LBB126_857
; %bb.853:
	v_cmp_gt_i16_e32 vcc_lo, 8, v3
	s_cbranch_vccnz .LBB126_858
	;; [unrolled: 3-line block ×3, first 2 shown]
; %bb.855:
	v_cmp_lt_i16_e32 vcc_lo, 9, v3
	s_cbranch_vccz .LBB126_860
; %bb.856:
	global_load_b64 v[5:6], v[0:1], off
	s_mov_b32 s0, 0
	s_waitcnt vmcnt(0)
	v_cvt_f32_f64_e32 v2, v[5:6]
	s_branch .LBB126_861
.LBB126_857:
	s_mov_b32 s0, -1
                                        ; implicit-def: $vgpr2
	s_branch .LBB126_879
.LBB126_858:
	s_mov_b32 s0, -1
                                        ; implicit-def: $vgpr2
	s_branch .LBB126_867
.LBB126_859:
	s_mov_b32 s0, -1
                                        ; implicit-def: $vgpr2
	s_branch .LBB126_864
.LBB126_860:
	s_mov_b32 s0, -1
                                        ; implicit-def: $vgpr2
.LBB126_861:
	s_delay_alu instid0(SALU_CYCLE_1)
	s_and_not1_b32 vcc_lo, exec_lo, s0
	s_cbranch_vccnz .LBB126_863
; %bb.862:
	global_load_b32 v2, v[0:1], off
.LBB126_863:
	s_mov_b32 s0, 0
.LBB126_864:
	s_delay_alu instid0(SALU_CYCLE_1)
	s_and_not1_b32 vcc_lo, exec_lo, s0
	s_cbranch_vccnz .LBB126_866
; %bb.865:
	global_load_b32 v2, v[0:1], off
	s_waitcnt vmcnt(0)
	v_cvt_f32_f16_e32 v2, v2
.LBB126_866:
	s_mov_b32 s0, 0
.LBB126_867:
	s_delay_alu instid0(SALU_CYCLE_1)
	s_and_not1_b32 vcc_lo, exec_lo, s0
	s_cbranch_vccnz .LBB126_878
; %bb.868:
	v_cmp_gt_i16_e32 vcc_lo, 6, v3
	s_cbranch_vccnz .LBB126_871
; %bb.869:
	v_cmp_lt_i16_e32 vcc_lo, 6, v3
	s_cbranch_vccz .LBB126_872
; %bb.870:
	global_load_b64 v[5:6], v[0:1], off
	s_mov_b32 s0, 0
	s_waitcnt vmcnt(0)
	v_cvt_f32_f64_e32 v2, v[5:6]
	s_branch .LBB126_873
.LBB126_871:
	s_mov_b32 s0, -1
                                        ; implicit-def: $vgpr2
	s_branch .LBB126_876
.LBB126_872:
	s_mov_b32 s0, -1
                                        ; implicit-def: $vgpr2
.LBB126_873:
	s_delay_alu instid0(SALU_CYCLE_1)
	s_and_not1_b32 vcc_lo, exec_lo, s0
	s_cbranch_vccnz .LBB126_875
; %bb.874:
	global_load_b32 v2, v[0:1], off
.LBB126_875:
	s_mov_b32 s0, 0
.LBB126_876:
	s_delay_alu instid0(SALU_CYCLE_1)
	s_and_not1_b32 vcc_lo, exec_lo, s0
	s_cbranch_vccnz .LBB126_878
; %bb.877:
	global_load_u16 v2, v[0:1], off
	s_waitcnt vmcnt(0)
	v_cvt_f32_f16_e32 v2, v2
.LBB126_878:
	s_mov_b32 s0, 0
.LBB126_879:
	s_delay_alu instid0(SALU_CYCLE_1)
	s_and_not1_b32 vcc_lo, exec_lo, s0
	s_cbranch_vccnz .LBB126_899
; %bb.880:
	v_cmp_gt_i16_e32 vcc_lo, 2, v3
	s_cbranch_vccnz .LBB126_884
; %bb.881:
	v_cmp_gt_i16_e32 vcc_lo, 3, v3
	s_cbranch_vccnz .LBB126_885
; %bb.882:
	v_cmp_lt_i16_e32 vcc_lo, 3, v3
	s_cbranch_vccz .LBB126_886
; %bb.883:
	global_load_b64 v[5:6], v[0:1], off
	s_mov_b32 s0, 0
	s_waitcnt vmcnt(0)
	v_xor_b32_e32 v2, v5, v6
	v_cls_i32_e32 v7, v6
	s_delay_alu instid0(VALU_DEP_2) | instskip(NEXT) | instid1(VALU_DEP_2)
	v_ashrrev_i32_e32 v2, 31, v2
	v_add_nc_u32_e32 v7, -1, v7
	s_delay_alu instid0(VALU_DEP_2) | instskip(NEXT) | instid1(VALU_DEP_1)
	v_add_nc_u32_e32 v2, 32, v2
	v_min_u32_e32 v2, v7, v2
	s_delay_alu instid0(VALU_DEP_1) | instskip(SKIP_1) | instid1(VALU_DEP_2)
	v_lshlrev_b64 v[5:6], v2, v[5:6]
	v_sub_nc_u32_e32 v2, 32, v2
	v_min_u32_e32 v5, 1, v5
	s_delay_alu instid0(VALU_DEP_1) | instskip(NEXT) | instid1(VALU_DEP_1)
	v_or_b32_e32 v5, v6, v5
	v_cvt_f32_i32_e32 v5, v5
	s_delay_alu instid0(VALU_DEP_1)
	v_ldexp_f32 v2, v5, v2
	s_branch .LBB126_887
.LBB126_884:
	s_mov_b32 s0, -1
                                        ; implicit-def: $vgpr2
	s_branch .LBB126_893
.LBB126_885:
	s_mov_b32 s0, -1
                                        ; implicit-def: $vgpr2
	s_branch .LBB126_890
.LBB126_886:
	s_mov_b32 s0, -1
                                        ; implicit-def: $vgpr2
.LBB126_887:
	s_delay_alu instid0(SALU_CYCLE_1)
	s_and_not1_b32 vcc_lo, exec_lo, s0
	s_cbranch_vccnz .LBB126_889
; %bb.888:
	global_load_b32 v2, v[0:1], off
	s_waitcnt vmcnt(0)
	v_cvt_f32_i32_e32 v2, v2
.LBB126_889:
	s_mov_b32 s0, 0
.LBB126_890:
	s_delay_alu instid0(SALU_CYCLE_1)
	s_and_not1_b32 vcc_lo, exec_lo, s0
	s_cbranch_vccnz .LBB126_892
; %bb.891:
	global_load_i16 v2, v[0:1], off
	s_waitcnt vmcnt(0)
	v_cvt_f32_i32_e32 v2, v2
.LBB126_892:
	s_mov_b32 s0, 0
.LBB126_893:
	s_delay_alu instid0(SALU_CYCLE_1)
	s_and_not1_b32 vcc_lo, exec_lo, s0
	s_cbranch_vccnz .LBB126_899
; %bb.894:
	v_cmp_lt_i16_e32 vcc_lo, 0, v3
	s_mov_b32 s0, 0
	s_cbranch_vccz .LBB126_896
; %bb.895:
	global_load_i8 v2, v[0:1], off
	s_waitcnt vmcnt(0)
	v_cvt_f32_i32_e32 v2, v2
	s_branch .LBB126_897
.LBB126_896:
	s_mov_b32 s0, -1
                                        ; implicit-def: $vgpr2
.LBB126_897:
	s_delay_alu instid0(SALU_CYCLE_1)
	s_and_not1_b32 vcc_lo, exec_lo, s0
	s_cbranch_vccnz .LBB126_899
; %bb.898:
	global_load_u8 v0, v[0:1], off
	s_waitcnt vmcnt(0)
	v_cvt_f32_ubyte0_e32 v2, v0
.LBB126_899:
	s_mov_b32 s0, -1
.LBB126_900:
	s_delay_alu instid0(SALU_CYCLE_1)
	s_and_not1_b32 vcc_lo, exec_lo, s0
	s_cbranch_vccnz .LBB126_908
; %bb.901:
	v_mul_lo_u32 v0, v4, s10
	v_and_b32_e64 v3, 0xff, s1
	s_delay_alu instid0(VALU_DEP_1) | instskip(NEXT) | instid1(VALU_DEP_3)
	v_cmp_gt_i16_e32 vcc_lo, 11, v3
	v_ashrrev_i32_e32 v1, 31, v0
	v_add_co_u32 v0, s0, s2, v0
	s_delay_alu instid0(VALU_DEP_1)
	v_add_co_ci_u32_e64 v1, s0, s3, v1, s0
	s_cbranch_vccnz .LBB126_909
; %bb.902:
	v_cmp_lt_i16_e32 vcc_lo, 25, v3
	s_cbranch_vccz .LBB126_910
; %bb.903:
	v_cmp_lt_i16_e32 vcc_lo, 28, v3
	s_cbranch_vccz .LBB126_911
; %bb.904:
	v_cmp_lt_i16_e32 vcc_lo, 43, v3
	s_cbranch_vccz .LBB126_912
; %bb.905:
	v_cmp_lt_i16_e32 vcc_lo, 45, v3
	s_cbranch_vccz .LBB126_913
; %bb.906:
	v_cmp_eq_u16_e32 vcc_lo, 46, v3
	s_mov_b32 s29, 0
	s_cbranch_vccz .LBB126_916
; %bb.907:
	global_load_b32 v5, v[0:1], off
	s_mov_b32 s27, 0
	s_mov_b32 s0, -1
	s_waitcnt vmcnt(0)
	v_and_b32_e32 v5, 0x7fff7fff, v5
	s_delay_alu instid0(VALU_DEP_1)
	v_cmp_ne_u32_e32 vcc_lo, 0, v5
	s_and_b32 s28, vcc_lo, exec_lo
	s_branch .LBB126_918
.LBB126_908:
	s_mov_b32 s29, 0
	s_mov_b32 s0, s22
	;; [unrolled: 1-line block ×3, first 2 shown]
	s_branch .LBB126_1155
.LBB126_909:
	s_mov_b32 s29, -1
	s_mov_b32 s0, 0
	s_mov_b32 s27, s23
                                        ; implicit-def: $sgpr28
	s_branch .LBB126_981
.LBB126_910:
	s_mov_b32 s29, -1
	s_mov_b32 s0, 0
	s_mov_b32 s27, s23
                                        ; implicit-def: $sgpr28
	s_branch .LBB126_945
.LBB126_911:
	s_mov_b32 s29, -1
	s_mov_b32 s0, 0
	s_mov_b32 s27, s23
                                        ; implicit-def: $sgpr28
	s_branch .LBB126_926
.LBB126_912:
	s_mov_b32 s29, -1
	s_mov_b32 s0, 0
	s_mov_b32 s27, s23
                                        ; implicit-def: $sgpr28
	s_branch .LBB126_921
.LBB126_913:
	s_mov_b32 s29, -1
	s_mov_b32 s0, 0
	s_mov_b32 s27, s23
	s_branch .LBB126_917
.LBB126_914:
	s_or_saveexec_b32 s25, s25
                                        ; implicit-def: $sgpr26
	s_delay_alu instid0(SALU_CYCLE_1)
	s_xor_b32 exec_lo, exec_lo, s25
	s_cbranch_execz .LBB126_689
.LBB126_915:
	v_add_f32_e64 v3, 0x42800000, |v2|
	s_and_not1_b32 s23, s23, exec_lo
	s_mov_b32 s26, 0
	s_delay_alu instid0(VALU_DEP_1) | instskip(NEXT) | instid1(VALU_DEP_1)
	v_and_b32_e32 v3, 0xff, v3
	v_cmp_ne_u32_e32 vcc_lo, 0, v3
	s_and_b32 s27, vcc_lo, exec_lo
	s_delay_alu instid0(SALU_CYCLE_1)
	s_or_b32 s23, s23, s27
	s_or_b32 exec_lo, exec_lo, s25
	v_mov_b32_e32 v6, s26
	s_and_saveexec_b32 s25, s23
	s_cbranch_execnz .LBB126_690
	s_branch .LBB126_691
.LBB126_916:
	s_mov_b32 s27, -1
	s_mov_b32 s0, 0
.LBB126_917:
                                        ; implicit-def: $sgpr28
.LBB126_918:
	s_and_b32 vcc_lo, exec_lo, s29
	s_cbranch_vccz .LBB126_920
; %bb.919:
	v_cmp_eq_u16_e64 s0, 44, v3
	s_or_b32 s28, s28, exec_lo
	s_or_b32 s27, s27, exec_lo
.LBB126_920:
	s_mov_b32 s29, 0
.LBB126_921:
	s_delay_alu instid0(SALU_CYCLE_1)
	s_and_b32 vcc_lo, exec_lo, s29
	s_cbranch_vccz .LBB126_925
; %bb.922:
	v_cmp_eq_u16_e32 vcc_lo, 29, v3
	s_cbranch_vccz .LBB126_924
; %bb.923:
	global_load_b64 v[5:6], v[0:1], off
	s_mov_b32 s0, -1
	s_mov_b32 s27, 0
	s_mov_b32 s29, 0
	s_waitcnt vmcnt(0)
	v_cmp_ne_u64_e32 vcc_lo, 0, v[5:6]
	s_and_b32 s28, vcc_lo, exec_lo
	s_branch .LBB126_926
.LBB126_924:
	s_mov_b32 s27, -1
                                        ; implicit-def: $sgpr28
.LBB126_925:
	s_mov_b32 s29, 0
.LBB126_926:
	s_delay_alu instid0(SALU_CYCLE_1)
	s_and_b32 vcc_lo, exec_lo, s29
	s_cbranch_vccz .LBB126_944
; %bb.927:
	v_cmp_gt_i16_e32 vcc_lo, 27, v3
	s_cbranch_vccnz .LBB126_930
; %bb.928:
	v_cmp_lt_i16_e32 vcc_lo, 27, v3
	s_cbranch_vccz .LBB126_931
; %bb.929:
	global_load_b32 v5, v[0:1], off
	s_mov_b32 s0, 0
	s_waitcnt vmcnt(0)
	v_cmp_ne_u32_e32 vcc_lo, 0, v5
	s_and_b32 s28, vcc_lo, exec_lo
	s_branch .LBB126_932
.LBB126_930:
	s_mov_b32 s0, -1
                                        ; implicit-def: $sgpr28
	s_branch .LBB126_935
.LBB126_931:
	s_mov_b32 s0, -1
                                        ; implicit-def: $sgpr28
.LBB126_932:
	s_delay_alu instid0(SALU_CYCLE_1)
	s_and_not1_b32 vcc_lo, exec_lo, s0
	s_cbranch_vccnz .LBB126_934
; %bb.933:
	global_load_u16 v5, v[0:1], off
	s_and_not1_b32 s0, s28, exec_lo
	s_waitcnt vmcnt(0)
	v_cmp_ne_u16_e32 vcc_lo, 0, v5
	s_and_b32 s28, vcc_lo, exec_lo
	s_delay_alu instid0(SALU_CYCLE_1)
	s_or_b32 s28, s0, s28
.LBB126_934:
	s_mov_b32 s0, 0
.LBB126_935:
	s_delay_alu instid0(SALU_CYCLE_1)
	s_and_not1_b32 vcc_lo, exec_lo, s0
	s_cbranch_vccnz .LBB126_943
; %bb.936:
	global_load_u8 v5, v[0:1], off
	s_mov_b32 s0, 0
	s_mov_b32 s29, exec_lo
                                        ; implicit-def: $sgpr28
	s_waitcnt vmcnt(0)
	v_cmpx_lt_i16_e32 0x7f, v5
	s_xor_b32 s29, exec_lo, s29
	s_cbranch_execz .LBB126_957
; %bb.937:
	s_mov_b32 s0, -1
	s_mov_b32 s30, exec_lo
                                        ; implicit-def: $sgpr28
	v_cmpx_eq_u16_e32 0x80, v5
; %bb.938:
	s_mov_b32 s28, -1
	s_xor_b32 s0, exec_lo, -1
; %bb.939:
	s_or_b32 exec_lo, exec_lo, s30
	s_delay_alu instid0(SALU_CYCLE_1)
	s_and_b32 s0, s0, exec_lo
	s_and_not1_saveexec_b32 s29, s29
	s_cbranch_execnz .LBB126_958
.LBB126_940:
	s_or_b32 exec_lo, exec_lo, s29
	s_and_saveexec_b32 s29, s0
	s_cbranch_execz .LBB126_942
.LBB126_941:
	v_and_b32_e32 v5, 0xffff, v5
	s_and_not1_b32 s0, s28, exec_lo
	s_delay_alu instid0(VALU_DEP_1) | instskip(NEXT) | instid1(VALU_DEP_1)
	v_and_b32_e32 v6, 7, v5
	v_clz_i32_u32_e32 v7, v6
	s_delay_alu instid0(VALU_DEP_1) | instskip(NEXT) | instid1(VALU_DEP_1)
	v_min_u32_e32 v7, 32, v7
	v_subrev_nc_u32_e32 v8, 28, v7
	v_sub_nc_u32_e32 v7, 29, v7
	s_delay_alu instid0(VALU_DEP_2) | instskip(SKIP_1) | instid1(VALU_DEP_2)
	v_lshlrev_b32_e32 v8, v8, v5
	v_bfe_u32 v5, v5, 3, 4
	v_and_b32_e32 v8, 7, v8
	s_delay_alu instid0(VALU_DEP_2) | instskip(NEXT) | instid1(VALU_DEP_2)
	v_cmp_eq_u32_e32 vcc_lo, 0, v5
	v_dual_cndmask_b32 v5, v5, v7 :: v_dual_cndmask_b32 v6, v6, v8
	s_delay_alu instid0(VALU_DEP_1) | instskip(NEXT) | instid1(VALU_DEP_2)
	v_lshl_add_u32 v5, v5, 23, 0x3b800000
	v_lshlrev_b32_e32 v6, 20, v6
	s_delay_alu instid0(VALU_DEP_1) | instskip(NEXT) | instid1(VALU_DEP_1)
	v_and_or_b32 v5, 0x7f800000, v5, v6
	v_cmp_ne_u32_e32 vcc_lo, 0, v5
	s_and_b32 s28, vcc_lo, exec_lo
	s_delay_alu instid0(SALU_CYCLE_1)
	s_or_b32 s28, s0, s28
.LBB126_942:
	s_or_b32 exec_lo, exec_lo, s29
.LBB126_943:
	s_mov_b32 s0, -1
.LBB126_944:
	s_mov_b32 s29, 0
.LBB126_945:
	s_delay_alu instid0(SALU_CYCLE_1)
	s_and_b32 vcc_lo, exec_lo, s29
	s_cbranch_vccz .LBB126_980
; %bb.946:
	v_cmp_lt_i16_e32 vcc_lo, 22, v3
	s_cbranch_vccz .LBB126_956
; %bb.947:
	v_cmp_gt_i16_e32 vcc_lo, 24, v3
	s_cbranch_vccnz .LBB126_959
; %bb.948:
	v_cmp_lt_i16_e32 vcc_lo, 24, v3
	s_cbranch_vccz .LBB126_960
; %bb.949:
	global_load_u8 v5, v[0:1], off
	s_mov_b32 s0, 0
	s_mov_b32 s29, exec_lo
                                        ; implicit-def: $sgpr28
	s_waitcnt vmcnt(0)
	v_cmpx_lt_i16_e32 0x7f, v5
	s_xor_b32 s29, exec_lo, s29
	s_cbranch_execz .LBB126_972
; %bb.950:
	s_mov_b32 s0, -1
	s_mov_b32 s30, exec_lo
                                        ; implicit-def: $sgpr28
	v_cmpx_eq_u16_e32 0x80, v5
; %bb.951:
	s_mov_b32 s28, -1
	s_xor_b32 s0, exec_lo, -1
; %bb.952:
	s_or_b32 exec_lo, exec_lo, s30
	s_delay_alu instid0(SALU_CYCLE_1)
	s_and_b32 s0, s0, exec_lo
	s_and_not1_saveexec_b32 s29, s29
	s_cbranch_execnz .LBB126_973
.LBB126_953:
	s_or_b32 exec_lo, exec_lo, s29
	s_and_saveexec_b32 s29, s0
	s_cbranch_execz .LBB126_955
.LBB126_954:
	v_and_b32_e32 v5, 0xffff, v5
	s_and_not1_b32 s0, s28, exec_lo
	s_delay_alu instid0(VALU_DEP_1) | instskip(NEXT) | instid1(VALU_DEP_1)
	v_and_b32_e32 v6, 3, v5
	v_clz_i32_u32_e32 v7, v6
	s_delay_alu instid0(VALU_DEP_1) | instskip(NEXT) | instid1(VALU_DEP_1)
	v_min_u32_e32 v7, 32, v7
	v_subrev_nc_u32_e32 v8, 29, v7
	v_sub_nc_u32_e32 v7, 30, v7
	s_delay_alu instid0(VALU_DEP_2) | instskip(SKIP_1) | instid1(VALU_DEP_2)
	v_lshlrev_b32_e32 v8, v8, v5
	v_bfe_u32 v5, v5, 2, 5
	v_and_b32_e32 v8, 3, v8
	s_delay_alu instid0(VALU_DEP_2) | instskip(NEXT) | instid1(VALU_DEP_2)
	v_cmp_eq_u32_e32 vcc_lo, 0, v5
	v_dual_cndmask_b32 v5, v5, v7 :: v_dual_cndmask_b32 v6, v6, v8
	s_delay_alu instid0(VALU_DEP_1) | instskip(NEXT) | instid1(VALU_DEP_2)
	v_lshl_add_u32 v5, v5, 23, 0x37800000
	v_lshlrev_b32_e32 v6, 21, v6
	s_delay_alu instid0(VALU_DEP_1) | instskip(NEXT) | instid1(VALU_DEP_1)
	v_and_or_b32 v5, 0x7f800000, v5, v6
	v_cmp_ne_u32_e32 vcc_lo, 0, v5
	s_and_b32 s28, vcc_lo, exec_lo
	s_delay_alu instid0(SALU_CYCLE_1)
	s_or_b32 s28, s0, s28
.LBB126_955:
	s_or_b32 exec_lo, exec_lo, s29
	s_mov_b32 s0, 0
	s_branch .LBB126_961
.LBB126_956:
	s_mov_b32 s29, -1
                                        ; implicit-def: $sgpr28
	s_branch .LBB126_967
.LBB126_957:
	s_and_not1_saveexec_b32 s29, s29
	s_cbranch_execz .LBB126_940
.LBB126_958:
	v_cmp_ne_u16_e32 vcc_lo, 0, v5
	s_and_not1_b32 s0, s0, exec_lo
	s_and_not1_b32 s28, s28, exec_lo
	s_and_b32 s30, vcc_lo, exec_lo
	s_delay_alu instid0(SALU_CYCLE_1)
	s_or_b32 s0, s0, s30
	s_or_b32 exec_lo, exec_lo, s29
	s_and_saveexec_b32 s29, s0
	s_cbranch_execnz .LBB126_941
	s_branch .LBB126_942
.LBB126_959:
	s_mov_b32 s0, -1
                                        ; implicit-def: $sgpr28
	s_branch .LBB126_964
.LBB126_960:
	s_mov_b32 s0, -1
                                        ; implicit-def: $sgpr28
.LBB126_961:
	s_delay_alu instid0(SALU_CYCLE_1)
	s_and_b32 vcc_lo, exec_lo, s0
	s_cbranch_vccz .LBB126_963
; %bb.962:
	global_load_u8 v5, v[0:1], off
	s_and_not1_b32 s28, s28, exec_lo
	s_waitcnt vmcnt(0)
	v_lshlrev_b32_e32 v5, 24, v5
	s_delay_alu instid0(VALU_DEP_1) | instskip(NEXT) | instid1(VALU_DEP_1)
	v_and_b32_e32 v5, 0x7f000000, v5
	v_clz_i32_u32_e32 v6, v5
	v_add_nc_u32_e32 v8, 0x1000000, v5
	v_cmp_ne_u32_e32 vcc_lo, 0, v5
	s_delay_alu instid0(VALU_DEP_3) | instskip(NEXT) | instid1(VALU_DEP_3)
	v_min_u32_e32 v6, 32, v6
	v_ashrrev_i32_e32 v8, 8, v8
	s_delay_alu instid0(VALU_DEP_2) | instskip(NEXT) | instid1(VALU_DEP_1)
	v_sub_nc_u32_e64 v6, v6, 4 clamp
	v_lshlrev_b32_e32 v7, v6, v5
	v_lshlrev_b32_e32 v6, 23, v6
	s_delay_alu instid0(VALU_DEP_2) | instskip(NEXT) | instid1(VALU_DEP_1)
	v_lshrrev_b32_e32 v7, 4, v7
	v_sub_nc_u32_e32 v6, v7, v6
	v_and_b32_e32 v7, 0x7f800000, v8
	s_delay_alu instid0(VALU_DEP_2) | instskip(NEXT) | instid1(VALU_DEP_1)
	v_add_nc_u32_e32 v6, 0x3c000000, v6
	v_and_or_b32 v6, 0x7ff00000, v6, v7
	s_delay_alu instid0(VALU_DEP_1) | instskip(NEXT) | instid1(VALU_DEP_1)
	v_cmp_ne_u32_e64 s0, 0, v6
	s_and_b32 s0, vcc_lo, s0
	s_delay_alu instid0(SALU_CYCLE_1) | instskip(NEXT) | instid1(SALU_CYCLE_1)
	s_and_b32 s0, s0, exec_lo
	s_or_b32 s28, s28, s0
.LBB126_963:
	s_mov_b32 s0, 0
.LBB126_964:
	s_delay_alu instid0(SALU_CYCLE_1)
	s_and_not1_b32 vcc_lo, exec_lo, s0
	s_cbranch_vccnz .LBB126_966
; %bb.965:
	global_load_u8 v5, v[0:1], off
	s_and_not1_b32 s0, s28, exec_lo
	s_waitcnt vmcnt(0)
	v_lshlrev_b32_e32 v6, 25, v5
	v_lshlrev_b32_e32 v5, 8, v5
	s_delay_alu instid0(VALU_DEP_2) | instskip(NEXT) | instid1(VALU_DEP_2)
	v_lshrrev_b32_e32 v7, 4, v6
	v_and_or_b32 v5, 0x7f00, v5, 0.5
	s_delay_alu instid0(VALU_DEP_2) | instskip(NEXT) | instid1(VALU_DEP_2)
	v_or_b32_e32 v7, 0x70000000, v7
	v_add_f32_e32 v5, -0.5, v5
	s_delay_alu instid0(VALU_DEP_2) | instskip(SKIP_1) | instid1(VALU_DEP_2)
	v_mul_f32_e32 v7, 0x7800000, v7
	v_cmp_gt_u32_e32 vcc_lo, 0x8000000, v6
	v_cndmask_b32_e32 v5, v7, v5, vcc_lo
	s_delay_alu instid0(VALU_DEP_1) | instskip(SKIP_1) | instid1(SALU_CYCLE_1)
	v_cmp_neq_f32_e32 vcc_lo, 0, v5
	s_and_b32 s28, vcc_lo, exec_lo
	s_or_b32 s28, s0, s28
.LBB126_966:
	s_mov_b32 s29, 0
	s_mov_b32 s0, -1
.LBB126_967:
	s_and_not1_b32 vcc_lo, exec_lo, s29
	s_cbranch_vccnz .LBB126_980
; %bb.968:
	v_cmp_lt_i16_e32 vcc_lo, 14, v3
	s_cbranch_vccz .LBB126_971
; %bb.969:
	v_cmp_eq_u16_e32 vcc_lo, 15, v3
	s_cbranch_vccz .LBB126_974
; %bb.970:
	global_load_u16 v5, v[0:1], off
	s_mov_b32 s27, 0
	s_mov_b32 s0, -1
	s_waitcnt vmcnt(0)
	v_and_b32_e32 v5, 0x7fff, v5
	s_delay_alu instid0(VALU_DEP_1)
	v_cmp_ne_u16_e32 vcc_lo, 0, v5
	s_and_b32 s28, vcc_lo, exec_lo
	s_branch .LBB126_975
.LBB126_971:
	s_mov_b32 s29, -1
                                        ; implicit-def: $sgpr28
	s_branch .LBB126_976
.LBB126_972:
	s_and_not1_saveexec_b32 s29, s29
	s_cbranch_execz .LBB126_953
.LBB126_973:
	v_cmp_ne_u16_e32 vcc_lo, 0, v5
	s_and_not1_b32 s0, s0, exec_lo
	s_and_not1_b32 s28, s28, exec_lo
	s_and_b32 s30, vcc_lo, exec_lo
	s_delay_alu instid0(SALU_CYCLE_1)
	s_or_b32 s0, s0, s30
	s_or_b32 exec_lo, exec_lo, s29
	s_and_saveexec_b32 s29, s0
	s_cbranch_execnz .LBB126_954
	s_branch .LBB126_955
.LBB126_974:
	s_mov_b32 s27, -1
                                        ; implicit-def: $sgpr28
.LBB126_975:
	s_mov_b32 s29, 0
.LBB126_976:
	s_delay_alu instid0(SALU_CYCLE_1)
	s_and_b32 vcc_lo, exec_lo, s29
	s_cbranch_vccz .LBB126_980
; %bb.977:
	v_cmp_eq_u16_e32 vcc_lo, 11, v3
	s_cbranch_vccz .LBB126_979
; %bb.978:
	global_load_u8 v5, v[0:1], off
	s_mov_b32 s27, 0
	s_mov_b32 s0, -1
	s_waitcnt vmcnt(0)
	v_cmp_ne_u16_e32 vcc_lo, 0, v5
	s_and_b32 s28, vcc_lo, exec_lo
	s_branch .LBB126_980
.LBB126_979:
	s_mov_b32 s27, -1
                                        ; implicit-def: $sgpr28
.LBB126_980:
	s_mov_b32 s29, 0
.LBB126_981:
	s_delay_alu instid0(SALU_CYCLE_1)
	s_and_b32 vcc_lo, exec_lo, s29
	s_cbranch_vccz .LBB126_1030
; %bb.982:
	v_cmp_gt_i16_e32 vcc_lo, 5, v3
	s_cbranch_vccnz .LBB126_987
; %bb.983:
	v_cmp_gt_i16_e32 vcc_lo, 8, v3
	s_cbranch_vccnz .LBB126_988
	;; [unrolled: 3-line block ×3, first 2 shown]
; %bb.985:
	v_cmp_lt_i16_e32 vcc_lo, 9, v3
	s_cbranch_vccz .LBB126_990
; %bb.986:
	global_load_b128 v[5:8], v[0:1], off
	s_waitcnt vmcnt(0)
	v_cmp_neq_f64_e32 vcc_lo, 0, v[5:6]
	v_cmp_neq_f64_e64 s0, 0, v[7:8]
	s_delay_alu instid0(VALU_DEP_1)
	s_or_b32 s28, vcc_lo, s0
	s_mov_b32 s0, 0
	s_and_b32 s28, s28, exec_lo
	s_branch .LBB126_991
.LBB126_987:
	s_mov_b32 s0, -1
                                        ; implicit-def: $sgpr28
	s_branch .LBB126_1009
.LBB126_988:
	s_mov_b32 s0, -1
                                        ; implicit-def: $sgpr28
	s_branch .LBB126_997
.LBB126_989:
	s_mov_b32 s0, -1
                                        ; implicit-def: $sgpr28
	s_branch .LBB126_994
.LBB126_990:
	s_mov_b32 s0, -1
                                        ; implicit-def: $sgpr28
.LBB126_991:
	s_delay_alu instid0(SALU_CYCLE_1)
	s_and_not1_b32 vcc_lo, exec_lo, s0
	s_cbranch_vccnz .LBB126_993
; %bb.992:
	global_load_b64 v[5:6], v[0:1], off
	s_and_not1_b32 s0, s28, exec_lo
	s_waitcnt vmcnt(0)
	v_or_b32_e32 v5, v5, v6
	s_delay_alu instid0(VALU_DEP_1) | instskip(NEXT) | instid1(VALU_DEP_1)
	v_and_b32_e32 v5, 0x7fffffff, v5
	v_cmp_ne_u32_e32 vcc_lo, 0, v5
	s_and_b32 s28, vcc_lo, exec_lo
	s_delay_alu instid0(SALU_CYCLE_1)
	s_or_b32 s28, s0, s28
.LBB126_993:
	s_mov_b32 s0, 0
.LBB126_994:
	s_delay_alu instid0(SALU_CYCLE_1)
	s_and_not1_b32 vcc_lo, exec_lo, s0
	s_cbranch_vccnz .LBB126_996
; %bb.995:
	global_load_b32 v5, v[0:1], off
	s_and_not1_b32 s0, s28, exec_lo
	s_waitcnt vmcnt(0)
	v_and_b32_e32 v5, 0x7fff7fff, v5
	s_delay_alu instid0(VALU_DEP_1) | instskip(SKIP_1) | instid1(SALU_CYCLE_1)
	v_cmp_ne_u32_e32 vcc_lo, 0, v5
	s_and_b32 s28, vcc_lo, exec_lo
	s_or_b32 s28, s0, s28
.LBB126_996:
	s_mov_b32 s0, 0
.LBB126_997:
	s_delay_alu instid0(SALU_CYCLE_1)
	s_and_not1_b32 vcc_lo, exec_lo, s0
	s_cbranch_vccnz .LBB126_1008
; %bb.998:
	v_cmp_gt_i16_e32 vcc_lo, 6, v3
	s_cbranch_vccnz .LBB126_1001
; %bb.999:
	v_cmp_lt_i16_e32 vcc_lo, 6, v3
	s_cbranch_vccz .LBB126_1002
; %bb.1000:
	global_load_b64 v[5:6], v[0:1], off
	s_mov_b32 s0, 0
	s_waitcnt vmcnt(0)
	v_cmp_neq_f64_e32 vcc_lo, 0, v[5:6]
	s_and_b32 s28, vcc_lo, exec_lo
	s_branch .LBB126_1003
.LBB126_1001:
	s_mov_b32 s0, -1
                                        ; implicit-def: $sgpr28
	s_branch .LBB126_1006
.LBB126_1002:
	s_mov_b32 s0, -1
                                        ; implicit-def: $sgpr28
.LBB126_1003:
	s_delay_alu instid0(SALU_CYCLE_1)
	s_and_not1_b32 vcc_lo, exec_lo, s0
	s_cbranch_vccnz .LBB126_1005
; %bb.1004:
	global_load_b32 v5, v[0:1], off
	s_and_not1_b32 s0, s28, exec_lo
	s_waitcnt vmcnt(0)
	v_cmp_neq_f32_e32 vcc_lo, 0, v5
	s_and_b32 s28, vcc_lo, exec_lo
	s_delay_alu instid0(SALU_CYCLE_1)
	s_or_b32 s28, s0, s28
.LBB126_1005:
	s_mov_b32 s0, 0
.LBB126_1006:
	s_delay_alu instid0(SALU_CYCLE_1)
	s_and_not1_b32 vcc_lo, exec_lo, s0
	s_cbranch_vccnz .LBB126_1008
; %bb.1007:
	global_load_u16 v5, v[0:1], off
	s_and_not1_b32 s0, s28, exec_lo
	s_waitcnt vmcnt(0)
	v_and_b32_e32 v5, 0x7fff, v5
	s_delay_alu instid0(VALU_DEP_1) | instskip(SKIP_1) | instid1(SALU_CYCLE_1)
	v_cmp_ne_u16_e32 vcc_lo, 0, v5
	s_and_b32 s28, vcc_lo, exec_lo
	s_or_b32 s28, s0, s28
.LBB126_1008:
	s_mov_b32 s0, 0
.LBB126_1009:
	s_delay_alu instid0(SALU_CYCLE_1)
	s_and_not1_b32 vcc_lo, exec_lo, s0
	s_cbranch_vccnz .LBB126_1029
; %bb.1010:
	v_cmp_gt_i16_e32 vcc_lo, 2, v3
	s_cbranch_vccnz .LBB126_1014
; %bb.1011:
	v_cmp_gt_i16_e32 vcc_lo, 3, v3
	s_cbranch_vccnz .LBB126_1015
; %bb.1012:
	v_cmp_lt_i16_e32 vcc_lo, 3, v3
	s_cbranch_vccz .LBB126_1016
; %bb.1013:
	global_load_b64 v[5:6], v[0:1], off
	s_mov_b32 s0, 0
	s_waitcnt vmcnt(0)
	v_cmp_ne_u64_e32 vcc_lo, 0, v[5:6]
	s_and_b32 s28, vcc_lo, exec_lo
	s_branch .LBB126_1017
.LBB126_1014:
	s_mov_b32 s0, -1
                                        ; implicit-def: $sgpr28
	s_branch .LBB126_1023
.LBB126_1015:
	s_mov_b32 s0, -1
                                        ; implicit-def: $sgpr28
	s_branch .LBB126_1020
.LBB126_1016:
	s_mov_b32 s0, -1
                                        ; implicit-def: $sgpr28
.LBB126_1017:
	s_delay_alu instid0(SALU_CYCLE_1)
	s_and_not1_b32 vcc_lo, exec_lo, s0
	s_cbranch_vccnz .LBB126_1019
; %bb.1018:
	global_load_b32 v5, v[0:1], off
	s_and_not1_b32 s0, s28, exec_lo
	s_waitcnt vmcnt(0)
	v_cmp_ne_u32_e32 vcc_lo, 0, v5
	s_and_b32 s28, vcc_lo, exec_lo
	s_delay_alu instid0(SALU_CYCLE_1)
	s_or_b32 s28, s0, s28
.LBB126_1019:
	s_mov_b32 s0, 0
.LBB126_1020:
	s_delay_alu instid0(SALU_CYCLE_1)
	s_and_not1_b32 vcc_lo, exec_lo, s0
	s_cbranch_vccnz .LBB126_1022
; %bb.1021:
	global_load_u16 v5, v[0:1], off
	s_and_not1_b32 s0, s28, exec_lo
	s_waitcnt vmcnt(0)
	v_cmp_ne_u16_e32 vcc_lo, 0, v5
	s_and_b32 s28, vcc_lo, exec_lo
	s_delay_alu instid0(SALU_CYCLE_1)
	s_or_b32 s28, s0, s28
.LBB126_1022:
	s_mov_b32 s0, 0
.LBB126_1023:
	s_delay_alu instid0(SALU_CYCLE_1)
	s_and_not1_b32 vcc_lo, exec_lo, s0
	s_cbranch_vccnz .LBB126_1029
; %bb.1024:
	v_cmp_lt_i16_e32 vcc_lo, 0, v3
	s_mov_b32 s0, 0
	s_cbranch_vccz .LBB126_1026
; %bb.1025:
	global_load_u8 v3, v[0:1], off
	s_waitcnt vmcnt(0)
	v_cmp_ne_u16_e32 vcc_lo, 0, v3
	s_and_b32 s28, vcc_lo, exec_lo
	s_branch .LBB126_1027
.LBB126_1026:
	s_mov_b32 s0, -1
                                        ; implicit-def: $sgpr28
.LBB126_1027:
	s_delay_alu instid0(SALU_CYCLE_1)
	s_and_not1_b32 vcc_lo, exec_lo, s0
	s_cbranch_vccnz .LBB126_1029
; %bb.1028:
	global_load_u8 v0, v[0:1], off
	s_and_not1_b32 s0, s28, exec_lo
	s_waitcnt vmcnt(0)
	v_cmp_ne_u16_e32 vcc_lo, 0, v0
	s_and_b32 s28, vcc_lo, exec_lo
	s_delay_alu instid0(SALU_CYCLE_1)
	s_or_b32 s28, s0, s28
.LBB126_1029:
	s_mov_b32 s0, -1
.LBB126_1030:
	s_delay_alu instid0(SALU_CYCLE_1)
	s_and_not1_b32 vcc_lo, exec_lo, s0
	s_cbranch_vccnz .LBB126_1038
; %bb.1031:
	v_mul_lo_u32 v1, v4, s8
	v_cndmask_b32_e64 v0, 0, 1.0, s28
	v_and_b32_e64 v5, 0xff, s12
	s_waitcnt vmcnt(0)
	s_delay_alu instid0(VALU_DEP_2) | instskip(NEXT) | instid1(VALU_DEP_2)
	v_mul_f32_e32 v0, v2, v0
	v_cmp_gt_i16_e32 vcc_lo, 11, v5
	v_ashrrev_i32_e32 v3, 31, v1
	s_delay_alu instid0(VALU_DEP_3) | instskip(SKIP_1) | instid1(VALU_DEP_1)
	v_mul_f32_e32 v2, s11, v0
	v_add_co_u32 v0, s0, s4, v1
	v_add_co_ci_u32_e64 v1, s0, s5, v3, s0
	s_cbranch_vccnz .LBB126_1039
; %bb.1032:
	v_cmp_lt_i16_e32 vcc_lo, 25, v5
	s_cbranch_vccz .LBB126_1040
; %bb.1033:
	v_cmp_lt_i16_e32 vcc_lo, 28, v5
	s_cbranch_vccz .LBB126_1041
	;; [unrolled: 3-line block ×4, first 2 shown]
; %bb.1036:
	v_cmp_eq_u16_e32 vcc_lo, 46, v5
	s_mov_b32 s28, 0
	s_mov_b32 s0, -1
	s_mov_b32 s27, 0
	s_cbranch_vccz .LBB126_1044
; %bb.1037:
	v_bfe_u32 v3, v2, 16, 1
	v_cmp_o_f32_e32 vcc_lo, v2, v2
	s_mov_b32 s27, -1
	s_mov_b32 s0, 0
	s_delay_alu instid0(VALU_DEP_2) | instskip(NEXT) | instid1(VALU_DEP_1)
	v_add3_u32 v3, v2, v3, 0x7fff
	v_lshrrev_b32_e32 v3, 16, v3
	s_delay_alu instid0(VALU_DEP_1)
	v_cndmask_b32_e32 v3, 0x7fc0, v3, vcc_lo
	global_store_b32 v[0:1], v3, off
	s_branch .LBB126_1044
.LBB126_1038:
	s_mov_b32 s29, 0
	s_mov_b32 s0, s22
	s_branch .LBB126_1155
.LBB126_1039:
	s_mov_b32 s28, -1
	s_mov_b32 s27, 0
	s_mov_b32 s0, s22
	s_branch .LBB126_1113
.LBB126_1040:
	s_mov_b32 s28, -1
	s_mov_b32 s27, 0
	s_mov_b32 s0, s22
	s_branch .LBB126_1071
.LBB126_1041:
	s_mov_b32 s28, -1
	s_mov_b32 s27, 0
	s_mov_b32 s0, s22
	s_branch .LBB126_1054
.LBB126_1042:
	s_mov_b32 s28, -1
	s_mov_b32 s27, 0
	s_mov_b32 s0, s22
	s_branch .LBB126_1050
.LBB126_1043:
	s_mov_b32 s28, -1
	s_mov_b32 s27, 0
	s_mov_b32 s0, s22
.LBB126_1044:
	s_and_b32 vcc_lo, exec_lo, s28
	s_cbranch_vccz .LBB126_1049
; %bb.1045:
	v_cmp_eq_u16_e32 vcc_lo, 44, v5
	s_mov_b32 s0, -1
	s_cbranch_vccz .LBB126_1049
; %bb.1046:
	v_bfe_u32 v6, v2, 23, 8
	v_mov_b32_e32 v3, 0xff
	s_mov_b32 s27, exec_lo
	s_delay_alu instid0(VALU_DEP_2)
	v_cmpx_ne_u32_e32 0xff, v6
; %bb.1047:
	v_and_b32_e32 v3, 0x400000, v2
	v_and_or_b32 v6, 0x3fffff, v2, v6
	s_delay_alu instid0(VALU_DEP_2) | instskip(NEXT) | instid1(VALU_DEP_2)
	v_cmp_ne_u32_e32 vcc_lo, 0, v3
	v_cmp_ne_u32_e64 s0, 0, v6
	v_lshrrev_b32_e32 v3, 23, v2
	s_delay_alu instid0(VALU_DEP_2) | instskip(NEXT) | instid1(SALU_CYCLE_1)
	s_and_b32 s0, vcc_lo, s0
	v_cndmask_b32_e64 v6, 0, 1, s0
	s_delay_alu instid0(VALU_DEP_1)
	v_add_nc_u32_e32 v3, v3, v6
; %bb.1048:
	s_or_b32 exec_lo, exec_lo, s27
	s_mov_b32 s27, -1
	s_mov_b32 s0, 0
	global_store_b8 v[0:1], v3, off
.LBB126_1049:
	s_mov_b32 s28, 0
.LBB126_1050:
	s_delay_alu instid0(SALU_CYCLE_1)
	s_and_b32 vcc_lo, exec_lo, s28
	s_cbranch_vccz .LBB126_1053
; %bb.1051:
	v_cmp_eq_u16_e32 vcc_lo, 29, v5
	s_mov_b32 s0, -1
	s_cbranch_vccz .LBB126_1053
; %bb.1052:
	v_trunc_f32_e32 v3, v2
	s_mov_b32 s27, -1
	s_mov_b32 s0, 0
	s_mov_b32 s28, 0
	s_delay_alu instid0(VALU_DEP_1) | instskip(NEXT) | instid1(VALU_DEP_1)
	v_mul_f32_e32 v6, 0x2f800000, v3
	v_floor_f32_e32 v6, v6
	s_delay_alu instid0(VALU_DEP_1) | instskip(SKIP_1) | instid1(VALU_DEP_2)
	v_fmamk_f32 v3, v6, 0xcf800000, v3
	v_cvt_u32_f32_e32 v7, v6
	v_cvt_u32_f32_e32 v6, v3
	global_store_b64 v[0:1], v[6:7], off
	s_branch .LBB126_1054
.LBB126_1053:
	s_mov_b32 s28, 0
.LBB126_1054:
	s_delay_alu instid0(SALU_CYCLE_1)
	s_and_b32 vcc_lo, exec_lo, s28
	s_cbranch_vccz .LBB126_1070
; %bb.1055:
	v_cmp_gt_i16_e32 vcc_lo, 27, v5
	s_mov_b32 s27, -1
	s_cbranch_vccnz .LBB126_1061
; %bb.1056:
	v_cmp_lt_i16_e32 vcc_lo, 27, v5
	v_cvt_u32_f32_e32 v3, v2
	s_cbranch_vccz .LBB126_1058
; %bb.1057:
	s_mov_b32 s27, 0
	global_store_b32 v[0:1], v3, off
.LBB126_1058:
	s_and_not1_b32 vcc_lo, exec_lo, s27
	s_cbranch_vccnz .LBB126_1060
; %bb.1059:
	global_store_b16 v[0:1], v3, off
.LBB126_1060:
	s_mov_b32 s27, 0
.LBB126_1061:
	s_delay_alu instid0(SALU_CYCLE_1)
	s_and_not1_b32 vcc_lo, exec_lo, s27
	s_cbranch_vccnz .LBB126_1069
; %bb.1062:
	v_and_b32_e32 v3, 0x7fffffff, v2
	v_mov_b32_e32 v6, 0x80
	s_mov_b32 s27, exec_lo
	s_delay_alu instid0(VALU_DEP_2)
	v_cmpx_gt_u32_e32 0x43800000, v3
	s_cbranch_execz .LBB126_1068
; %bb.1063:
	v_cmp_lt_u32_e32 vcc_lo, 0x3bffffff, v3
	s_mov_b32 s28, 0
                                        ; implicit-def: $vgpr3
	s_and_saveexec_b32 s29, vcc_lo
	s_delay_alu instid0(SALU_CYCLE_1)
	s_xor_b32 s29, exec_lo, s29
	s_cbranch_execz .LBB126_1171
; %bb.1064:
	v_bfe_u32 v3, v2, 20, 1
	s_mov_b32 s28, exec_lo
	s_delay_alu instid0(VALU_DEP_1) | instskip(NEXT) | instid1(VALU_DEP_1)
	v_add3_u32 v3, v2, v3, 0x487ffff
	v_lshrrev_b32_e32 v3, 20, v3
	s_or_saveexec_b32 s29, s29
                                        ; implicit-def: $sgpr30
	s_delay_alu instid0(SALU_CYCLE_1)
	s_xor_b32 exec_lo, exec_lo, s29
	s_cbranch_execnz .LBB126_1172
.LBB126_1065:
	s_or_b32 exec_lo, exec_lo, s29
	v_mov_b32_e32 v6, s30
	s_and_saveexec_b32 s29, s28
.LBB126_1066:
	v_lshrrev_b32_e32 v6, 24, v2
	s_delay_alu instid0(VALU_DEP_1)
	v_and_or_b32 v6, 0x80, v6, v3
.LBB126_1067:
	s_or_b32 exec_lo, exec_lo, s29
.LBB126_1068:
	s_delay_alu instid0(SALU_CYCLE_1)
	s_or_b32 exec_lo, exec_lo, s27
	global_store_b8 v[0:1], v6, off
.LBB126_1069:
	s_mov_b32 s27, -1
.LBB126_1070:
	s_mov_b32 s28, 0
.LBB126_1071:
	s_delay_alu instid0(SALU_CYCLE_1)
	s_and_b32 vcc_lo, exec_lo, s28
	s_cbranch_vccz .LBB126_1112
; %bb.1072:
	v_cmp_lt_i16_e32 vcc_lo, 22, v5
	s_mov_b32 s28, -1
	s_cbranch_vccz .LBB126_1104
; %bb.1073:
	v_cmp_gt_i16_e32 vcc_lo, 24, v5
	s_mov_b32 s27, -1
	s_cbranch_vccnz .LBB126_1093
; %bb.1074:
	v_cmp_lt_i16_e32 vcc_lo, 24, v5
	s_cbranch_vccz .LBB126_1082
; %bb.1075:
	v_and_b32_e32 v3, 0x7fffffff, v2
	v_mov_b32_e32 v6, 0x80
	s_mov_b32 s27, exec_lo
	s_delay_alu instid0(VALU_DEP_2)
	v_cmpx_gt_u32_e32 0x47800000, v3
	s_cbranch_execz .LBB126_1081
; %bb.1076:
	v_cmp_lt_u32_e32 vcc_lo, 0x37ffffff, v3
	s_mov_b32 s28, 0
                                        ; implicit-def: $vgpr3
	s_and_saveexec_b32 s29, vcc_lo
	s_delay_alu instid0(SALU_CYCLE_1)
	s_xor_b32 s29, exec_lo, s29
	s_cbranch_execz .LBB126_2220
; %bb.1077:
	v_bfe_u32 v3, v2, 21, 1
	s_mov_b32 s28, exec_lo
	s_delay_alu instid0(VALU_DEP_1) | instskip(NEXT) | instid1(VALU_DEP_1)
	v_add3_u32 v3, v2, v3, 0x88fffff
	v_lshrrev_b32_e32 v3, 21, v3
	s_or_saveexec_b32 s29, s29
                                        ; implicit-def: $sgpr30
	s_delay_alu instid0(SALU_CYCLE_1)
	s_xor_b32 exec_lo, exec_lo, s29
	s_cbranch_execnz .LBB126_2221
.LBB126_1078:
	s_or_b32 exec_lo, exec_lo, s29
	v_mov_b32_e32 v6, s30
	s_and_saveexec_b32 s29, s28
.LBB126_1079:
	v_lshrrev_b32_e32 v6, 24, v2
	s_delay_alu instid0(VALU_DEP_1)
	v_and_or_b32 v6, 0x80, v6, v3
.LBB126_1080:
	s_or_b32 exec_lo, exec_lo, s29
.LBB126_1081:
	s_delay_alu instid0(SALU_CYCLE_1)
	s_or_b32 exec_lo, exec_lo, s27
	s_mov_b32 s27, 0
	global_store_b8 v[0:1], v6, off
.LBB126_1082:
	s_and_b32 vcc_lo, exec_lo, s27
	s_cbranch_vccz .LBB126_1092
; %bb.1083:
	v_and_b32_e32 v6, 0x7fffffff, v2
	s_mov_b32 s27, exec_lo
                                        ; implicit-def: $vgpr3
	s_delay_alu instid0(VALU_DEP_1)
	v_cmpx_gt_u32_e32 0x43f00000, v6
	s_xor_b32 s27, exec_lo, s27
	s_cbranch_execz .LBB126_1089
; %bb.1084:
	s_mov_b32 s28, exec_lo
                                        ; implicit-def: $vgpr3
	v_cmpx_lt_u32_e32 0x3c7fffff, v6
	s_xor_b32 s28, exec_lo, s28
; %bb.1085:
	v_bfe_u32 v3, v2, 20, 1
	s_delay_alu instid0(VALU_DEP_1) | instskip(NEXT) | instid1(VALU_DEP_1)
	v_add3_u32 v3, v2, v3, 0x407ffff
	v_and_b32_e32 v6, 0xff00000, v3
	v_lshrrev_b32_e32 v3, 20, v3
	s_delay_alu instid0(VALU_DEP_2) | instskip(NEXT) | instid1(VALU_DEP_2)
	v_cmp_ne_u32_e32 vcc_lo, 0x7f00000, v6
	v_cndmask_b32_e32 v3, 0x7e, v3, vcc_lo
; %bb.1086:
	s_and_not1_saveexec_b32 s28, s28
; %bb.1087:
	v_add_f32_e64 v3, 0x46800000, |v2|
; %bb.1088:
	s_or_b32 exec_lo, exec_lo, s28
                                        ; implicit-def: $vgpr6
.LBB126_1089:
	s_and_not1_saveexec_b32 s27, s27
; %bb.1090:
	v_mov_b32_e32 v3, 0x7f
	v_cmp_lt_u32_e32 vcc_lo, 0x7f800000, v6
	s_delay_alu instid0(VALU_DEP_2)
	v_cndmask_b32_e32 v3, 0x7e, v3, vcc_lo
; %bb.1091:
	s_or_b32 exec_lo, exec_lo, s27
	v_lshrrev_b32_e32 v6, 24, v2
	s_delay_alu instid0(VALU_DEP_1)
	v_and_or_b32 v3, 0x80, v6, v3
	global_store_b8 v[0:1], v3, off
.LBB126_1092:
	s_mov_b32 s27, 0
.LBB126_1093:
	s_delay_alu instid0(SALU_CYCLE_1)
	s_and_not1_b32 vcc_lo, exec_lo, s27
	s_cbranch_vccnz .LBB126_1103
; %bb.1094:
	v_and_b32_e32 v6, 0x7fffffff, v2
	s_mov_b32 s27, exec_lo
                                        ; implicit-def: $vgpr3
	s_delay_alu instid0(VALU_DEP_1)
	v_cmpx_gt_u32_e32 0x47800000, v6
	s_xor_b32 s27, exec_lo, s27
	s_cbranch_execz .LBB126_1100
; %bb.1095:
	s_mov_b32 s28, exec_lo
                                        ; implicit-def: $vgpr3
	v_cmpx_lt_u32_e32 0x387fffff, v6
	s_xor_b32 s28, exec_lo, s28
; %bb.1096:
	v_bfe_u32 v3, v2, 21, 1
	s_delay_alu instid0(VALU_DEP_1) | instskip(NEXT) | instid1(VALU_DEP_1)
	v_add3_u32 v3, v2, v3, 0x80fffff
	v_lshrrev_b32_e32 v3, 21, v3
; %bb.1097:
	s_and_not1_saveexec_b32 s28, s28
; %bb.1098:
	v_add_f32_e64 v3, 0x43000000, |v2|
; %bb.1099:
	s_or_b32 exec_lo, exec_lo, s28
                                        ; implicit-def: $vgpr6
.LBB126_1100:
	s_and_not1_saveexec_b32 s27, s27
; %bb.1101:
	v_mov_b32_e32 v3, 0x7f
	v_cmp_lt_u32_e32 vcc_lo, 0x7f800000, v6
	s_delay_alu instid0(VALU_DEP_2)
	v_cndmask_b32_e32 v3, 0x7c, v3, vcc_lo
; %bb.1102:
	s_or_b32 exec_lo, exec_lo, s27
	v_lshrrev_b32_e32 v6, 24, v2
	s_delay_alu instid0(VALU_DEP_1)
	v_and_or_b32 v3, 0x80, v6, v3
	global_store_b8 v[0:1], v3, off
.LBB126_1103:
	s_mov_b32 s28, 0
	s_mov_b32 s27, -1
.LBB126_1104:
	s_and_not1_b32 vcc_lo, exec_lo, s28
	s_cbranch_vccnz .LBB126_1112
; %bb.1105:
	v_cmp_lt_i16_e32 vcc_lo, 14, v5
	s_mov_b32 s28, -1
	s_cbranch_vccz .LBB126_1109
; %bb.1106:
	v_cmp_eq_u16_e32 vcc_lo, 15, v5
	s_mov_b32 s0, -1
	s_cbranch_vccz .LBB126_1108
; %bb.1107:
	v_bfe_u32 v3, v2, 16, 1
	v_cmp_o_f32_e32 vcc_lo, v2, v2
	s_mov_b32 s27, -1
	s_mov_b32 s0, 0
	s_delay_alu instid0(VALU_DEP_2) | instskip(NEXT) | instid1(VALU_DEP_1)
	v_add3_u32 v3, v2, v3, 0x7fff
	v_lshrrev_b32_e32 v3, 16, v3
	s_delay_alu instid0(VALU_DEP_1)
	v_cndmask_b32_e32 v3, 0x7fc0, v3, vcc_lo
	global_store_b16 v[0:1], v3, off
.LBB126_1108:
	s_mov_b32 s28, 0
.LBB126_1109:
	s_delay_alu instid0(SALU_CYCLE_1)
	s_and_b32 vcc_lo, exec_lo, s28
	s_cbranch_vccz .LBB126_1112
; %bb.1110:
	v_cmp_eq_u16_e32 vcc_lo, 11, v5
	s_mov_b32 s0, -1
	s_cbranch_vccz .LBB126_1112
; %bb.1111:
	v_cmp_neq_f32_e32 vcc_lo, 0, v2
	s_mov_b32 s0, 0
	s_mov_b32 s27, -1
	v_cndmask_b32_e64 v3, 0, 1, vcc_lo
	global_store_b8 v[0:1], v3, off
.LBB126_1112:
	s_mov_b32 s28, 0
.LBB126_1113:
	s_delay_alu instid0(SALU_CYCLE_1)
	s_and_b32 vcc_lo, exec_lo, s28
	s_cbranch_vccz .LBB126_1152
; %bb.1114:
	v_cmp_gt_i16_e32 vcc_lo, 5, v5
	s_mov_b32 s27, -1
	s_cbranch_vccnz .LBB126_1135
; %bb.1115:
	v_cmp_gt_i16_e32 vcc_lo, 8, v5
	s_cbranch_vccnz .LBB126_1125
; %bb.1116:
	v_cmp_gt_i16_e32 vcc_lo, 9, v5
	s_cbranch_vccnz .LBB126_1122
; %bb.1117:
	v_cmp_lt_i16_e32 vcc_lo, 9, v5
	s_cbranch_vccz .LBB126_1119
; %bb.1118:
	v_cvt_f64_f32_e32 v[6:7], v2
	v_mov_b32_e32 v8, 0
	s_mov_b32 s27, 0
	s_delay_alu instid0(VALU_DEP_1)
	v_mov_b32_e32 v9, v8
	global_store_b128 v[0:1], v[6:9], off
.LBB126_1119:
	s_and_not1_b32 vcc_lo, exec_lo, s27
	s_cbranch_vccnz .LBB126_1121
; %bb.1120:
	v_mov_b32_e32 v3, 0
	global_store_b64 v[0:1], v[2:3], off
.LBB126_1121:
	s_mov_b32 s27, 0
.LBB126_1122:
	s_delay_alu instid0(SALU_CYCLE_1)
	s_and_not1_b32 vcc_lo, exec_lo, s27
	s_cbranch_vccnz .LBB126_1124
; %bb.1123:
	v_cvt_f16_f32_e32 v3, v2
	s_delay_alu instid0(VALU_DEP_1)
	v_and_b32_e32 v3, 0xffff, v3
	global_store_b32 v[0:1], v3, off
.LBB126_1124:
	s_mov_b32 s27, 0
.LBB126_1125:
	s_delay_alu instid0(SALU_CYCLE_1)
	s_and_not1_b32 vcc_lo, exec_lo, s27
	s_cbranch_vccnz .LBB126_1134
; %bb.1126:
	v_cmp_gt_i16_e32 vcc_lo, 6, v5
	s_mov_b32 s27, -1
	s_cbranch_vccnz .LBB126_1132
; %bb.1127:
	v_cmp_lt_i16_e32 vcc_lo, 6, v5
	s_cbranch_vccz .LBB126_1129
; %bb.1128:
	v_cvt_f64_f32_e32 v[6:7], v2
	s_mov_b32 s27, 0
	global_store_b64 v[0:1], v[6:7], off
.LBB126_1129:
	s_and_not1_b32 vcc_lo, exec_lo, s27
	s_cbranch_vccnz .LBB126_1131
; %bb.1130:
	global_store_b32 v[0:1], v2, off
.LBB126_1131:
	s_mov_b32 s27, 0
.LBB126_1132:
	s_delay_alu instid0(SALU_CYCLE_1)
	s_and_not1_b32 vcc_lo, exec_lo, s27
	s_cbranch_vccnz .LBB126_1134
; %bb.1133:
	v_cvt_f16_f32_e32 v3, v2
	global_store_b16 v[0:1], v3, off
.LBB126_1134:
	s_mov_b32 s27, 0
.LBB126_1135:
	s_delay_alu instid0(SALU_CYCLE_1)
	s_and_not1_b32 vcc_lo, exec_lo, s27
	s_cbranch_vccnz .LBB126_1151
; %bb.1136:
	v_cmp_gt_i16_e32 vcc_lo, 2, v5
	s_mov_b32 s27, -1
	s_cbranch_vccnz .LBB126_1146
; %bb.1137:
	v_cmp_gt_i16_e32 vcc_lo, 3, v5
	s_cbranch_vccnz .LBB126_1143
; %bb.1138:
	v_cmp_lt_i16_e32 vcc_lo, 3, v5
	s_cbranch_vccz .LBB126_1140
; %bb.1139:
	v_trunc_f32_e32 v3, v2
	s_mov_b32 s27, 0
	s_delay_alu instid0(VALU_DEP_1) | instskip(NEXT) | instid1(VALU_DEP_1)
	v_mul_f32_e64 v6, 0x2f800000, |v3|
	v_floor_f32_e32 v6, v6
	s_delay_alu instid0(VALU_DEP_1) | instskip(SKIP_2) | instid1(VALU_DEP_3)
	v_fma_f32 v7, 0xcf800000, v6, |v3|
	v_ashrrev_i32_e32 v3, 31, v3
	v_cvt_u32_f32_e32 v6, v6
	v_cvt_u32_f32_e32 v7, v7
	s_delay_alu instid0(VALU_DEP_2) | instskip(NEXT) | instid1(VALU_DEP_2)
	v_xor_b32_e32 v8, v6, v3
	v_xor_b32_e32 v7, v7, v3
	s_delay_alu instid0(VALU_DEP_1) | instskip(NEXT) | instid1(VALU_DEP_3)
	v_sub_co_u32 v6, vcc_lo, v7, v3
	v_sub_co_ci_u32_e32 v7, vcc_lo, v8, v3, vcc_lo
	global_store_b64 v[0:1], v[6:7], off
.LBB126_1140:
	s_and_not1_b32 vcc_lo, exec_lo, s27
	s_cbranch_vccnz .LBB126_1142
; %bb.1141:
	v_cvt_i32_f32_e32 v3, v2
	global_store_b32 v[0:1], v3, off
.LBB126_1142:
	s_mov_b32 s27, 0
.LBB126_1143:
	s_delay_alu instid0(SALU_CYCLE_1)
	s_and_not1_b32 vcc_lo, exec_lo, s27
	s_cbranch_vccnz .LBB126_1145
; %bb.1144:
	v_cvt_i32_f32_e32 v3, v2
	global_store_b16 v[0:1], v3, off
.LBB126_1145:
	s_mov_b32 s27, 0
.LBB126_1146:
	s_delay_alu instid0(SALU_CYCLE_1)
	s_and_not1_b32 vcc_lo, exec_lo, s27
	s_cbranch_vccnz .LBB126_1151
; %bb.1147:
	v_cmp_lt_i16_e32 vcc_lo, 0, v5
	s_mov_b32 s27, -1
	s_cbranch_vccz .LBB126_1149
; %bb.1148:
	v_cvt_i32_f32_e32 v3, v2
	s_mov_b32 s27, 0
	global_store_b8 v[0:1], v3, off
.LBB126_1149:
	s_and_not1_b32 vcc_lo, exec_lo, s27
	s_cbranch_vccnz .LBB126_1151
; %bb.1150:
	v_trunc_f32_e32 v2, v2
	s_delay_alu instid0(VALU_DEP_1) | instskip(NEXT) | instid1(VALU_DEP_1)
	v_mul_f32_e64 v3, 0x2f800000, |v2|
	v_floor_f32_e32 v3, v3
	s_delay_alu instid0(VALU_DEP_1) | instskip(SKIP_1) | instid1(VALU_DEP_2)
	v_fma_f32 v3, 0xcf800000, v3, |v2|
	v_ashrrev_i32_e32 v2, 31, v2
	v_cvt_u32_f32_e32 v3, v3
	s_delay_alu instid0(VALU_DEP_1) | instskip(NEXT) | instid1(VALU_DEP_1)
	v_xor_b32_e32 v3, v3, v2
	v_sub_nc_u32_e32 v2, v3, v2
	global_store_b8 v[0:1], v2, off
.LBB126_1151:
	s_mov_b32 s27, -1
.LBB126_1152:
	s_delay_alu instid0(SALU_CYCLE_1)
	s_and_not1_b32 vcc_lo, exec_lo, s27
	s_mov_b32 s27, 0
	s_cbranch_vccnz .LBB126_1154
; %bb.1153:
	v_add_nc_u32_e32 v4, 0x80, v4
	s_mov_b32 s29, -1
	s_branch .LBB126_1156
.LBB126_1154:
	s_mov_b32 s29, 0
.LBB126_1155:
                                        ; implicit-def: $vgpr4
.LBB126_1156:
	s_and_not1_b32 s28, s22, exec_lo
	s_and_b32 s0, s0, exec_lo
	s_and_b32 s27, s27, exec_lo
	s_or_b32 s28, s28, s0
	s_and_not1_b32 s0, s23, exec_lo
	s_and_not1_b32 s30, s21, exec_lo
	s_and_b32 s26, s26, exec_lo
	s_or_b32 s27, s0, s27
	s_or_b32 s26, s30, s26
	s_or_not1_b32 s31, s29, exec_lo
.LBB126_1157:
	s_or_b32 exec_lo, exec_lo, s25
	s_mov_b32 s29, 0
	s_mov_b32 s30, 0
	;; [unrolled: 1-line block ×3, first 2 shown]
                                        ; implicit-def: $vgpr2
                                        ; implicit-def: $vgpr0_vgpr1
                                        ; implicit-def: $vgpr3
	s_and_saveexec_b32 s25, s31
	s_cbranch_execz .LBB126_1240
; %bb.1158:
	v_cmp_gt_i32_e32 vcc_lo, s17, v4
	s_mov_b32 s31, s26
	s_mov_b32 s33, 0
                                        ; implicit-def: $vgpr2
                                        ; implicit-def: $vgpr0_vgpr1
                                        ; implicit-def: $vgpr3
	s_and_saveexec_b32 s17, vcc_lo
	s_cbranch_execz .LBB126_1239
; %bb.1159:
	v_mul_lo_u32 v0, v4, s9
	s_waitcnt vmcnt(0)
	v_and_b32_e64 v2, 0xff, s14
	s_delay_alu instid0(VALU_DEP_1) | instskip(NEXT) | instid1(VALU_DEP_3)
	v_cmp_gt_i16_e32 vcc_lo, 11, v2
	v_ashrrev_i32_e32 v1, 31, v0
	v_add_co_u32 v0, s0, s6, v0
	s_delay_alu instid0(VALU_DEP_1)
	v_add_co_ci_u32_e64 v1, s0, s7, v1, s0
	s_cbranch_vccnz .LBB126_1166
; %bb.1160:
	v_cmp_lt_i16_e32 vcc_lo, 25, v2
	s_cbranch_vccz .LBB126_1167
; %bb.1161:
	v_cmp_lt_i16_e32 vcc_lo, 28, v2
	s_cbranch_vccz .LBB126_1168
	;; [unrolled: 3-line block ×4, first 2 shown]
; %bb.1164:
	v_cmp_eq_u16_e32 vcc_lo, 46, v2
	s_mov_b32 s31, 0
	s_cbranch_vccz .LBB126_1173
; %bb.1165:
	global_load_b32 v3, v[0:1], off
	s_mov_b32 s0, 0
	s_mov_b32 s30, -1
	s_waitcnt vmcnt(0)
	v_lshlrev_b32_e32 v3, 16, v3
	s_branch .LBB126_1175
.LBB126_1166:
	s_mov_b32 s31, -1
	s_mov_b32 s0, s26
                                        ; implicit-def: $vgpr3
	s_branch .LBB126_1238
.LBB126_1167:
	s_mov_b32 s31, -1
	s_mov_b32 s0, s26
                                        ; implicit-def: $vgpr3
	s_branch .LBB126_1204
.LBB126_1168:
	s_mov_b32 s31, -1
	s_mov_b32 s0, s26
                                        ; implicit-def: $vgpr3
	s_branch .LBB126_1185
.LBB126_1169:
	s_mov_b32 s31, -1
	s_mov_b32 s0, s26
                                        ; implicit-def: $vgpr3
	s_branch .LBB126_1180
.LBB126_1170:
	s_mov_b32 s31, -1
	s_mov_b32 s0, s26
	s_branch .LBB126_1174
.LBB126_1171:
	s_or_saveexec_b32 s29, s29
                                        ; implicit-def: $sgpr30
	s_delay_alu instid0(SALU_CYCLE_1)
	s_xor_b32 exec_lo, exec_lo, s29
	s_cbranch_execz .LBB126_1065
.LBB126_1172:
	v_add_f32_e64 v3, 0x46000000, |v2|
	s_and_not1_b32 s28, s28, exec_lo
	s_mov_b32 s30, 0
	s_delay_alu instid0(VALU_DEP_1) | instskip(NEXT) | instid1(VALU_DEP_1)
	v_and_b32_e32 v3, 0xff, v3
	v_cmp_ne_u32_e32 vcc_lo, 0, v3
	s_and_b32 s31, vcc_lo, exec_lo
	s_delay_alu instid0(SALU_CYCLE_1)
	s_or_b32 s28, s28, s31
	s_or_b32 exec_lo, exec_lo, s29
	v_mov_b32_e32 v6, s30
	s_and_saveexec_b32 s29, s28
	s_cbranch_execnz .LBB126_1066
	s_branch .LBB126_1067
.LBB126_1173:
	s_mov_b32 s0, -1
.LBB126_1174:
                                        ; implicit-def: $vgpr3
.LBB126_1175:
	s_and_b32 vcc_lo, exec_lo, s31
	s_cbranch_vccz .LBB126_1179
; %bb.1176:
	v_cmp_eq_u16_e32 vcc_lo, 44, v2
	s_cbranch_vccz .LBB126_1178
; %bb.1177:
	global_load_u8 v3, v[0:1], off
	s_mov_b32 s0, 0
	s_mov_b32 s30, -1
	s_waitcnt vmcnt(0)
	v_lshlrev_b32_e32 v5, 23, v3
	v_cmp_ne_u32_e32 vcc_lo, 0xff, v3
	s_delay_alu instid0(VALU_DEP_2) | instskip(SKIP_1) | instid1(VALU_DEP_2)
	v_cndmask_b32_e32 v5, 0x7f800001, v5, vcc_lo
	v_cmp_ne_u32_e32 vcc_lo, 0, v3
	v_cndmask_b32_e32 v3, 0x400000, v5, vcc_lo
	s_branch .LBB126_1179
.LBB126_1178:
	s_mov_b32 s0, -1
                                        ; implicit-def: $vgpr3
.LBB126_1179:
	s_mov_b32 s31, 0
.LBB126_1180:
	s_delay_alu instid0(SALU_CYCLE_1)
	s_and_b32 vcc_lo, exec_lo, s31
	s_cbranch_vccz .LBB126_1184
; %bb.1181:
	v_cmp_eq_u16_e32 vcc_lo, 29, v2
	s_cbranch_vccz .LBB126_1183
; %bb.1182:
	global_load_b64 v[5:6], v[0:1], off
	s_mov_b32 s0, 0
	s_mov_b32 s30, -1
	s_mov_b32 s31, 0
	s_waitcnt vmcnt(0)
	v_clz_i32_u32_e32 v3, v6
	s_delay_alu instid0(VALU_DEP_1) | instskip(NEXT) | instid1(VALU_DEP_1)
	v_min_u32_e32 v3, 32, v3
	v_lshlrev_b64 v[5:6], v3, v[5:6]
	v_sub_nc_u32_e32 v3, 32, v3
	s_delay_alu instid0(VALU_DEP_2) | instskip(NEXT) | instid1(VALU_DEP_1)
	v_min_u32_e32 v5, 1, v5
	v_or_b32_e32 v5, v6, v5
	s_delay_alu instid0(VALU_DEP_1) | instskip(NEXT) | instid1(VALU_DEP_1)
	v_cvt_f32_u32_e32 v5, v5
	v_ldexp_f32 v3, v5, v3
	s_branch .LBB126_1185
.LBB126_1183:
	s_mov_b32 s0, -1
                                        ; implicit-def: $vgpr3
.LBB126_1184:
	s_mov_b32 s31, 0
.LBB126_1185:
	s_delay_alu instid0(SALU_CYCLE_1)
	s_and_b32 vcc_lo, exec_lo, s31
	s_cbranch_vccz .LBB126_1203
; %bb.1186:
	v_cmp_gt_i16_e32 vcc_lo, 27, v2
	s_cbranch_vccnz .LBB126_1189
; %bb.1187:
	v_cmp_lt_i16_e32 vcc_lo, 27, v2
	s_cbranch_vccz .LBB126_1190
; %bb.1188:
	global_load_b32 v3, v[0:1], off
	s_mov_b32 s30, 0
	s_waitcnt vmcnt(0)
	v_cvt_f32_u32_e32 v3, v3
	s_branch .LBB126_1191
.LBB126_1189:
	s_mov_b32 s30, -1
                                        ; implicit-def: $vgpr3
	s_branch .LBB126_1194
.LBB126_1190:
	s_mov_b32 s30, -1
                                        ; implicit-def: $vgpr3
.LBB126_1191:
	s_delay_alu instid0(SALU_CYCLE_1)
	s_and_not1_b32 vcc_lo, exec_lo, s30
	s_cbranch_vccnz .LBB126_1193
; %bb.1192:
	global_load_u16 v3, v[0:1], off
	s_waitcnt vmcnt(0)
	v_cvt_f32_u32_e32 v3, v3
.LBB126_1193:
	s_mov_b32 s30, 0
.LBB126_1194:
	s_delay_alu instid0(SALU_CYCLE_1)
	s_and_not1_b32 vcc_lo, exec_lo, s30
	s_cbranch_vccnz .LBB126_1202
; %bb.1195:
	global_load_u8 v5, v[0:1], off
	s_mov_b32 s30, 0
	s_mov_b32 s33, exec_lo
                                        ; implicit-def: $sgpr31
	s_waitcnt vmcnt(0)
	v_cmpx_lt_i16_e32 0x7f, v5
	s_xor_b32 s33, exec_lo, s33
	s_cbranch_execz .LBB126_1216
; %bb.1196:
	s_mov_b32 s30, -1
	s_mov_b32 s34, exec_lo
                                        ; implicit-def: $sgpr31
	v_cmpx_eq_u16_e32 0x80, v5
; %bb.1197:
	s_mov_b32 s31, 0x7f800001
	s_xor_b32 s30, exec_lo, -1
; %bb.1198:
	s_or_b32 exec_lo, exec_lo, s34
	s_delay_alu instid0(SALU_CYCLE_1)
	s_and_b32 s30, s30, exec_lo
	s_or_saveexec_b32 s33, s33
	v_mov_b32_e32 v3, s31
	s_xor_b32 exec_lo, exec_lo, s33
	s_cbranch_execnz .LBB126_1217
.LBB126_1199:
	s_or_b32 exec_lo, exec_lo, s33
	s_and_saveexec_b32 s31, s30
	s_cbranch_execz .LBB126_1201
.LBB126_1200:
	v_and_b32_e32 v3, 0xffff, v5
	v_lshlrev_b32_e32 v5, 24, v5
	s_delay_alu instid0(VALU_DEP_2) | instskip(NEXT) | instid1(VALU_DEP_2)
	v_and_b32_e32 v6, 7, v3
	v_and_b32_e32 v5, 0x80000000, v5
	s_delay_alu instid0(VALU_DEP_2) | instskip(NEXT) | instid1(VALU_DEP_1)
	v_clz_i32_u32_e32 v7, v6
	v_min_u32_e32 v7, 32, v7
	s_delay_alu instid0(VALU_DEP_1) | instskip(SKIP_1) | instid1(VALU_DEP_2)
	v_subrev_nc_u32_e32 v8, 28, v7
	v_sub_nc_u32_e32 v7, 29, v7
	v_lshlrev_b32_e32 v8, v8, v3
	v_bfe_u32 v3, v3, 3, 4
	s_delay_alu instid0(VALU_DEP_1) | instskip(NEXT) | instid1(VALU_DEP_3)
	v_cmp_eq_u32_e32 vcc_lo, 0, v3
	v_dual_cndmask_b32 v3, v3, v7 :: v_dual_and_b32 v8, 7, v8
	s_delay_alu instid0(VALU_DEP_1) | instskip(NEXT) | instid1(VALU_DEP_2)
	v_cndmask_b32_e32 v6, v6, v8, vcc_lo
	v_lshl_add_u32 v3, v3, 23, 0x3b800000
	s_delay_alu instid0(VALU_DEP_2) | instskip(NEXT) | instid1(VALU_DEP_1)
	v_lshlrev_b32_e32 v6, 20, v6
	v_or3_b32 v3, v5, v3, v6
.LBB126_1201:
	s_or_b32 exec_lo, exec_lo, s31
.LBB126_1202:
	s_mov_b32 s30, -1
.LBB126_1203:
	s_mov_b32 s31, 0
.LBB126_1204:
	s_delay_alu instid0(SALU_CYCLE_1)
	s_and_b32 vcc_lo, exec_lo, s31
	s_cbranch_vccz .LBB126_1237
; %bb.1205:
	v_cmp_lt_i16_e32 vcc_lo, 22, v2
	s_cbranch_vccz .LBB126_1215
; %bb.1206:
	v_cmp_gt_i16_e32 vcc_lo, 24, v2
	s_cbranch_vccnz .LBB126_1218
; %bb.1207:
	v_cmp_lt_i16_e32 vcc_lo, 24, v2
	s_cbranch_vccz .LBB126_1219
; %bb.1208:
	global_load_u8 v5, v[0:1], off
	s_mov_b32 s31, exec_lo
                                        ; implicit-def: $sgpr30
	s_waitcnt vmcnt(0)
	v_cmpx_lt_i16_e32 0x7f, v5
	s_xor_b32 s31, exec_lo, s31
	s_cbranch_execz .LBB126_1231
; %bb.1209:
	s_mov_b32 s29, -1
	s_mov_b32 s33, exec_lo
                                        ; implicit-def: $sgpr30
	v_cmpx_eq_u16_e32 0x80, v5
; %bb.1210:
	s_mov_b32 s30, 0x7f800001
	s_xor_b32 s29, exec_lo, -1
; %bb.1211:
	s_or_b32 exec_lo, exec_lo, s33
	s_delay_alu instid0(SALU_CYCLE_1)
	s_and_b32 s29, s29, exec_lo
	s_or_saveexec_b32 s31, s31
	v_mov_b32_e32 v3, s30
	s_xor_b32 exec_lo, exec_lo, s31
	s_cbranch_execnz .LBB126_1232
.LBB126_1212:
	s_or_b32 exec_lo, exec_lo, s31
	s_and_saveexec_b32 s30, s29
	s_cbranch_execz .LBB126_1214
.LBB126_1213:
	v_and_b32_e32 v3, 0xffff, v5
	v_lshlrev_b32_e32 v5, 24, v5
	s_delay_alu instid0(VALU_DEP_2) | instskip(NEXT) | instid1(VALU_DEP_2)
	v_and_b32_e32 v6, 3, v3
	v_and_b32_e32 v5, 0x80000000, v5
	s_delay_alu instid0(VALU_DEP_2) | instskip(NEXT) | instid1(VALU_DEP_1)
	v_clz_i32_u32_e32 v7, v6
	v_min_u32_e32 v7, 32, v7
	s_delay_alu instid0(VALU_DEP_1) | instskip(SKIP_1) | instid1(VALU_DEP_2)
	v_subrev_nc_u32_e32 v8, 29, v7
	v_sub_nc_u32_e32 v7, 30, v7
	v_lshlrev_b32_e32 v8, v8, v3
	v_bfe_u32 v3, v3, 2, 5
	s_delay_alu instid0(VALU_DEP_1) | instskip(NEXT) | instid1(VALU_DEP_3)
	v_cmp_eq_u32_e32 vcc_lo, 0, v3
	v_dual_cndmask_b32 v3, v3, v7 :: v_dual_and_b32 v8, 3, v8
	s_delay_alu instid0(VALU_DEP_1) | instskip(NEXT) | instid1(VALU_DEP_2)
	v_cndmask_b32_e32 v6, v6, v8, vcc_lo
	v_lshl_add_u32 v3, v3, 23, 0x37800000
	s_delay_alu instid0(VALU_DEP_2) | instskip(NEXT) | instid1(VALU_DEP_1)
	v_lshlrev_b32_e32 v6, 21, v6
	v_or3_b32 v3, v5, v3, v6
.LBB126_1214:
	s_or_b32 exec_lo, exec_lo, s30
	s_mov_b32 s29, 0
	s_branch .LBB126_1220
.LBB126_1215:
	s_mov_b32 s29, -1
                                        ; implicit-def: $vgpr3
	s_branch .LBB126_1226
.LBB126_1216:
	s_or_saveexec_b32 s33, s33
	v_mov_b32_e32 v3, s31
	s_xor_b32 exec_lo, exec_lo, s33
	s_cbranch_execz .LBB126_1199
.LBB126_1217:
	v_cmp_ne_u16_e32 vcc_lo, 0, v5
	v_mov_b32_e32 v3, 0
	s_and_not1_b32 s30, s30, exec_lo
	s_and_b32 s31, vcc_lo, exec_lo
	s_delay_alu instid0(SALU_CYCLE_1)
	s_or_b32 s30, s30, s31
	s_or_b32 exec_lo, exec_lo, s33
	s_and_saveexec_b32 s31, s30
	s_cbranch_execnz .LBB126_1200
	s_branch .LBB126_1201
.LBB126_1218:
	s_mov_b32 s29, -1
                                        ; implicit-def: $vgpr3
	s_branch .LBB126_1223
.LBB126_1219:
	s_mov_b32 s29, -1
                                        ; implicit-def: $vgpr3
.LBB126_1220:
	s_delay_alu instid0(SALU_CYCLE_1)
	s_and_b32 vcc_lo, exec_lo, s29
	s_cbranch_vccz .LBB126_1222
; %bb.1221:
	global_load_u8 v3, v[0:1], off
	s_waitcnt vmcnt(0)
	v_lshlrev_b32_e32 v3, 24, v3
	s_delay_alu instid0(VALU_DEP_1) | instskip(NEXT) | instid1(VALU_DEP_1)
	v_and_b32_e32 v5, 0x7f000000, v3
	v_clz_i32_u32_e32 v6, v5
	v_cmp_ne_u32_e32 vcc_lo, 0, v5
	v_add_nc_u32_e32 v8, 0x1000000, v5
	s_delay_alu instid0(VALU_DEP_3) | instskip(NEXT) | instid1(VALU_DEP_1)
	v_min_u32_e32 v6, 32, v6
	v_sub_nc_u32_e64 v6, v6, 4 clamp
	s_delay_alu instid0(VALU_DEP_1) | instskip(SKIP_1) | instid1(VALU_DEP_2)
	v_lshlrev_b32_e32 v7, v6, v5
	v_lshlrev_b32_e32 v6, 23, v6
	v_lshrrev_b32_e32 v7, 4, v7
	s_delay_alu instid0(VALU_DEP_1) | instskip(SKIP_1) | instid1(VALU_DEP_2)
	v_sub_nc_u32_e32 v6, v7, v6
	v_ashrrev_i32_e32 v7, 8, v8
	v_add_nc_u32_e32 v6, 0x3c000000, v6
	s_delay_alu instid0(VALU_DEP_1) | instskip(NEXT) | instid1(VALU_DEP_1)
	v_and_or_b32 v6, 0x7f800000, v7, v6
	v_cndmask_b32_e32 v5, 0, v6, vcc_lo
	s_delay_alu instid0(VALU_DEP_1)
	v_and_or_b32 v3, 0x80000000, v3, v5
.LBB126_1222:
	s_mov_b32 s29, 0
.LBB126_1223:
	s_delay_alu instid0(SALU_CYCLE_1)
	s_and_not1_b32 vcc_lo, exec_lo, s29
	s_cbranch_vccnz .LBB126_1225
; %bb.1224:
	global_load_u8 v3, v[0:1], off
	s_waitcnt vmcnt(0)
	v_lshlrev_b32_e32 v5, 25, v3
	v_lshlrev_b16 v3, 8, v3
	s_delay_alu instid0(VALU_DEP_2) | instskip(NEXT) | instid1(VALU_DEP_2)
	v_lshrrev_b32_e32 v6, 4, v5
	v_and_or_b32 v7, 0x7f00, v3, 0.5
	v_bfe_i32 v3, v3, 0, 16
	s_delay_alu instid0(VALU_DEP_3) | instskip(NEXT) | instid1(VALU_DEP_1)
	v_or_b32_e32 v6, 0x70000000, v6
	v_dual_add_f32 v7, -0.5, v7 :: v_dual_mul_f32 v6, 0x7800000, v6
	v_cmp_gt_u32_e32 vcc_lo, 0x8000000, v5
	s_delay_alu instid0(VALU_DEP_2) | instskip(NEXT) | instid1(VALU_DEP_1)
	v_cndmask_b32_e32 v5, v6, v7, vcc_lo
	v_and_or_b32 v3, 0x80000000, v3, v5
.LBB126_1225:
	s_mov_b32 s29, 0
	s_mov_b32 s30, -1
.LBB126_1226:
	s_and_not1_b32 vcc_lo, exec_lo, s29
	s_mov_b32 s29, 0
	s_cbranch_vccnz .LBB126_1237
; %bb.1227:
	v_cmp_lt_i16_e32 vcc_lo, 14, v2
	s_cbranch_vccz .LBB126_1230
; %bb.1228:
	v_cmp_eq_u16_e32 vcc_lo, 15, v2
	s_cbranch_vccz .LBB126_1233
; %bb.1229:
	global_load_u16 v3, v[0:1], off
	s_mov_b32 s0, 0
	s_mov_b32 s30, -1
	s_waitcnt vmcnt(0)
	v_lshlrev_b32_e32 v3, 16, v3
	s_branch .LBB126_1235
.LBB126_1230:
	s_mov_b32 s29, -1
	s_branch .LBB126_1234
.LBB126_1231:
	s_or_saveexec_b32 s31, s31
	v_mov_b32_e32 v3, s30
	s_xor_b32 exec_lo, exec_lo, s31
	s_cbranch_execz .LBB126_1212
.LBB126_1232:
	v_cmp_ne_u16_e32 vcc_lo, 0, v5
	v_mov_b32_e32 v3, 0
	s_and_not1_b32 s29, s29, exec_lo
	s_and_b32 s30, vcc_lo, exec_lo
	s_delay_alu instid0(SALU_CYCLE_1)
	s_or_b32 s29, s29, s30
	s_or_b32 exec_lo, exec_lo, s31
	s_and_saveexec_b32 s30, s29
	s_cbranch_execnz .LBB126_1213
	s_branch .LBB126_1214
.LBB126_1233:
	s_mov_b32 s0, -1
.LBB126_1234:
                                        ; implicit-def: $vgpr3
.LBB126_1235:
	s_and_b32 vcc_lo, exec_lo, s29
	s_mov_b32 s29, 0
	s_cbranch_vccz .LBB126_1237
; %bb.1236:
	v_cmp_ne_u16_e32 vcc_lo, 11, v2
	s_and_not1_b32 s0, s0, exec_lo
	s_mov_b32 s29, -1
                                        ; implicit-def: $vgpr3
	s_and_b32 s31, vcc_lo, exec_lo
	s_delay_alu instid0(SALU_CYCLE_1)
	s_or_b32 s0, s0, s31
.LBB126_1237:
	s_mov_b32 s31, 0
.LBB126_1238:
	s_and_b32 s33, s30, exec_lo
	s_and_b32 s30, s31, exec_lo
	s_and_not1_b32 s31, s26, exec_lo
	s_and_b32 s0, s0, exec_lo
	s_and_b32 s29, s29, exec_lo
	s_or_b32 s31, s31, s0
.LBB126_1239:
	s_or_b32 exec_lo, exec_lo, s17
	s_delay_alu instid0(SALU_CYCLE_1)
	s_and_not1_b32 s17, s26, exec_lo
	s_and_b32 s26, s31, exec_lo
	s_and_b32 s0, s33, exec_lo
	;; [unrolled: 1-line block ×4, first 2 shown]
	s_or_b32 s26, s17, s26
.LBB126_1240:
	s_or_b32 exec_lo, exec_lo, s25
	s_delay_alu instid0(SALU_CYCLE_1)
	s_and_not1_b32 s17, s22, exec_lo
	s_and_b32 s22, s28, exec_lo
	s_and_not1_b32 s23, s23, exec_lo
	s_and_b32 s25, s27, exec_lo
	s_or_b32 s22, s17, s22
	s_and_not1_b32 s17, s21, exec_lo
	s_and_b32 s21, s26, exec_lo
	s_or_b32 s23, s23, s25
	s_and_b32 s0, s0, exec_lo
	s_and_b32 s27, s30, exec_lo
	;; [unrolled: 1-line block ×3, first 2 shown]
	s_or_b32 s21, s17, s21
.LBB126_1241:
	s_or_b32 exec_lo, exec_lo, s24
	s_delay_alu instid0(SALU_CYCLE_1)
	s_and_not1_b32 s16, s16, exec_lo
	s_and_b32 s17, s22, exec_lo
	s_and_not1_b32 s18, s18, exec_lo
	s_and_b32 s22, s23, exec_lo
	s_or_b32 s16, s16, s17
	s_and_not1_b32 s17, s19, exec_lo
	s_and_b32 s19, s21, exec_lo
	s_or_b32 s18, s18, s22
	s_and_b32 s0, s0, exec_lo
	s_and_b32 s22, s27, exec_lo
	;; [unrolled: 1-line block ×3, first 2 shown]
	s_or_b32 s19, s17, s19
.LBB126_1242:
	s_or_b32 exec_lo, exec_lo, s20
	s_mov_b32 s17, 0
	s_and_saveexec_b32 s20, s19
	s_cbranch_execnz .LBB126_1254
; %bb.1243:
	s_or_b32 exec_lo, exec_lo, s20
	s_and_saveexec_b32 s19, s21
	s_delay_alu instid0(SALU_CYCLE_1)
	s_xor_b32 s19, exec_lo, s19
	s_cbranch_execz .LBB126_1245
.LBB126_1244:
	global_load_u8 v3, v[0:1], off
	s_or_b32 s0, s0, exec_lo
	s_waitcnt vmcnt(0)
	v_cmp_ne_u16_e32 vcc_lo, 0, v3
	v_cndmask_b32_e64 v3, 0, 1.0, vcc_lo
.LBB126_1245:
	s_or_b32 exec_lo, exec_lo, s19
	s_and_saveexec_b32 s19, s22
	s_cbranch_execz .LBB126_1293
; %bb.1246:
	s_waitcnt vmcnt(0)
	v_cmp_gt_i16_e32 vcc_lo, 5, v2
	s_cbranch_vccnz .LBB126_1251
; %bb.1247:
	v_cmp_gt_i16_e32 vcc_lo, 8, v2
	s_cbranch_vccnz .LBB126_1252
; %bb.1248:
	;; [unrolled: 3-line block ×3, first 2 shown]
	v_cmp_lt_i16_e32 vcc_lo, 9, v2
	s_cbranch_vccz .LBB126_1256
; %bb.1250:
	global_load_b64 v[5:6], v[0:1], off
	s_mov_b32 s20, 0
	s_waitcnt vmcnt(0)
	v_cvt_f32_f64_e32 v3, v[5:6]
	s_branch .LBB126_1257
.LBB126_1251:
                                        ; implicit-def: $vgpr3
	s_branch .LBB126_1274
.LBB126_1252:
                                        ; implicit-def: $vgpr3
	s_branch .LBB126_1263
.LBB126_1253:
	s_mov_b32 s20, -1
                                        ; implicit-def: $vgpr3
	s_branch .LBB126_1260
.LBB126_1254:
	s_cbranch_execnz .LBB126_1305
; %bb.1255:
	s_mov_b32 s17, exec_lo
	s_and_not1_b32 s21, s21, exec_lo
                                        ; implicit-def: $vgpr3
	s_or_b32 exec_lo, exec_lo, s20
	s_and_saveexec_b32 s19, s21
	s_delay_alu instid0(SALU_CYCLE_1)
	s_xor_b32 s19, exec_lo, s19
	s_cbranch_execnz .LBB126_1244
	s_branch .LBB126_1245
.LBB126_1256:
	s_mov_b32 s20, -1
                                        ; implicit-def: $vgpr3
.LBB126_1257:
	s_delay_alu instid0(SALU_CYCLE_1)
	s_and_not1_b32 vcc_lo, exec_lo, s20
	s_cbranch_vccnz .LBB126_1259
; %bb.1258:
	global_load_b32 v3, v[0:1], off
.LBB126_1259:
	s_mov_b32 s20, 0
.LBB126_1260:
	s_delay_alu instid0(SALU_CYCLE_1)
	s_and_not1_b32 vcc_lo, exec_lo, s20
	s_cbranch_vccnz .LBB126_1262
; %bb.1261:
	global_load_b32 v3, v[0:1], off
	s_waitcnt vmcnt(0)
	v_cvt_f32_f16_e32 v3, v3
.LBB126_1262:
	s_cbranch_execnz .LBB126_1273
.LBB126_1263:
	v_cmp_gt_i16_e32 vcc_lo, 6, v2
	s_cbranch_vccnz .LBB126_1266
; %bb.1264:
	v_cmp_lt_i16_e32 vcc_lo, 6, v2
	s_cbranch_vccz .LBB126_1267
; %bb.1265:
	global_load_b64 v[5:6], v[0:1], off
	s_mov_b32 s20, 0
	s_waitcnt vmcnt(0)
	v_cvt_f32_f64_e32 v3, v[5:6]
	s_branch .LBB126_1268
.LBB126_1266:
	s_mov_b32 s20, -1
                                        ; implicit-def: $vgpr3
	s_branch .LBB126_1271
.LBB126_1267:
	s_mov_b32 s20, -1
                                        ; implicit-def: $vgpr3
.LBB126_1268:
	s_delay_alu instid0(SALU_CYCLE_1)
	s_and_not1_b32 vcc_lo, exec_lo, s20
	s_cbranch_vccnz .LBB126_1270
; %bb.1269:
	global_load_b32 v3, v[0:1], off
.LBB126_1270:
	s_mov_b32 s20, 0
.LBB126_1271:
	s_delay_alu instid0(SALU_CYCLE_1)
	s_and_not1_b32 vcc_lo, exec_lo, s20
	s_cbranch_vccnz .LBB126_1273
; %bb.1272:
	global_load_u16 v3, v[0:1], off
	s_waitcnt vmcnt(0)
	v_cvt_f32_f16_e32 v3, v3
.LBB126_1273:
	s_cbranch_execnz .LBB126_1292
.LBB126_1274:
	v_cmp_gt_i16_e32 vcc_lo, 2, v2
	s_cbranch_vccnz .LBB126_1278
; %bb.1275:
	v_cmp_gt_i16_e32 vcc_lo, 3, v2
	s_cbranch_vccnz .LBB126_1279
; %bb.1276:
	v_cmp_lt_i16_e32 vcc_lo, 3, v2
	s_cbranch_vccz .LBB126_1280
; %bb.1277:
	global_load_b64 v[5:6], v[0:1], off
	s_mov_b32 s20, 0
	s_waitcnt vmcnt(0)
	v_xor_b32_e32 v3, v5, v6
	v_cls_i32_e32 v7, v6
	s_delay_alu instid0(VALU_DEP_2) | instskip(NEXT) | instid1(VALU_DEP_2)
	v_ashrrev_i32_e32 v3, 31, v3
	v_add_nc_u32_e32 v7, -1, v7
	s_delay_alu instid0(VALU_DEP_2) | instskip(NEXT) | instid1(VALU_DEP_1)
	v_add_nc_u32_e32 v3, 32, v3
	v_min_u32_e32 v3, v7, v3
	s_delay_alu instid0(VALU_DEP_1) | instskip(SKIP_1) | instid1(VALU_DEP_2)
	v_lshlrev_b64 v[5:6], v3, v[5:6]
	v_sub_nc_u32_e32 v3, 32, v3
	v_min_u32_e32 v5, 1, v5
	s_delay_alu instid0(VALU_DEP_1) | instskip(NEXT) | instid1(VALU_DEP_1)
	v_or_b32_e32 v5, v6, v5
	v_cvt_f32_i32_e32 v5, v5
	s_delay_alu instid0(VALU_DEP_1)
	v_ldexp_f32 v3, v5, v3
	s_branch .LBB126_1281
.LBB126_1278:
                                        ; implicit-def: $vgpr3
	s_branch .LBB126_1287
.LBB126_1279:
	s_mov_b32 s20, -1
                                        ; implicit-def: $vgpr3
	s_branch .LBB126_1284
.LBB126_1280:
	s_mov_b32 s20, -1
                                        ; implicit-def: $vgpr3
.LBB126_1281:
	s_delay_alu instid0(SALU_CYCLE_1)
	s_and_not1_b32 vcc_lo, exec_lo, s20
	s_cbranch_vccnz .LBB126_1283
; %bb.1282:
	global_load_b32 v3, v[0:1], off
	s_waitcnt vmcnt(0)
	v_cvt_f32_i32_e32 v3, v3
.LBB126_1283:
	s_mov_b32 s20, 0
.LBB126_1284:
	s_delay_alu instid0(SALU_CYCLE_1)
	s_and_not1_b32 vcc_lo, exec_lo, s20
	s_cbranch_vccnz .LBB126_1286
; %bb.1285:
	global_load_i16 v3, v[0:1], off
	s_waitcnt vmcnt(0)
	v_cvt_f32_i32_e32 v3, v3
.LBB126_1286:
	s_cbranch_execnz .LBB126_1292
.LBB126_1287:
	v_cmp_lt_i16_e32 vcc_lo, 0, v2
	s_mov_b32 s20, 0
	s_cbranch_vccz .LBB126_1289
; %bb.1288:
	global_load_i8 v2, v[0:1], off
	s_waitcnt vmcnt(0)
	v_cvt_f32_i32_e32 v3, v2
	s_branch .LBB126_1290
.LBB126_1289:
	s_mov_b32 s20, -1
                                        ; implicit-def: $vgpr3
.LBB126_1290:
	s_delay_alu instid0(SALU_CYCLE_1)
	s_and_not1_b32 vcc_lo, exec_lo, s20
	s_cbranch_vccnz .LBB126_1292
; %bb.1291:
	global_load_u8 v0, v[0:1], off
	s_waitcnt vmcnt(0)
	v_cvt_f32_ubyte0_e32 v3, v0
.LBB126_1292:
	s_or_b32 s0, s0, exec_lo
.LBB126_1293:
	s_or_b32 exec_lo, exec_lo, s19
	s_mov_b32 s20, 0
	s_mov_b32 s23, 0
	;; [unrolled: 1-line block ×3, first 2 shown]
                                        ; implicit-def: $sgpr21
                                        ; implicit-def: $vgpr2
                                        ; implicit-def: $vgpr0_vgpr1
	s_and_saveexec_b32 s19, s0
	s_cbranch_execz .LBB126_1371
; %bb.1294:
	v_mul_lo_u32 v0, v4, s10
	s_waitcnt vmcnt(0)
	v_and_b32_e64 v2, 0xff, s1
	s_delay_alu instid0(VALU_DEP_1) | instskip(NEXT) | instid1(VALU_DEP_3)
	v_cmp_gt_i16_e32 vcc_lo, 11, v2
	v_ashrrev_i32_e32 v1, 31, v0
	v_add_co_u32 v0, s0, s2, v0
	s_delay_alu instid0(VALU_DEP_1)
	v_add_co_ci_u32_e64 v1, s0, s3, v1, s0
	s_cbranch_vccnz .LBB126_1301
; %bb.1295:
	v_cmp_lt_i16_e32 vcc_lo, 25, v2
	s_mov_b32 s0, 0
	s_cbranch_vccz .LBB126_1302
; %bb.1296:
	v_cmp_lt_i16_e32 vcc_lo, 28, v2
	s_cbranch_vccz .LBB126_1303
; %bb.1297:
	v_cmp_lt_i16_e32 vcc_lo, 43, v2
	;; [unrolled: 3-line block ×3, first 2 shown]
	s_cbranch_vccz .LBB126_1307
; %bb.1299:
	v_cmp_eq_u16_e32 vcc_lo, 46, v2
	s_cbranch_vccz .LBB126_1308
; %bb.1300:
	global_load_b32 v5, v[0:1], off
	s_mov_b32 s22, -1
	s_waitcnt vmcnt(0)
	v_and_b32_e32 v5, 0x7fff7fff, v5
	s_delay_alu instid0(VALU_DEP_1)
	v_cmp_ne_u32_e32 vcc_lo, 0, v5
	s_and_b32 s21, vcc_lo, exec_lo
	s_branch .LBB126_1310
.LBB126_1301:
	s_mov_b32 s23, -1
	s_mov_b32 s0, 0
	s_mov_b32 s20, s18
                                        ; implicit-def: $sgpr21
	s_branch .LBB126_1370
.LBB126_1302:
	s_mov_b32 s20, s18
                                        ; implicit-def: $sgpr21
	s_cbranch_execnz .LBB126_1337
	s_branch .LBB126_1369
.LBB126_1303:
	s_mov_b32 s23, -1
	s_mov_b32 s20, s18
                                        ; implicit-def: $sgpr21
	s_branch .LBB126_1318
.LBB126_1304:
	s_mov_b32 s23, -1
	s_mov_b32 s20, s18
                                        ; implicit-def: $sgpr21
	s_branch .LBB126_1313
.LBB126_1305:
	s_trap 2
	s_sendmsg_rtn_b32 s0, sendmsg(MSG_RTN_GET_DOORBELL)
	s_mov_b32 ttmp2, m0
	s_waitcnt lgkmcnt(0)
	s_and_b32 s0, s0, 0x3ff
	s_delay_alu instid0(SALU_CYCLE_1) | instskip(NEXT) | instid1(SALU_CYCLE_1)
	s_bitset1_b32 s0, 10
	s_mov_b32 m0, s0
	s_sendmsg sendmsg(MSG_INTERRUPT)
	s_mov_b32 m0, ttmp2
.LBB126_1306:                           ; =>This Inner Loop Header: Depth=1
	s_sethalt 5
	s_branch .LBB126_1306
.LBB126_1307:
	s_mov_b32 s23, -1
	s_mov_b32 s20, s18
	s_branch .LBB126_1309
.LBB126_1308:
	s_mov_b32 s20, -1
.LBB126_1309:
                                        ; implicit-def: $sgpr21
.LBB126_1310:
	s_and_b32 vcc_lo, exec_lo, s23
	s_cbranch_vccz .LBB126_1312
; %bb.1311:
	v_cmp_ne_u16_e32 vcc_lo, 44, v2
	s_and_not1_b32 s20, s20, exec_lo
	s_mov_b32 s22, -1
	s_or_b32 s21, s21, exec_lo
	s_and_b32 s23, vcc_lo, exec_lo
	s_delay_alu instid0(SALU_CYCLE_1)
	s_or_b32 s20, s20, s23
.LBB126_1312:
	s_mov_b32 s23, 0
.LBB126_1313:
	s_delay_alu instid0(SALU_CYCLE_1)
	s_and_b32 vcc_lo, exec_lo, s23
	s_cbranch_vccz .LBB126_1317
; %bb.1314:
	v_cmp_eq_u16_e32 vcc_lo, 29, v2
	s_cbranch_vccz .LBB126_1316
; %bb.1315:
	global_load_b64 v[5:6], v[0:1], off
	s_mov_b32 s20, 0
	s_mov_b32 s22, -1
	s_mov_b32 s23, 0
	s_waitcnt vmcnt(0)
	v_cmp_ne_u64_e32 vcc_lo, 0, v[5:6]
	s_and_b32 s21, vcc_lo, exec_lo
	s_branch .LBB126_1318
.LBB126_1316:
	s_mov_b32 s20, -1
                                        ; implicit-def: $sgpr21
.LBB126_1317:
	s_mov_b32 s23, 0
.LBB126_1318:
	s_delay_alu instid0(SALU_CYCLE_1)
	s_and_b32 vcc_lo, exec_lo, s23
	s_cbranch_vccz .LBB126_1336
; %bb.1319:
	v_cmp_gt_i16_e32 vcc_lo, 27, v2
	s_cbranch_vccnz .LBB126_1322
; %bb.1320:
	v_cmp_lt_i16_e32 vcc_lo, 27, v2
	s_cbranch_vccz .LBB126_1323
; %bb.1321:
	global_load_b32 v5, v[0:1], off
	s_mov_b32 s22, 0
	s_waitcnt vmcnt(0)
	v_cmp_ne_u32_e32 vcc_lo, 0, v5
	s_and_b32 s21, vcc_lo, exec_lo
	s_branch .LBB126_1324
.LBB126_1322:
	s_mov_b32 s22, -1
                                        ; implicit-def: $sgpr21
	s_branch .LBB126_1327
.LBB126_1323:
	s_mov_b32 s22, -1
                                        ; implicit-def: $sgpr21
.LBB126_1324:
	s_delay_alu instid0(SALU_CYCLE_1)
	s_and_not1_b32 vcc_lo, exec_lo, s22
	s_cbranch_vccnz .LBB126_1326
; %bb.1325:
	global_load_u16 v5, v[0:1], off
	s_and_not1_b32 s21, s21, exec_lo
	s_waitcnt vmcnt(0)
	v_cmp_ne_u16_e32 vcc_lo, 0, v5
	s_and_b32 s22, vcc_lo, exec_lo
	s_delay_alu instid0(SALU_CYCLE_1)
	s_or_b32 s21, s21, s22
.LBB126_1326:
	s_mov_b32 s22, 0
.LBB126_1327:
	s_delay_alu instid0(SALU_CYCLE_1)
	s_and_not1_b32 vcc_lo, exec_lo, s22
	s_cbranch_vccnz .LBB126_1335
; %bb.1328:
	global_load_u8 v5, v[0:1], off
	s_mov_b32 s22, 0
	s_mov_b32 s23, exec_lo
                                        ; implicit-def: $sgpr21
	s_waitcnt vmcnt(0)
	v_cmpx_lt_i16_e32 0x7f, v5
	s_xor_b32 s23, exec_lo, s23
	s_cbranch_execz .LBB126_1348
; %bb.1329:
	s_mov_b32 s22, -1
	s_mov_b32 s24, exec_lo
                                        ; implicit-def: $sgpr21
	v_cmpx_eq_u16_e32 0x80, v5
; %bb.1330:
	s_mov_b32 s21, -1
	s_xor_b32 s22, exec_lo, -1
; %bb.1331:
	s_or_b32 exec_lo, exec_lo, s24
	s_delay_alu instid0(SALU_CYCLE_1)
	s_and_b32 s22, s22, exec_lo
	s_and_not1_saveexec_b32 s23, s23
	s_cbranch_execnz .LBB126_1349
.LBB126_1332:
	s_or_b32 exec_lo, exec_lo, s23
	s_and_saveexec_b32 s23, s22
	s_cbranch_execz .LBB126_1334
.LBB126_1333:
	v_and_b32_e32 v5, 0xffff, v5
	s_and_not1_b32 s21, s21, exec_lo
	s_delay_alu instid0(VALU_DEP_1) | instskip(NEXT) | instid1(VALU_DEP_1)
	v_and_b32_e32 v6, 7, v5
	v_clz_i32_u32_e32 v7, v6
	s_delay_alu instid0(VALU_DEP_1) | instskip(NEXT) | instid1(VALU_DEP_1)
	v_min_u32_e32 v7, 32, v7
	v_subrev_nc_u32_e32 v8, 28, v7
	v_sub_nc_u32_e32 v7, 29, v7
	s_delay_alu instid0(VALU_DEP_2) | instskip(SKIP_1) | instid1(VALU_DEP_2)
	v_lshlrev_b32_e32 v8, v8, v5
	v_bfe_u32 v5, v5, 3, 4
	v_and_b32_e32 v8, 7, v8
	s_delay_alu instid0(VALU_DEP_2) | instskip(NEXT) | instid1(VALU_DEP_2)
	v_cmp_eq_u32_e32 vcc_lo, 0, v5
	v_dual_cndmask_b32 v5, v5, v7 :: v_dual_cndmask_b32 v6, v6, v8
	s_delay_alu instid0(VALU_DEP_1) | instskip(NEXT) | instid1(VALU_DEP_2)
	v_lshl_add_u32 v5, v5, 23, 0x3b800000
	v_lshlrev_b32_e32 v6, 20, v6
	s_delay_alu instid0(VALU_DEP_1) | instskip(NEXT) | instid1(VALU_DEP_1)
	v_and_or_b32 v5, 0x7f800000, v5, v6
	v_cmp_ne_u32_e32 vcc_lo, 0, v5
	s_and_b32 s22, vcc_lo, exec_lo
	s_delay_alu instid0(SALU_CYCLE_1)
	s_or_b32 s21, s21, s22
.LBB126_1334:
	s_or_b32 exec_lo, exec_lo, s23
.LBB126_1335:
	s_mov_b32 s22, -1
.LBB126_1336:
	s_branch .LBB126_1369
.LBB126_1337:
	v_cmp_lt_i16_e32 vcc_lo, 22, v2
	s_cbranch_vccz .LBB126_1347
; %bb.1338:
	v_cmp_gt_i16_e32 vcc_lo, 24, v2
	s_cbranch_vccnz .LBB126_1350
; %bb.1339:
	v_cmp_lt_i16_e32 vcc_lo, 24, v2
	s_cbranch_vccz .LBB126_1351
; %bb.1340:
	global_load_u8 v5, v[0:1], off
	s_mov_b32 s22, exec_lo
                                        ; implicit-def: $sgpr21
	s_waitcnt vmcnt(0)
	v_cmpx_lt_i16_e32 0x7f, v5
	s_xor_b32 s22, exec_lo, s22
	s_cbranch_execz .LBB126_1363
; %bb.1341:
	s_mov_b32 s0, -1
	s_mov_b32 s23, exec_lo
                                        ; implicit-def: $sgpr21
	v_cmpx_eq_u16_e32 0x80, v5
; %bb.1342:
	s_mov_b32 s21, -1
	s_xor_b32 s0, exec_lo, -1
; %bb.1343:
	s_or_b32 exec_lo, exec_lo, s23
	s_delay_alu instid0(SALU_CYCLE_1)
	s_and_b32 s0, s0, exec_lo
	s_and_not1_saveexec_b32 s22, s22
	s_cbranch_execnz .LBB126_1364
.LBB126_1344:
	s_or_b32 exec_lo, exec_lo, s22
	s_and_saveexec_b32 s22, s0
	s_cbranch_execz .LBB126_1346
.LBB126_1345:
	v_and_b32_e32 v5, 0xffff, v5
	s_and_not1_b32 s0, s21, exec_lo
	s_delay_alu instid0(VALU_DEP_1) | instskip(NEXT) | instid1(VALU_DEP_1)
	v_and_b32_e32 v6, 3, v5
	v_clz_i32_u32_e32 v7, v6
	s_delay_alu instid0(VALU_DEP_1) | instskip(NEXT) | instid1(VALU_DEP_1)
	v_min_u32_e32 v7, 32, v7
	v_subrev_nc_u32_e32 v8, 29, v7
	v_sub_nc_u32_e32 v7, 30, v7
	s_delay_alu instid0(VALU_DEP_2) | instskip(SKIP_1) | instid1(VALU_DEP_2)
	v_lshlrev_b32_e32 v8, v8, v5
	v_bfe_u32 v5, v5, 2, 5
	v_and_b32_e32 v8, 3, v8
	s_delay_alu instid0(VALU_DEP_2) | instskip(NEXT) | instid1(VALU_DEP_2)
	v_cmp_eq_u32_e32 vcc_lo, 0, v5
	v_dual_cndmask_b32 v5, v5, v7 :: v_dual_cndmask_b32 v6, v6, v8
	s_delay_alu instid0(VALU_DEP_1) | instskip(NEXT) | instid1(VALU_DEP_2)
	v_lshl_add_u32 v5, v5, 23, 0x37800000
	v_lshlrev_b32_e32 v6, 21, v6
	s_delay_alu instid0(VALU_DEP_1) | instskip(NEXT) | instid1(VALU_DEP_1)
	v_and_or_b32 v5, 0x7f800000, v5, v6
	v_cmp_ne_u32_e32 vcc_lo, 0, v5
	s_and_b32 s21, vcc_lo, exec_lo
	s_delay_alu instid0(SALU_CYCLE_1)
	s_or_b32 s21, s0, s21
.LBB126_1346:
	s_or_b32 exec_lo, exec_lo, s22
	s_mov_b32 s0, 0
	s_branch .LBB126_1352
.LBB126_1347:
	s_mov_b32 s0, -1
                                        ; implicit-def: $sgpr21
	s_branch .LBB126_1358
.LBB126_1348:
	s_and_not1_saveexec_b32 s23, s23
	s_cbranch_execz .LBB126_1332
.LBB126_1349:
	v_cmp_ne_u16_e32 vcc_lo, 0, v5
	s_and_not1_b32 s22, s22, exec_lo
	s_and_not1_b32 s21, s21, exec_lo
	s_and_b32 s24, vcc_lo, exec_lo
	s_delay_alu instid0(SALU_CYCLE_1)
	s_or_b32 s22, s22, s24
	s_or_b32 exec_lo, exec_lo, s23
	s_and_saveexec_b32 s23, s22
	s_cbranch_execnz .LBB126_1333
	s_branch .LBB126_1334
.LBB126_1350:
	s_mov_b32 s0, -1
                                        ; implicit-def: $sgpr21
	s_branch .LBB126_1355
.LBB126_1351:
	s_mov_b32 s0, -1
                                        ; implicit-def: $sgpr21
.LBB126_1352:
	s_delay_alu instid0(SALU_CYCLE_1)
	s_and_b32 vcc_lo, exec_lo, s0
	s_cbranch_vccz .LBB126_1354
; %bb.1353:
	global_load_u8 v5, v[0:1], off
	s_and_not1_b32 s21, s21, exec_lo
	s_waitcnt vmcnt(0)
	v_lshlrev_b32_e32 v5, 24, v5
	s_delay_alu instid0(VALU_DEP_1) | instskip(NEXT) | instid1(VALU_DEP_1)
	v_and_b32_e32 v5, 0x7f000000, v5
	v_clz_i32_u32_e32 v6, v5
	v_add_nc_u32_e32 v8, 0x1000000, v5
	v_cmp_ne_u32_e32 vcc_lo, 0, v5
	s_delay_alu instid0(VALU_DEP_3) | instskip(NEXT) | instid1(VALU_DEP_3)
	v_min_u32_e32 v6, 32, v6
	v_ashrrev_i32_e32 v8, 8, v8
	s_delay_alu instid0(VALU_DEP_2) | instskip(NEXT) | instid1(VALU_DEP_1)
	v_sub_nc_u32_e64 v6, v6, 4 clamp
	v_lshlrev_b32_e32 v7, v6, v5
	v_lshlrev_b32_e32 v6, 23, v6
	s_delay_alu instid0(VALU_DEP_2) | instskip(NEXT) | instid1(VALU_DEP_1)
	v_lshrrev_b32_e32 v7, 4, v7
	v_sub_nc_u32_e32 v6, v7, v6
	v_and_b32_e32 v7, 0x7f800000, v8
	s_delay_alu instid0(VALU_DEP_2) | instskip(NEXT) | instid1(VALU_DEP_1)
	v_add_nc_u32_e32 v6, 0x3c000000, v6
	v_and_or_b32 v6, 0x7ff00000, v6, v7
	s_delay_alu instid0(VALU_DEP_1) | instskip(NEXT) | instid1(VALU_DEP_1)
	v_cmp_ne_u32_e64 s0, 0, v6
	s_and_b32 s0, vcc_lo, s0
	s_delay_alu instid0(SALU_CYCLE_1) | instskip(NEXT) | instid1(SALU_CYCLE_1)
	s_and_b32 s0, s0, exec_lo
	s_or_b32 s21, s21, s0
.LBB126_1354:
	s_mov_b32 s0, 0
.LBB126_1355:
	s_delay_alu instid0(SALU_CYCLE_1)
	s_and_not1_b32 vcc_lo, exec_lo, s0
	s_cbranch_vccnz .LBB126_1357
; %bb.1356:
	global_load_u8 v5, v[0:1], off
	s_and_not1_b32 s0, s21, exec_lo
	s_waitcnt vmcnt(0)
	v_lshlrev_b32_e32 v6, 25, v5
	v_lshlrev_b32_e32 v5, 8, v5
	s_delay_alu instid0(VALU_DEP_2) | instskip(NEXT) | instid1(VALU_DEP_2)
	v_lshrrev_b32_e32 v7, 4, v6
	v_and_or_b32 v5, 0x7f00, v5, 0.5
	s_delay_alu instid0(VALU_DEP_2) | instskip(NEXT) | instid1(VALU_DEP_2)
	v_or_b32_e32 v7, 0x70000000, v7
	v_add_f32_e32 v5, -0.5, v5
	s_delay_alu instid0(VALU_DEP_2) | instskip(SKIP_1) | instid1(VALU_DEP_2)
	v_mul_f32_e32 v7, 0x7800000, v7
	v_cmp_gt_u32_e32 vcc_lo, 0x8000000, v6
	v_cndmask_b32_e32 v5, v7, v5, vcc_lo
	s_delay_alu instid0(VALU_DEP_1) | instskip(SKIP_1) | instid1(SALU_CYCLE_1)
	v_cmp_neq_f32_e32 vcc_lo, 0, v5
	s_and_b32 s21, vcc_lo, exec_lo
	s_or_b32 s21, s0, s21
.LBB126_1357:
	s_mov_b32 s0, 0
	s_mov_b32 s22, -1
.LBB126_1358:
	s_and_not1_b32 vcc_lo, exec_lo, s0
	s_mov_b32 s0, 0
	s_cbranch_vccnz .LBB126_1369
; %bb.1359:
	v_cmp_lt_i16_e32 vcc_lo, 14, v2
	s_cbranch_vccz .LBB126_1362
; %bb.1360:
	v_cmp_eq_u16_e32 vcc_lo, 15, v2
	s_cbranch_vccz .LBB126_1365
; %bb.1361:
	global_load_u16 v5, v[0:1], off
	s_mov_b32 s20, 0
	s_mov_b32 s22, -1
	s_waitcnt vmcnt(0)
	v_and_b32_e32 v5, 0x7fff, v5
	s_delay_alu instid0(VALU_DEP_1)
	v_cmp_ne_u16_e32 vcc_lo, 0, v5
	s_and_b32 s21, vcc_lo, exec_lo
	s_branch .LBB126_1367
.LBB126_1362:
	s_mov_b32 s0, -1
	s_branch .LBB126_1366
.LBB126_1363:
	s_and_not1_saveexec_b32 s22, s22
	s_cbranch_execz .LBB126_1344
.LBB126_1364:
	v_cmp_ne_u16_e32 vcc_lo, 0, v5
	s_and_not1_b32 s0, s0, exec_lo
	s_and_not1_b32 s21, s21, exec_lo
	s_and_b32 s23, vcc_lo, exec_lo
	s_delay_alu instid0(SALU_CYCLE_1)
	s_or_b32 s0, s0, s23
	s_or_b32 exec_lo, exec_lo, s22
	s_and_saveexec_b32 s22, s0
	s_cbranch_execnz .LBB126_1345
	s_branch .LBB126_1346
.LBB126_1365:
	s_mov_b32 s20, -1
.LBB126_1366:
                                        ; implicit-def: $sgpr21
.LBB126_1367:
	s_and_b32 vcc_lo, exec_lo, s0
	s_mov_b32 s0, 0
	s_cbranch_vccz .LBB126_1369
; %bb.1368:
	v_cmp_ne_u16_e32 vcc_lo, 11, v2
	s_and_not1_b32 s20, s20, exec_lo
	s_mov_b32 s0, -1
	s_and_not1_b32 s21, s21, exec_lo
	s_and_b32 s23, vcc_lo, exec_lo
	s_delay_alu instid0(SALU_CYCLE_1)
	s_or_b32 s20, s20, s23
.LBB126_1369:
	s_mov_b32 s23, 0
.LBB126_1370:
	s_and_not1_b32 s18, s18, exec_lo
	s_and_b32 s24, s20, exec_lo
	s_and_b32 s21, s21, exec_lo
	;; [unrolled: 1-line block ×5, first 2 shown]
	s_or_b32 s18, s18, s24
.LBB126_1371:
	s_or_b32 exec_lo, exec_lo, s19
	s_and_saveexec_b32 s0, s18
	s_cbranch_execnz .LBB126_1383
; %bb.1372:
	s_or_b32 exec_lo, exec_lo, s0
	s_and_saveexec_b32 s0, s20
	s_delay_alu instid0(SALU_CYCLE_1)
	s_xor_b32 s0, exec_lo, s0
	s_cbranch_execz .LBB126_1374
.LBB126_1373:
	global_load_u8 v5, v[0:1], off
	s_and_not1_b32 s18, s21, exec_lo
	s_or_b32 s22, s22, exec_lo
	s_waitcnt vmcnt(0)
	v_cmp_ne_u16_e32 vcc_lo, 0, v5
	s_and_b32 s19, vcc_lo, exec_lo
	s_delay_alu instid0(SALU_CYCLE_1)
	s_or_b32 s21, s18, s19
.LBB126_1374:
	s_or_b32 exec_lo, exec_lo, s0
	s_and_saveexec_b32 s18, s23
	s_cbranch_execz .LBB126_1422
; %bb.1375:
	s_waitcnt vmcnt(0)
	v_cmp_gt_i16_e32 vcc_lo, 5, v2
	s_cbranch_vccnz .LBB126_1380
; %bb.1376:
	v_cmp_gt_i16_e32 vcc_lo, 8, v2
	s_cbranch_vccnz .LBB126_1381
; %bb.1377:
	;; [unrolled: 3-line block ×3, first 2 shown]
	v_cmp_lt_i16_e32 vcc_lo, 9, v2
	s_cbranch_vccz .LBB126_1385
; %bb.1379:
	global_load_b128 v[5:8], v[0:1], off
	s_mov_b32 s19, 0
	s_waitcnt vmcnt(0)
	v_cmp_neq_f64_e32 vcc_lo, 0, v[5:6]
	v_cmp_neq_f64_e64 s0, 0, v[7:8]
	s_delay_alu instid0(VALU_DEP_1) | instskip(NEXT) | instid1(SALU_CYCLE_1)
	s_or_b32 s0, vcc_lo, s0
	s_and_b32 s0, s0, exec_lo
	s_branch .LBB126_1386
.LBB126_1380:
                                        ; implicit-def: $sgpr0
	s_branch .LBB126_1403
.LBB126_1381:
                                        ; implicit-def: $sgpr0
	s_branch .LBB126_1392
.LBB126_1382:
	s_mov_b32 s19, -1
                                        ; implicit-def: $sgpr0
	s_branch .LBB126_1389
.LBB126_1383:
	s_cbranch_execnz .LBB126_1431
; %bb.1384:
	s_and_not1_b32 s21, s21, exec_lo
	s_or_b32 s17, s17, exec_lo
	s_and_not1_b32 s22, s22, exec_lo
	s_and_not1_b32 s20, s20, exec_lo
	s_or_b32 exec_lo, exec_lo, s0
	s_and_saveexec_b32 s0, s20
	s_delay_alu instid0(SALU_CYCLE_1)
	s_xor_b32 s0, exec_lo, s0
	s_cbranch_execnz .LBB126_1373
	s_branch .LBB126_1374
.LBB126_1385:
	s_mov_b32 s19, -1
                                        ; implicit-def: $sgpr0
.LBB126_1386:
	s_delay_alu instid0(SALU_CYCLE_1)
	s_and_not1_b32 vcc_lo, exec_lo, s19
	s_cbranch_vccnz .LBB126_1388
; %bb.1387:
	global_load_b64 v[5:6], v[0:1], off
	s_and_not1_b32 s0, s0, exec_lo
	s_waitcnt vmcnt(0)
	v_or_b32_e32 v5, v5, v6
	s_delay_alu instid0(VALU_DEP_1) | instskip(NEXT) | instid1(VALU_DEP_1)
	v_and_b32_e32 v5, 0x7fffffff, v5
	v_cmp_ne_u32_e32 vcc_lo, 0, v5
	s_and_b32 s19, vcc_lo, exec_lo
	s_delay_alu instid0(SALU_CYCLE_1)
	s_or_b32 s0, s0, s19
.LBB126_1388:
	s_mov_b32 s19, 0
.LBB126_1389:
	s_delay_alu instid0(SALU_CYCLE_1)
	s_and_not1_b32 vcc_lo, exec_lo, s19
	s_cbranch_vccnz .LBB126_1391
; %bb.1390:
	global_load_b32 v5, v[0:1], off
	s_and_not1_b32 s0, s0, exec_lo
	s_waitcnt vmcnt(0)
	v_and_b32_e32 v5, 0x7fff7fff, v5
	s_delay_alu instid0(VALU_DEP_1) | instskip(SKIP_1) | instid1(SALU_CYCLE_1)
	v_cmp_ne_u32_e32 vcc_lo, 0, v5
	s_and_b32 s19, vcc_lo, exec_lo
	s_or_b32 s0, s0, s19
.LBB126_1391:
	s_cbranch_execnz .LBB126_1402
.LBB126_1392:
	v_cmp_gt_i16_e32 vcc_lo, 6, v2
	s_cbranch_vccnz .LBB126_1395
; %bb.1393:
	v_cmp_lt_i16_e32 vcc_lo, 6, v2
	s_cbranch_vccz .LBB126_1396
; %bb.1394:
	global_load_b64 v[5:6], v[0:1], off
	s_mov_b32 s19, 0
	s_waitcnt vmcnt(0)
	v_cmp_neq_f64_e32 vcc_lo, 0, v[5:6]
	s_and_b32 s0, vcc_lo, exec_lo
	s_branch .LBB126_1397
.LBB126_1395:
	s_mov_b32 s19, -1
                                        ; implicit-def: $sgpr0
	s_branch .LBB126_1400
.LBB126_1396:
	s_mov_b32 s19, -1
                                        ; implicit-def: $sgpr0
.LBB126_1397:
	s_delay_alu instid0(SALU_CYCLE_1)
	s_and_not1_b32 vcc_lo, exec_lo, s19
	s_cbranch_vccnz .LBB126_1399
; %bb.1398:
	global_load_b32 v5, v[0:1], off
	s_and_not1_b32 s0, s0, exec_lo
	s_waitcnt vmcnt(0)
	v_cmp_neq_f32_e32 vcc_lo, 0, v5
	s_and_b32 s19, vcc_lo, exec_lo
	s_delay_alu instid0(SALU_CYCLE_1)
	s_or_b32 s0, s0, s19
.LBB126_1399:
	s_mov_b32 s19, 0
.LBB126_1400:
	s_delay_alu instid0(SALU_CYCLE_1)
	s_and_not1_b32 vcc_lo, exec_lo, s19
	s_cbranch_vccnz .LBB126_1402
; %bb.1401:
	global_load_u16 v5, v[0:1], off
	s_and_not1_b32 s0, s0, exec_lo
	s_waitcnt vmcnt(0)
	v_and_b32_e32 v5, 0x7fff, v5
	s_delay_alu instid0(VALU_DEP_1) | instskip(SKIP_1) | instid1(SALU_CYCLE_1)
	v_cmp_ne_u16_e32 vcc_lo, 0, v5
	s_and_b32 s19, vcc_lo, exec_lo
	s_or_b32 s0, s0, s19
.LBB126_1402:
	s_cbranch_execnz .LBB126_1421
.LBB126_1403:
	v_cmp_gt_i16_e32 vcc_lo, 2, v2
	s_cbranch_vccnz .LBB126_1407
; %bb.1404:
	v_cmp_gt_i16_e32 vcc_lo, 3, v2
	s_cbranch_vccnz .LBB126_1408
; %bb.1405:
	v_cmp_lt_i16_e32 vcc_lo, 3, v2
	s_cbranch_vccz .LBB126_1409
; %bb.1406:
	global_load_b64 v[5:6], v[0:1], off
	s_mov_b32 s19, 0
	s_waitcnt vmcnt(0)
	v_cmp_ne_u64_e32 vcc_lo, 0, v[5:6]
	s_and_b32 s0, vcc_lo, exec_lo
	s_branch .LBB126_1410
.LBB126_1407:
                                        ; implicit-def: $sgpr0
	s_branch .LBB126_1416
.LBB126_1408:
	s_mov_b32 s19, -1
                                        ; implicit-def: $sgpr0
	s_branch .LBB126_1413
.LBB126_1409:
	s_mov_b32 s19, -1
                                        ; implicit-def: $sgpr0
.LBB126_1410:
	s_delay_alu instid0(SALU_CYCLE_1)
	s_and_not1_b32 vcc_lo, exec_lo, s19
	s_cbranch_vccnz .LBB126_1412
; %bb.1411:
	global_load_b32 v5, v[0:1], off
	s_and_not1_b32 s0, s0, exec_lo
	s_waitcnt vmcnt(0)
	v_cmp_ne_u32_e32 vcc_lo, 0, v5
	s_and_b32 s19, vcc_lo, exec_lo
	s_delay_alu instid0(SALU_CYCLE_1)
	s_or_b32 s0, s0, s19
.LBB126_1412:
	s_mov_b32 s19, 0
.LBB126_1413:
	s_delay_alu instid0(SALU_CYCLE_1)
	s_and_not1_b32 vcc_lo, exec_lo, s19
	s_cbranch_vccnz .LBB126_1415
; %bb.1414:
	global_load_u16 v5, v[0:1], off
	s_and_not1_b32 s0, s0, exec_lo
	s_waitcnt vmcnt(0)
	v_cmp_ne_u16_e32 vcc_lo, 0, v5
	s_and_b32 s19, vcc_lo, exec_lo
	s_delay_alu instid0(SALU_CYCLE_1)
	s_or_b32 s0, s0, s19
.LBB126_1415:
	s_cbranch_execnz .LBB126_1421
.LBB126_1416:
	v_cmp_lt_i16_e32 vcc_lo, 0, v2
	s_mov_b32 s19, 0
	s_cbranch_vccz .LBB126_1418
; %bb.1417:
	global_load_u8 v2, v[0:1], off
	s_waitcnt vmcnt(0)
	v_cmp_ne_u16_e32 vcc_lo, 0, v2
	s_and_b32 s0, vcc_lo, exec_lo
	s_branch .LBB126_1419
.LBB126_1418:
	s_mov_b32 s19, -1
                                        ; implicit-def: $sgpr0
.LBB126_1419:
	s_delay_alu instid0(SALU_CYCLE_1)
	s_and_not1_b32 vcc_lo, exec_lo, s19
	s_cbranch_vccnz .LBB126_1421
; %bb.1420:
	global_load_u8 v0, v[0:1], off
	s_and_not1_b32 s0, s0, exec_lo
	s_waitcnt vmcnt(0)
	v_cmp_ne_u16_e32 vcc_lo, 0, v0
	s_and_b32 s19, vcc_lo, exec_lo
	s_delay_alu instid0(SALU_CYCLE_1)
	s_or_b32 s0, s0, s19
.LBB126_1421:
	s_and_not1_b32 s19, s21, exec_lo
	s_and_b32 s0, s0, exec_lo
	s_or_b32 s22, s22, exec_lo
	s_or_b32 s21, s19, s0
.LBB126_1422:
	s_or_b32 exec_lo, exec_lo, s18
	s_mov_b32 s0, 0
	s_mov_b32 s19, 0
                                        ; implicit-def: $vgpr5
                                        ; implicit-def: $vgpr0_vgpr1
                                        ; implicit-def: $vgpr2
	s_and_saveexec_b32 s18, s22
	s_cbranch_execz .LBB126_1502
; %bb.1423:
	v_mul_lo_u32 v1, v4, s8
	v_cndmask_b32_e64 v0, 0, 1.0, s21
	v_and_b32_e64 v5, 0xff, s12
	s_waitcnt vmcnt(0)
	s_delay_alu instid0(VALU_DEP_2) | instskip(NEXT) | instid1(VALU_DEP_2)
	v_mul_f32_e32 v0, v3, v0
	v_cmp_gt_i16_e32 vcc_lo, 11, v5
	v_ashrrev_i32_e32 v3, 31, v1
	s_delay_alu instid0(VALU_DEP_3) | instskip(SKIP_1) | instid1(VALU_DEP_1)
	v_mul_f32_e32 v2, s11, v0
	v_add_co_u32 v0, s0, s4, v1
	v_add_co_ci_u32_e64 v1, s0, s5, v3, s0
	s_cbranch_vccnz .LBB126_1430
; %bb.1424:
	v_cmp_lt_i16_e32 vcc_lo, 25, v5
	s_mov_b32 s19, -1
	s_mov_b32 s0, s16
	s_cbranch_vccz .LBB126_1460
; %bb.1425:
	v_cmp_lt_i16_e32 vcc_lo, 28, v5
	s_mov_b32 s0, s16
	s_cbranch_vccz .LBB126_1444
; %bb.1426:
	v_cmp_lt_i16_e32 vcc_lo, 43, v5
	s_mov_b32 s0, s16
	s_cbranch_vccz .LBB126_1440
; %bb.1427:
	v_cmp_lt_i16_e32 vcc_lo, 45, v5
	s_mov_b32 s0, s16
	s_cbranch_vccz .LBB126_1434
; %bb.1428:
	v_cmp_eq_u16_e32 vcc_lo, 46, v5
	s_mov_b32 s0, -1
	s_cbranch_vccz .LBB126_1433
; %bb.1429:
	v_bfe_u32 v3, v2, 16, 1
	v_cmp_o_f32_e32 vcc_lo, v2, v2
	s_mov_b32 s0, 0
	s_mov_b32 s19, 0
	s_delay_alu instid0(VALU_DEP_2) | instskip(NEXT) | instid1(VALU_DEP_1)
	v_add3_u32 v3, v2, v3, 0x7fff
	v_lshrrev_b32_e32 v3, 16, v3
	s_delay_alu instid0(VALU_DEP_1)
	v_cndmask_b32_e32 v3, 0x7fc0, v3, vcc_lo
	global_store_b32 v[0:1], v3, off
	s_branch .LBB126_1434
.LBB126_1430:
	s_mov_b32 s20, 0
	s_mov_b32 s19, -1
	s_mov_b32 s0, s16
	s_branch .LBB126_1501
.LBB126_1431:
	s_trap 2
	s_sendmsg_rtn_b32 s0, sendmsg(MSG_RTN_GET_DOORBELL)
	s_mov_b32 ttmp2, m0
	s_waitcnt lgkmcnt(0)
	s_and_b32 s0, s0, 0x3ff
	s_delay_alu instid0(SALU_CYCLE_1) | instskip(NEXT) | instid1(SALU_CYCLE_1)
	s_bitset1_b32 s0, 10
	s_mov_b32 m0, s0
	s_sendmsg sendmsg(MSG_INTERRUPT)
	s_mov_b32 m0, ttmp2
.LBB126_1432:                           ; =>This Inner Loop Header: Depth=1
	s_sethalt 5
	s_branch .LBB126_1432
.LBB126_1433:
	s_mov_b32 s19, 0
.LBB126_1434:
	s_delay_alu instid0(SALU_CYCLE_1)
	s_and_b32 vcc_lo, exec_lo, s19
	s_cbranch_vccz .LBB126_1439
; %bb.1435:
	v_cmp_eq_u16_e32 vcc_lo, 44, v5
	s_mov_b32 s0, -1
	s_cbranch_vccz .LBB126_1439
; %bb.1436:
	v_bfe_u32 v4, v2, 23, 8
	v_mov_b32_e32 v3, 0xff
	s_mov_b32 s19, exec_lo
	s_delay_alu instid0(VALU_DEP_2)
	v_cmpx_ne_u32_e32 0xff, v4
; %bb.1437:
	v_and_b32_e32 v3, 0x400000, v2
	v_and_or_b32 v4, 0x3fffff, v2, v4
	s_delay_alu instid0(VALU_DEP_2) | instskip(NEXT) | instid1(VALU_DEP_2)
	v_cmp_ne_u32_e32 vcc_lo, 0, v3
	v_cmp_ne_u32_e64 s0, 0, v4
	v_lshrrev_b32_e32 v3, 23, v2
	s_delay_alu instid0(VALU_DEP_2) | instskip(NEXT) | instid1(SALU_CYCLE_1)
	s_and_b32 s0, vcc_lo, s0
	v_cndmask_b32_e64 v4, 0, 1, s0
	s_delay_alu instid0(VALU_DEP_1)
	v_add_nc_u32_e32 v3, v3, v4
; %bb.1438:
	s_or_b32 exec_lo, exec_lo, s19
	s_mov_b32 s0, 0
	global_store_b8 v[0:1], v3, off
.LBB126_1439:
	s_mov_b32 s19, 0
.LBB126_1440:
	s_delay_alu instid0(SALU_CYCLE_1)
	s_and_b32 vcc_lo, exec_lo, s19
	s_cbranch_vccz .LBB126_1443
; %bb.1441:
	v_cmp_eq_u16_e32 vcc_lo, 29, v5
	s_mov_b32 s0, -1
	s_cbranch_vccz .LBB126_1443
; %bb.1442:
	v_trunc_f32_e32 v3, v2
	s_mov_b32 s0, 0
	s_mov_b32 s19, 0
	s_delay_alu instid0(VALU_DEP_1) | instskip(NEXT) | instid1(VALU_DEP_1)
	v_mul_f32_e32 v4, 0x2f800000, v3
	v_floor_f32_e32 v4, v4
	s_delay_alu instid0(VALU_DEP_1) | instskip(SKIP_1) | instid1(VALU_DEP_2)
	v_fmamk_f32 v3, v4, 0xcf800000, v3
	v_cvt_u32_f32_e32 v4, v4
	v_cvt_u32_f32_e32 v3, v3
	global_store_b64 v[0:1], v[3:4], off
	s_branch .LBB126_1444
.LBB126_1443:
	s_mov_b32 s19, 0
.LBB126_1444:
	s_delay_alu instid0(SALU_CYCLE_1)
	s_and_b32 vcc_lo, exec_lo, s19
	s_cbranch_vccz .LBB126_1459
; %bb.1445:
	v_cmp_gt_i16_e32 vcc_lo, 27, v5
	s_mov_b32 s19, -1
	s_cbranch_vccnz .LBB126_1451
; %bb.1446:
	v_cmp_lt_i16_e32 vcc_lo, 27, v5
	v_cvt_u32_f32_e32 v3, v2
	s_cbranch_vccz .LBB126_1448
; %bb.1447:
	s_mov_b32 s19, 0
	global_store_b32 v[0:1], v3, off
.LBB126_1448:
	s_and_not1_b32 vcc_lo, exec_lo, s19
	s_cbranch_vccnz .LBB126_1450
; %bb.1449:
	global_store_b16 v[0:1], v3, off
.LBB126_1450:
	s_mov_b32 s19, 0
.LBB126_1451:
	s_delay_alu instid0(SALU_CYCLE_1)
	s_and_not1_b32 vcc_lo, exec_lo, s19
	s_cbranch_vccnz .LBB126_1459
; %bb.1452:
	v_and_b32_e32 v3, 0x7fffffff, v2
	v_mov_b32_e32 v4, 0x80
	s_mov_b32 s19, exec_lo
	s_delay_alu instid0(VALU_DEP_2)
	v_cmpx_gt_u32_e32 0x43800000, v3
	s_cbranch_execz .LBB126_1458
; %bb.1453:
	v_cmp_lt_u32_e32 vcc_lo, 0x3bffffff, v3
	s_mov_b32 s20, 0
                                        ; implicit-def: $vgpr3
	s_and_saveexec_b32 s21, vcc_lo
	s_delay_alu instid0(SALU_CYCLE_1)
	s_xor_b32 s21, exec_lo, s21
	s_cbranch_execz .LBB126_1694
; %bb.1454:
	v_bfe_u32 v3, v2, 20, 1
	s_mov_b32 s20, exec_lo
	s_delay_alu instid0(VALU_DEP_1) | instskip(NEXT) | instid1(VALU_DEP_1)
	v_add3_u32 v3, v2, v3, 0x487ffff
	v_lshrrev_b32_e32 v3, 20, v3
	s_or_saveexec_b32 s21, s21
                                        ; implicit-def: $sgpr22
	s_delay_alu instid0(SALU_CYCLE_1)
	s_xor_b32 exec_lo, exec_lo, s21
	s_cbranch_execnz .LBB126_1695
.LBB126_1455:
	s_or_b32 exec_lo, exec_lo, s21
	v_mov_b32_e32 v4, s22
	s_and_saveexec_b32 s21, s20
.LBB126_1456:
	v_lshrrev_b32_e32 v4, 24, v2
	s_delay_alu instid0(VALU_DEP_1)
	v_and_or_b32 v4, 0x80, v4, v3
.LBB126_1457:
	s_or_b32 exec_lo, exec_lo, s21
.LBB126_1458:
	s_delay_alu instid0(SALU_CYCLE_1)
	s_or_b32 exec_lo, exec_lo, s19
	global_store_b8 v[0:1], v4, off
.LBB126_1459:
	s_mov_b32 s19, 0
.LBB126_1460:
	s_delay_alu instid0(SALU_CYCLE_1)
	s_and_b32 vcc_lo, exec_lo, s19
	s_mov_b32 s19, 0
	s_cbranch_vccz .LBB126_1500
; %bb.1461:
	v_cmp_lt_i16_e32 vcc_lo, 22, v5
	s_mov_b32 s20, -1
	s_cbranch_vccz .LBB126_1493
; %bb.1462:
	v_cmp_gt_i16_e32 vcc_lo, 24, v5
	s_cbranch_vccnz .LBB126_1482
; %bb.1463:
	v_cmp_lt_i16_e32 vcc_lo, 24, v5
	s_cbranch_vccz .LBB126_1471
; %bb.1464:
	v_and_b32_e32 v3, 0x7fffffff, v2
	v_mov_b32_e32 v4, 0x80
	s_mov_b32 s20, exec_lo
	s_delay_alu instid0(VALU_DEP_2)
	v_cmpx_gt_u32_e32 0x47800000, v3
	s_cbranch_execz .LBB126_1470
; %bb.1465:
	v_cmp_lt_u32_e32 vcc_lo, 0x37ffffff, v3
	s_mov_b32 s21, 0
                                        ; implicit-def: $vgpr3
	s_and_saveexec_b32 s22, vcc_lo
	s_delay_alu instid0(SALU_CYCLE_1)
	s_xor_b32 s22, exec_lo, s22
	s_cbranch_execz .LBB126_1824
; %bb.1466:
	v_bfe_u32 v3, v2, 21, 1
	s_mov_b32 s21, exec_lo
	s_delay_alu instid0(VALU_DEP_1) | instskip(NEXT) | instid1(VALU_DEP_1)
	v_add3_u32 v3, v2, v3, 0x88fffff
	v_lshrrev_b32_e32 v3, 21, v3
	s_or_saveexec_b32 s22, s22
                                        ; implicit-def: $sgpr23
	s_delay_alu instid0(SALU_CYCLE_1)
	s_xor_b32 exec_lo, exec_lo, s22
	s_cbranch_execnz .LBB126_1825
.LBB126_1467:
	s_or_b32 exec_lo, exec_lo, s22
	v_mov_b32_e32 v4, s23
	s_and_saveexec_b32 s22, s21
.LBB126_1468:
	v_lshrrev_b32_e32 v4, 24, v2
	s_delay_alu instid0(VALU_DEP_1)
	v_and_or_b32 v4, 0x80, v4, v3
.LBB126_1469:
	s_or_b32 exec_lo, exec_lo, s22
.LBB126_1470:
	s_delay_alu instid0(SALU_CYCLE_1)
	s_or_b32 exec_lo, exec_lo, s20
	s_mov_b32 s20, 0
	global_store_b8 v[0:1], v4, off
.LBB126_1471:
	s_and_b32 vcc_lo, exec_lo, s20
	s_cbranch_vccz .LBB126_1481
; %bb.1472:
	v_and_b32_e32 v4, 0x7fffffff, v2
	s_mov_b32 s20, exec_lo
                                        ; implicit-def: $vgpr3
	s_delay_alu instid0(VALU_DEP_1)
	v_cmpx_gt_u32_e32 0x43f00000, v4
	s_xor_b32 s20, exec_lo, s20
	s_cbranch_execz .LBB126_1478
; %bb.1473:
	s_mov_b32 s21, exec_lo
                                        ; implicit-def: $vgpr3
	v_cmpx_lt_u32_e32 0x3c7fffff, v4
	s_xor_b32 s21, exec_lo, s21
; %bb.1474:
	v_bfe_u32 v3, v2, 20, 1
	s_delay_alu instid0(VALU_DEP_1) | instskip(NEXT) | instid1(VALU_DEP_1)
	v_add3_u32 v3, v2, v3, 0x407ffff
	v_and_b32_e32 v4, 0xff00000, v3
	v_lshrrev_b32_e32 v3, 20, v3
	s_delay_alu instid0(VALU_DEP_2) | instskip(NEXT) | instid1(VALU_DEP_2)
	v_cmp_ne_u32_e32 vcc_lo, 0x7f00000, v4
	v_cndmask_b32_e32 v3, 0x7e, v3, vcc_lo
; %bb.1475:
	s_and_not1_saveexec_b32 s21, s21
; %bb.1476:
	v_add_f32_e64 v3, 0x46800000, |v2|
; %bb.1477:
	s_or_b32 exec_lo, exec_lo, s21
                                        ; implicit-def: $vgpr4
.LBB126_1478:
	s_and_not1_saveexec_b32 s20, s20
; %bb.1479:
	v_mov_b32_e32 v3, 0x7f
	v_cmp_lt_u32_e32 vcc_lo, 0x7f800000, v4
	s_delay_alu instid0(VALU_DEP_2)
	v_cndmask_b32_e32 v3, 0x7e, v3, vcc_lo
; %bb.1480:
	s_or_b32 exec_lo, exec_lo, s20
	v_lshrrev_b32_e32 v4, 24, v2
	s_delay_alu instid0(VALU_DEP_1)
	v_and_or_b32 v3, 0x80, v4, v3
	global_store_b8 v[0:1], v3, off
.LBB126_1481:
	s_mov_b32 s20, 0
.LBB126_1482:
	s_delay_alu instid0(SALU_CYCLE_1)
	s_and_not1_b32 vcc_lo, exec_lo, s20
	s_cbranch_vccnz .LBB126_1492
; %bb.1483:
	v_and_b32_e32 v4, 0x7fffffff, v2
	s_mov_b32 s20, exec_lo
                                        ; implicit-def: $vgpr3
	s_delay_alu instid0(VALU_DEP_1)
	v_cmpx_gt_u32_e32 0x47800000, v4
	s_xor_b32 s20, exec_lo, s20
	s_cbranch_execz .LBB126_1489
; %bb.1484:
	s_mov_b32 s21, exec_lo
                                        ; implicit-def: $vgpr3
	v_cmpx_lt_u32_e32 0x387fffff, v4
	s_xor_b32 s21, exec_lo, s21
; %bb.1485:
	v_bfe_u32 v3, v2, 21, 1
	s_delay_alu instid0(VALU_DEP_1) | instskip(NEXT) | instid1(VALU_DEP_1)
	v_add3_u32 v3, v2, v3, 0x80fffff
	v_lshrrev_b32_e32 v3, 21, v3
; %bb.1486:
	s_and_not1_saveexec_b32 s21, s21
; %bb.1487:
	v_add_f32_e64 v3, 0x43000000, |v2|
; %bb.1488:
	s_or_b32 exec_lo, exec_lo, s21
                                        ; implicit-def: $vgpr4
.LBB126_1489:
	s_and_not1_saveexec_b32 s20, s20
; %bb.1490:
	v_mov_b32_e32 v3, 0x7f
	v_cmp_lt_u32_e32 vcc_lo, 0x7f800000, v4
	s_delay_alu instid0(VALU_DEP_2)
	v_cndmask_b32_e32 v3, 0x7c, v3, vcc_lo
; %bb.1491:
	s_or_b32 exec_lo, exec_lo, s20
	v_lshrrev_b32_e32 v4, 24, v2
	s_delay_alu instid0(VALU_DEP_1)
	v_and_or_b32 v3, 0x80, v4, v3
	global_store_b8 v[0:1], v3, off
.LBB126_1492:
	s_mov_b32 s20, 0
.LBB126_1493:
	s_delay_alu instid0(SALU_CYCLE_1)
	s_and_not1_b32 vcc_lo, exec_lo, s20
	s_mov_b32 s20, 0
	s_cbranch_vccnz .LBB126_1501
; %bb.1494:
	v_cmp_lt_i16_e32 vcc_lo, 14, v5
	s_mov_b32 s20, -1
	s_cbranch_vccz .LBB126_1498
; %bb.1495:
	v_cmp_eq_u16_e32 vcc_lo, 15, v5
	s_mov_b32 s0, -1
	s_cbranch_vccz .LBB126_1497
; %bb.1496:
	v_bfe_u32 v3, v2, 16, 1
	v_cmp_o_f32_e32 vcc_lo, v2, v2
	s_mov_b32 s0, 0
	s_delay_alu instid0(VALU_DEP_2) | instskip(NEXT) | instid1(VALU_DEP_1)
	v_add3_u32 v3, v2, v3, 0x7fff
	v_lshrrev_b32_e32 v3, 16, v3
	s_delay_alu instid0(VALU_DEP_1)
	v_cndmask_b32_e32 v3, 0x7fc0, v3, vcc_lo
	global_store_b16 v[0:1], v3, off
.LBB126_1497:
	s_mov_b32 s20, 0
.LBB126_1498:
	s_delay_alu instid0(SALU_CYCLE_1)
	s_and_b32 vcc_lo, exec_lo, s20
	s_mov_b32 s20, 0
	s_cbranch_vccz .LBB126_1501
; %bb.1499:
	v_cmp_ne_u16_e32 vcc_lo, 11, v5
	s_and_not1_b32 s0, s0, exec_lo
	s_mov_b32 s20, -1
	s_and_b32 s21, vcc_lo, exec_lo
	s_delay_alu instid0(SALU_CYCLE_1)
	s_or_b32 s0, s0, s21
	s_branch .LBB126_1501
.LBB126_1500:
	s_mov_b32 s20, 0
.LBB126_1501:
	s_and_not1_b32 s16, s16, exec_lo
	s_and_b32 s21, s0, exec_lo
	s_and_b32 s19, s19, exec_lo
	;; [unrolled: 1-line block ×3, first 2 shown]
	s_or_b32 s16, s16, s21
.LBB126_1502:
	s_or_b32 exec_lo, exec_lo, s18
	s_and_saveexec_b32 s18, s16
	s_cbranch_execnz .LBB126_1564
; %bb.1503:
	s_or_b32 exec_lo, exec_lo, s18
	s_and_saveexec_b32 s16, s0
	s_delay_alu instid0(SALU_CYCLE_1)
	s_xor_b32 s0, exec_lo, s16
	s_cbranch_execz .LBB126_1505
.LBB126_1504:
	s_waitcnt vmcnt(0)
	v_cmp_neq_f32_e32 vcc_lo, 0, v2
	v_cndmask_b32_e64 v3, 0, 1, vcc_lo
	global_store_b8 v[0:1], v3, off
.LBB126_1505:
	s_or_b32 exec_lo, exec_lo, s0
	s_and_saveexec_b32 s0, s19
	s_delay_alu instid0(SALU_CYCLE_1)
	s_xor_b32 s0, exec_lo, s0
	s_cbranch_execz .LBB126_1543
; %bb.1506:
	v_cmp_gt_i16_e32 vcc_lo, 5, v5
	s_mov_b32 s16, -1
	s_cbranch_vccnz .LBB126_1527
; %bb.1507:
	v_cmp_gt_i16_e32 vcc_lo, 8, v5
	s_cbranch_vccnz .LBB126_1517
; %bb.1508:
	v_cmp_gt_i16_e32 vcc_lo, 9, v5
	s_cbranch_vccnz .LBB126_1514
; %bb.1509:
	v_cmp_lt_i16_e32 vcc_lo, 9, v5
	s_cbranch_vccz .LBB126_1511
; %bb.1510:
	s_waitcnt vmcnt(0)
	v_cvt_f64_f32_e32 v[6:7], v2
	v_mov_b32_e32 v8, 0
	s_mov_b32 s16, 0
	s_delay_alu instid0(VALU_DEP_1)
	v_mov_b32_e32 v9, v8
	global_store_b128 v[0:1], v[6:9], off
.LBB126_1511:
	s_and_not1_b32 vcc_lo, exec_lo, s16
	s_cbranch_vccnz .LBB126_1513
; %bb.1512:
	s_waitcnt vmcnt(0)
	v_mov_b32_e32 v3, 0
	global_store_b64 v[0:1], v[2:3], off
.LBB126_1513:
	s_mov_b32 s16, 0
.LBB126_1514:
	s_delay_alu instid0(SALU_CYCLE_1)
	s_and_not1_b32 vcc_lo, exec_lo, s16
	s_cbranch_vccnz .LBB126_1516
; %bb.1515:
	s_waitcnt vmcnt(0)
	v_cvt_f16_f32_e32 v3, v2
	s_delay_alu instid0(VALU_DEP_1)
	v_and_b32_e32 v3, 0xffff, v3
	global_store_b32 v[0:1], v3, off
.LBB126_1516:
	s_mov_b32 s16, 0
.LBB126_1517:
	s_delay_alu instid0(SALU_CYCLE_1)
	s_and_not1_b32 vcc_lo, exec_lo, s16
	s_cbranch_vccnz .LBB126_1526
; %bb.1518:
	v_cmp_gt_i16_e32 vcc_lo, 6, v5
	s_mov_b32 s16, -1
	s_cbranch_vccnz .LBB126_1524
; %bb.1519:
	v_cmp_lt_i16_e32 vcc_lo, 6, v5
	s_cbranch_vccz .LBB126_1521
; %bb.1520:
	s_waitcnt vmcnt(0)
	v_cvt_f64_f32_e32 v[3:4], v2
	s_mov_b32 s16, 0
	global_store_b64 v[0:1], v[3:4], off
.LBB126_1521:
	s_and_not1_b32 vcc_lo, exec_lo, s16
	s_cbranch_vccnz .LBB126_1523
; %bb.1522:
	s_waitcnt vmcnt(0)
	global_store_b32 v[0:1], v2, off
.LBB126_1523:
	s_mov_b32 s16, 0
.LBB126_1524:
	s_delay_alu instid0(SALU_CYCLE_1)
	s_and_not1_b32 vcc_lo, exec_lo, s16
	s_cbranch_vccnz .LBB126_1526
; %bb.1525:
	s_waitcnt vmcnt(0)
	v_cvt_f16_f32_e32 v3, v2
	global_store_b16 v[0:1], v3, off
.LBB126_1526:
	s_mov_b32 s16, 0
.LBB126_1527:
	s_delay_alu instid0(SALU_CYCLE_1)
	s_and_not1_b32 vcc_lo, exec_lo, s16
	s_cbranch_vccnz .LBB126_1543
; %bb.1528:
	v_cmp_gt_i16_e32 vcc_lo, 2, v5
	s_mov_b32 s16, -1
	s_cbranch_vccnz .LBB126_1538
; %bb.1529:
	v_cmp_gt_i16_e32 vcc_lo, 3, v5
	s_cbranch_vccnz .LBB126_1535
; %bb.1530:
	v_cmp_lt_i16_e32 vcc_lo, 3, v5
	s_cbranch_vccz .LBB126_1532
; %bb.1531:
	s_waitcnt vmcnt(0)
	v_trunc_f32_e32 v3, v2
	s_mov_b32 s16, 0
	s_delay_alu instid0(VALU_DEP_1) | instskip(SKIP_1) | instid1(VALU_DEP_2)
	v_mul_f32_e64 v4, 0x2f800000, |v3|
	v_ashrrev_i32_e32 v7, 31, v3
	v_floor_f32_e32 v4, v4
	s_delay_alu instid0(VALU_DEP_1) | instskip(SKIP_1) | instid1(VALU_DEP_2)
	v_fma_f32 v6, 0xcf800000, v4, |v3|
	v_cvt_u32_f32_e32 v4, v4
	v_cvt_u32_f32_e32 v3, v6
	s_delay_alu instid0(VALU_DEP_2) | instskip(NEXT) | instid1(VALU_DEP_2)
	v_xor_b32_e32 v4, v4, v7
	v_xor_b32_e32 v3, v3, v7
	s_delay_alu instid0(VALU_DEP_1) | instskip(NEXT) | instid1(VALU_DEP_3)
	v_sub_co_u32 v3, vcc_lo, v3, v7
	v_sub_co_ci_u32_e32 v4, vcc_lo, v4, v7, vcc_lo
	global_store_b64 v[0:1], v[3:4], off
.LBB126_1532:
	s_and_not1_b32 vcc_lo, exec_lo, s16
	s_cbranch_vccnz .LBB126_1534
; %bb.1533:
	s_waitcnt vmcnt(0)
	v_cvt_i32_f32_e32 v3, v2
	global_store_b32 v[0:1], v3, off
.LBB126_1534:
	s_mov_b32 s16, 0
.LBB126_1535:
	s_delay_alu instid0(SALU_CYCLE_1)
	s_and_not1_b32 vcc_lo, exec_lo, s16
	s_cbranch_vccnz .LBB126_1537
; %bb.1536:
	s_waitcnt vmcnt(0)
	v_cvt_i32_f32_e32 v3, v2
	global_store_b16 v[0:1], v3, off
.LBB126_1537:
	s_mov_b32 s16, 0
.LBB126_1538:
	s_delay_alu instid0(SALU_CYCLE_1)
	s_and_not1_b32 vcc_lo, exec_lo, s16
	s_cbranch_vccnz .LBB126_1543
; %bb.1539:
	v_cmp_lt_i16_e32 vcc_lo, 0, v5
	s_mov_b32 s16, -1
	s_cbranch_vccz .LBB126_1541
; %bb.1540:
	s_waitcnt vmcnt(0)
	v_cvt_i32_f32_e32 v3, v2
	s_mov_b32 s16, 0
	global_store_b8 v[0:1], v3, off
.LBB126_1541:
	s_and_not1_b32 vcc_lo, exec_lo, s16
	s_cbranch_vccnz .LBB126_1543
; %bb.1542:
	s_waitcnt vmcnt(0)
	v_trunc_f32_e32 v2, v2
	s_delay_alu instid0(VALU_DEP_1) | instskip(NEXT) | instid1(VALU_DEP_1)
	v_mul_f32_e64 v3, 0x2f800000, |v2|
	v_floor_f32_e32 v3, v3
	s_delay_alu instid0(VALU_DEP_1) | instskip(SKIP_1) | instid1(VALU_DEP_2)
	v_fma_f32 v3, 0xcf800000, v3, |v2|
	v_ashrrev_i32_e32 v2, 31, v2
	v_cvt_u32_f32_e32 v3, v3
	s_delay_alu instid0(VALU_DEP_1) | instskip(NEXT) | instid1(VALU_DEP_1)
	v_xor_b32_e32 v3, v3, v2
	v_sub_nc_u32_e32 v2, v3, v2
	global_store_b8 v[0:1], v2, off
.LBB126_1543:
	s_or_b32 exec_lo, exec_lo, s0
	s_delay_alu instid0(SALU_CYCLE_1)
	s_and_b32 s16, s17, exec_lo
                                        ; implicit-def: $vgpr4
.LBB126_1544:
	s_or_saveexec_b32 s15, s15
	s_mov_b32 s0, 0
                                        ; implicit-def: $vgpr5
                                        ; implicit-def: $vgpr0_vgpr1
                                        ; implicit-def: $vgpr2
	s_xor_b32 exec_lo, exec_lo, s15
	s_cbranch_execz .LBB126_3039
; %bb.1545:
	v_mul_lo_u32 v6, s9, v4
	v_and_b32_e64 v5, 0xff, s14
	s_delay_alu instid0(VALU_DEP_1) | instskip(NEXT) | instid1(VALU_DEP_3)
	v_cmp_gt_i16_e32 vcc_lo, 11, v5
	v_ashrrev_i32_e32 v1, 31, v6
	v_add_co_u32 v0, s0, s6, v6
	s_delay_alu instid0(VALU_DEP_1)
	v_add_co_ci_u32_e64 v1, s0, s7, v1, s0
	s_cbranch_vccnz .LBB126_1552
; %bb.1546:
	v_cmp_lt_i16_e32 vcc_lo, 25, v5
	s_mov_b32 s14, 0
	s_cbranch_vccz .LBB126_1558
; %bb.1547:
	v_cmp_lt_i16_e32 vcc_lo, 28, v5
	s_cbranch_vccz .LBB126_1560
; %bb.1548:
	v_cmp_lt_i16_e32 vcc_lo, 43, v5
	;; [unrolled: 3-line block ×3, first 2 shown]
	s_cbranch_vccz .LBB126_1566
; %bb.1550:
	v_cmp_eq_u16_e32 vcc_lo, 46, v5
	s_cbranch_vccz .LBB126_1606
; %bb.1551:
	global_load_b32 v2, v[0:1], off
	s_mov_b32 s0, 0
	s_mov_b32 s17, -1
	s_waitcnt vmcnt(0)
	v_lshlrev_b32_e32 v2, 16, v2
	s_branch .LBB126_1608
.LBB126_1552:
	s_mov_b32 s17, 0
	s_mov_b32 s13, s16
                                        ; implicit-def: $vgpr2
	s_cbranch_execz .LBB126_1671
; %bb.1553:
	v_cmp_gt_i16_e32 vcc_lo, 5, v5
	s_cbranch_vccnz .LBB126_1559
; %bb.1554:
	v_cmp_gt_i16_e32 vcc_lo, 8, v5
	s_cbranch_vccnz .LBB126_1561
	;; [unrolled: 3-line block ×3, first 2 shown]
; %bb.1556:
	v_cmp_lt_i16_e32 vcc_lo, 9, v5
	s_cbranch_vccz .LBB126_1567
; %bb.1557:
	global_load_b64 v[2:3], v[0:1], off
	s_mov_b32 s0, 0
	s_waitcnt vmcnt(0)
	v_cvt_f32_f64_e32 v2, v[2:3]
	s_branch .LBB126_1568
.LBB126_1558:
	s_mov_b32 s17, 0
	s_mov_b32 s0, 0
                                        ; implicit-def: $vgpr2
	s_cbranch_execnz .LBB126_1636
	s_branch .LBB126_1667
.LBB126_1559:
                                        ; implicit-def: $vgpr2
	s_branch .LBB126_1585
.LBB126_1560:
	s_mov_b32 s13, -1
	s_mov_b32 s17, 0
	s_mov_b32 s0, 0
                                        ; implicit-def: $vgpr2
	s_branch .LBB126_1617
.LBB126_1561:
                                        ; implicit-def: $vgpr2
	s_branch .LBB126_1574
.LBB126_1562:
	s_mov_b32 s17, 0
	s_mov_b32 s0, 0
                                        ; implicit-def: $vgpr2
	s_cbranch_execnz .LBB126_1613
	s_branch .LBB126_1616
.LBB126_1563:
	s_mov_b32 s0, -1
                                        ; implicit-def: $vgpr2
	s_branch .LBB126_1571
.LBB126_1564:
	s_cbranch_execnz .LBB126_1604
; %bb.1565:
	s_or_b32 s17, s17, exec_lo
	s_and_not1_b32 s0, s0, exec_lo
	s_or_b32 exec_lo, exec_lo, s18
	s_and_saveexec_b32 s16, s0
	s_delay_alu instid0(SALU_CYCLE_1)
	s_xor_b32 s0, exec_lo, s16
	s_cbranch_execnz .LBB126_1504
	s_branch .LBB126_1505
.LBB126_1566:
	s_mov_b32 s13, -1
	s_mov_b32 s17, 0
	s_mov_b32 s0, 0
	s_branch .LBB126_1607
.LBB126_1567:
	s_mov_b32 s0, -1
                                        ; implicit-def: $vgpr2
.LBB126_1568:
	s_delay_alu instid0(SALU_CYCLE_1)
	s_and_not1_b32 vcc_lo, exec_lo, s0
	s_cbranch_vccnz .LBB126_1570
; %bb.1569:
	global_load_b32 v2, v[0:1], off
.LBB126_1570:
	s_mov_b32 s0, 0
.LBB126_1571:
	s_delay_alu instid0(SALU_CYCLE_1)
	s_and_not1_b32 vcc_lo, exec_lo, s0
	s_cbranch_vccnz .LBB126_1573
; %bb.1572:
	global_load_b32 v2, v[0:1], off
	s_waitcnt vmcnt(0)
	v_cvt_f32_f16_e32 v2, v2
.LBB126_1573:
	s_cbranch_execnz .LBB126_1584
.LBB126_1574:
	v_cmp_gt_i16_e32 vcc_lo, 6, v5
	s_cbranch_vccnz .LBB126_1577
; %bb.1575:
	v_cmp_lt_i16_e32 vcc_lo, 6, v5
	s_cbranch_vccz .LBB126_1578
; %bb.1576:
	global_load_b64 v[2:3], v[0:1], off
	s_mov_b32 s0, 0
	s_waitcnt vmcnt(0)
	v_cvt_f32_f64_e32 v2, v[2:3]
	s_branch .LBB126_1579
.LBB126_1577:
	s_mov_b32 s0, -1
                                        ; implicit-def: $vgpr2
	s_branch .LBB126_1582
.LBB126_1578:
	s_mov_b32 s0, -1
                                        ; implicit-def: $vgpr2
.LBB126_1579:
	s_delay_alu instid0(SALU_CYCLE_1)
	s_and_not1_b32 vcc_lo, exec_lo, s0
	s_cbranch_vccnz .LBB126_1581
; %bb.1580:
	global_load_b32 v2, v[0:1], off
.LBB126_1581:
	s_mov_b32 s0, 0
.LBB126_1582:
	s_delay_alu instid0(SALU_CYCLE_1)
	s_and_not1_b32 vcc_lo, exec_lo, s0
	s_cbranch_vccnz .LBB126_1584
; %bb.1583:
	global_load_u16 v2, v[0:1], off
	s_waitcnt vmcnt(0)
	v_cvt_f32_f16_e32 v2, v2
.LBB126_1584:
	s_cbranch_execnz .LBB126_1603
.LBB126_1585:
	v_cmp_gt_i16_e32 vcc_lo, 2, v5
	s_cbranch_vccnz .LBB126_1589
; %bb.1586:
	v_cmp_gt_i16_e32 vcc_lo, 3, v5
	s_cbranch_vccnz .LBB126_1590
; %bb.1587:
	v_cmp_lt_i16_e32 vcc_lo, 3, v5
	s_cbranch_vccz .LBB126_1591
; %bb.1588:
	global_load_b64 v[2:3], v[0:1], off
	s_mov_b32 s0, 0
	s_waitcnt vmcnt(0)
	v_xor_b32_e32 v7, v2, v3
	v_cls_i32_e32 v8, v3
	s_delay_alu instid0(VALU_DEP_2) | instskip(NEXT) | instid1(VALU_DEP_2)
	v_ashrrev_i32_e32 v7, 31, v7
	v_add_nc_u32_e32 v8, -1, v8
	s_delay_alu instid0(VALU_DEP_2) | instskip(NEXT) | instid1(VALU_DEP_1)
	v_add_nc_u32_e32 v7, 32, v7
	v_min_u32_e32 v7, v8, v7
	s_delay_alu instid0(VALU_DEP_1) | instskip(NEXT) | instid1(VALU_DEP_1)
	v_lshlrev_b64 v[2:3], v7, v[2:3]
	v_min_u32_e32 v2, 1, v2
	s_delay_alu instid0(VALU_DEP_1) | instskip(SKIP_1) | instid1(VALU_DEP_2)
	v_or_b32_e32 v2, v3, v2
	v_sub_nc_u32_e32 v3, 32, v7
	v_cvt_f32_i32_e32 v2, v2
	s_delay_alu instid0(VALU_DEP_1)
	v_ldexp_f32 v2, v2, v3
	s_branch .LBB126_1592
.LBB126_1589:
                                        ; implicit-def: $vgpr2
	s_branch .LBB126_1598
.LBB126_1590:
	s_mov_b32 s0, -1
                                        ; implicit-def: $vgpr2
	s_branch .LBB126_1595
.LBB126_1591:
	s_mov_b32 s0, -1
                                        ; implicit-def: $vgpr2
.LBB126_1592:
	s_delay_alu instid0(SALU_CYCLE_1)
	s_and_not1_b32 vcc_lo, exec_lo, s0
	s_cbranch_vccnz .LBB126_1594
; %bb.1593:
	global_load_b32 v2, v[0:1], off
	s_waitcnt vmcnt(0)
	v_cvt_f32_i32_e32 v2, v2
.LBB126_1594:
	s_mov_b32 s0, 0
.LBB126_1595:
	s_delay_alu instid0(SALU_CYCLE_1)
	s_and_not1_b32 vcc_lo, exec_lo, s0
	s_cbranch_vccnz .LBB126_1597
; %bb.1596:
	global_load_i16 v2, v[0:1], off
	s_waitcnt vmcnt(0)
	v_cvt_f32_i32_e32 v2, v2
.LBB126_1597:
	s_cbranch_execnz .LBB126_1603
.LBB126_1598:
	v_cmp_lt_i16_e32 vcc_lo, 0, v5
	s_mov_b32 s0, 0
	s_cbranch_vccz .LBB126_1600
; %bb.1599:
	global_load_i8 v2, v[0:1], off
	s_waitcnt vmcnt(0)
	v_cvt_f32_i32_e32 v2, v2
	s_branch .LBB126_1601
.LBB126_1600:
	s_mov_b32 s0, -1
                                        ; implicit-def: $vgpr2
.LBB126_1601:
	s_delay_alu instid0(SALU_CYCLE_1)
	s_and_not1_b32 vcc_lo, exec_lo, s0
	s_cbranch_vccnz .LBB126_1603
; %bb.1602:
	global_load_u8 v0, v[0:1], off
	s_waitcnt vmcnt(0)
	v_cvt_f32_ubyte0_e32 v2, v0
.LBB126_1603:
	s_branch .LBB126_1672
.LBB126_1604:
	s_trap 2
	s_sendmsg_rtn_b32 s0, sendmsg(MSG_RTN_GET_DOORBELL)
	s_mov_b32 ttmp2, m0
	s_waitcnt lgkmcnt(0)
	s_and_b32 s0, s0, 0x3ff
	s_delay_alu instid0(SALU_CYCLE_1) | instskip(NEXT) | instid1(SALU_CYCLE_1)
	s_bitset1_b32 s0, 10
	s_mov_b32 m0, s0
	s_sendmsg sendmsg(MSG_INTERRUPT)
	s_mov_b32 m0, ttmp2
.LBB126_1605:                           ; =>This Inner Loop Header: Depth=1
	s_sethalt 5
	s_branch .LBB126_1605
.LBB126_1606:
	s_mov_b32 s0, -1
	s_mov_b32 s17, 0
.LBB126_1607:
                                        ; implicit-def: $vgpr2
.LBB126_1608:
	s_and_b32 vcc_lo, exec_lo, s13
	s_cbranch_vccz .LBB126_1611
; %bb.1609:
	v_cmp_eq_u16_e32 vcc_lo, 44, v5
	s_cbranch_vccz .LBB126_1612
; %bb.1610:
	global_load_u8 v2, v[0:1], off
	s_mov_b32 s0, 0
	s_mov_b32 s17, -1
	s_waitcnt vmcnt(0)
	v_lshlrev_b32_e32 v3, 23, v2
	v_cmp_ne_u32_e32 vcc_lo, 0xff, v2
	s_delay_alu instid0(VALU_DEP_2) | instskip(SKIP_1) | instid1(VALU_DEP_2)
	v_cndmask_b32_e32 v3, 0x7f800001, v3, vcc_lo
	v_cmp_ne_u32_e32 vcc_lo, 0, v2
	v_cndmask_b32_e32 v2, 0x400000, v3, vcc_lo
.LBB126_1611:
	s_branch .LBB126_1616
.LBB126_1612:
	s_mov_b32 s0, -1
                                        ; implicit-def: $vgpr2
	s_branch .LBB126_1616
.LBB126_1613:
	v_cmp_eq_u16_e32 vcc_lo, 29, v5
	s_cbranch_vccz .LBB126_1615
; %bb.1614:
	global_load_b64 v[2:3], v[0:1], off
	s_mov_b32 s0, 0
	s_mov_b32 s17, -1
	s_mov_b32 s13, 0
	s_waitcnt vmcnt(0)
	v_clz_i32_u32_e32 v7, v3
	s_delay_alu instid0(VALU_DEP_1) | instskip(NEXT) | instid1(VALU_DEP_1)
	v_min_u32_e32 v7, 32, v7
	v_lshlrev_b64 v[2:3], v7, v[2:3]
	s_delay_alu instid0(VALU_DEP_1) | instskip(NEXT) | instid1(VALU_DEP_1)
	v_min_u32_e32 v2, 1, v2
	v_or_b32_e32 v2, v3, v2
	v_sub_nc_u32_e32 v3, 32, v7
	s_delay_alu instid0(VALU_DEP_2) | instskip(NEXT) | instid1(VALU_DEP_1)
	v_cvt_f32_u32_e32 v2, v2
	v_ldexp_f32 v2, v2, v3
	s_branch .LBB126_1617
.LBB126_1615:
	s_mov_b32 s0, -1
                                        ; implicit-def: $vgpr2
.LBB126_1616:
	s_mov_b32 s13, 0
.LBB126_1617:
	s_delay_alu instid0(SALU_CYCLE_1)
	s_and_b32 vcc_lo, exec_lo, s13
	s_cbranch_vccz .LBB126_1635
; %bb.1618:
	v_cmp_gt_i16_e32 vcc_lo, 27, v5
	s_cbranch_vccnz .LBB126_1621
; %bb.1619:
	v_cmp_lt_i16_e32 vcc_lo, 27, v5
	s_cbranch_vccz .LBB126_1622
; %bb.1620:
	global_load_b32 v2, v[0:1], off
	s_mov_b32 s13, 0
	s_waitcnt vmcnt(0)
	v_cvt_f32_u32_e32 v2, v2
	s_branch .LBB126_1623
.LBB126_1621:
	s_mov_b32 s13, -1
                                        ; implicit-def: $vgpr2
	s_branch .LBB126_1626
.LBB126_1622:
	s_mov_b32 s13, -1
                                        ; implicit-def: $vgpr2
.LBB126_1623:
	s_delay_alu instid0(SALU_CYCLE_1)
	s_and_not1_b32 vcc_lo, exec_lo, s13
	s_cbranch_vccnz .LBB126_1625
; %bb.1624:
	global_load_u16 v2, v[0:1], off
	s_waitcnt vmcnt(0)
	v_cvt_f32_u32_e32 v2, v2
.LBB126_1625:
	s_mov_b32 s13, 0
.LBB126_1626:
	s_delay_alu instid0(SALU_CYCLE_1)
	s_and_not1_b32 vcc_lo, exec_lo, s13
	s_cbranch_vccnz .LBB126_1634
; %bb.1627:
	global_load_u8 v3, v[0:1], off
	s_mov_b32 s13, 0
	s_mov_b32 s18, exec_lo
                                        ; implicit-def: $sgpr17
	s_waitcnt vmcnt(0)
	v_cmpx_lt_i16_e32 0x7f, v3
	s_xor_b32 s18, exec_lo, s18
	s_cbranch_execz .LBB126_1647
; %bb.1628:
	s_mov_b32 s13, -1
	s_mov_b32 s19, exec_lo
                                        ; implicit-def: $sgpr17
	v_cmpx_eq_u16_e32 0x80, v3
; %bb.1629:
	s_mov_b32 s17, 0x7f800001
	s_xor_b32 s13, exec_lo, -1
; %bb.1630:
	s_or_b32 exec_lo, exec_lo, s19
	s_delay_alu instid0(SALU_CYCLE_1)
	s_and_b32 s13, s13, exec_lo
	s_or_saveexec_b32 s18, s18
	v_mov_b32_e32 v2, s17
	s_xor_b32 exec_lo, exec_lo, s18
	s_cbranch_execnz .LBB126_1648
.LBB126_1631:
	s_or_b32 exec_lo, exec_lo, s18
	s_and_saveexec_b32 s17, s13
	s_cbranch_execz .LBB126_1633
.LBB126_1632:
	v_and_b32_e32 v2, 0xffff, v3
	v_lshlrev_b32_e32 v3, 24, v3
	s_delay_alu instid0(VALU_DEP_2) | instskip(NEXT) | instid1(VALU_DEP_2)
	v_and_b32_e32 v7, 7, v2
	v_and_b32_e32 v3, 0x80000000, v3
	s_delay_alu instid0(VALU_DEP_2) | instskip(NEXT) | instid1(VALU_DEP_1)
	v_clz_i32_u32_e32 v8, v7
	v_min_u32_e32 v8, 32, v8
	s_delay_alu instid0(VALU_DEP_1) | instskip(SKIP_1) | instid1(VALU_DEP_2)
	v_subrev_nc_u32_e32 v9, 28, v8
	v_sub_nc_u32_e32 v8, 29, v8
	v_lshlrev_b32_e32 v9, v9, v2
	v_bfe_u32 v2, v2, 3, 4
	s_delay_alu instid0(VALU_DEP_2) | instskip(NEXT) | instid1(VALU_DEP_2)
	v_and_b32_e32 v9, 7, v9
	v_cmp_eq_u32_e32 vcc_lo, 0, v2
	s_delay_alu instid0(VALU_DEP_2) | instskip(NEXT) | instid1(VALU_DEP_1)
	v_dual_cndmask_b32 v2, v2, v8 :: v_dual_cndmask_b32 v7, v7, v9
	v_lshl_add_u32 v2, v2, 23, 0x3b800000
	s_delay_alu instid0(VALU_DEP_2) | instskip(NEXT) | instid1(VALU_DEP_1)
	v_lshlrev_b32_e32 v7, 20, v7
	v_or3_b32 v2, v3, v2, v7
.LBB126_1633:
	s_or_b32 exec_lo, exec_lo, s17
.LBB126_1634:
	s_mov_b32 s17, -1
.LBB126_1635:
	s_branch .LBB126_1667
.LBB126_1636:
	v_cmp_lt_i16_e32 vcc_lo, 22, v5
	s_cbranch_vccz .LBB126_1646
; %bb.1637:
	v_cmp_gt_i16_e32 vcc_lo, 24, v5
	s_cbranch_vccnz .LBB126_1649
; %bb.1638:
	v_cmp_lt_i16_e32 vcc_lo, 24, v5
	s_cbranch_vccz .LBB126_1650
; %bb.1639:
	global_load_u8 v3, v[0:1], off
	s_mov_b32 s13, 0
	s_mov_b32 s17, exec_lo
                                        ; implicit-def: $sgpr14
	s_waitcnt vmcnt(0)
	v_cmpx_lt_i16_e32 0x7f, v3
	s_xor_b32 s17, exec_lo, s17
	s_cbranch_execz .LBB126_1661
; %bb.1640:
	s_mov_b32 s13, -1
	s_mov_b32 s18, exec_lo
                                        ; implicit-def: $sgpr14
	v_cmpx_eq_u16_e32 0x80, v3
; %bb.1641:
	s_mov_b32 s14, 0x7f800001
	s_xor_b32 s13, exec_lo, -1
; %bb.1642:
	s_or_b32 exec_lo, exec_lo, s18
	s_delay_alu instid0(SALU_CYCLE_1)
	s_and_b32 s13, s13, exec_lo
	s_or_saveexec_b32 s17, s17
	v_mov_b32_e32 v2, s14
	s_xor_b32 exec_lo, exec_lo, s17
	s_cbranch_execnz .LBB126_1662
.LBB126_1643:
	s_or_b32 exec_lo, exec_lo, s17
	s_and_saveexec_b32 s14, s13
	s_cbranch_execz .LBB126_1645
.LBB126_1644:
	v_and_b32_e32 v2, 0xffff, v3
	v_lshlrev_b32_e32 v3, 24, v3
	s_delay_alu instid0(VALU_DEP_2) | instskip(NEXT) | instid1(VALU_DEP_2)
	v_and_b32_e32 v7, 3, v2
	v_and_b32_e32 v3, 0x80000000, v3
	s_delay_alu instid0(VALU_DEP_2) | instskip(NEXT) | instid1(VALU_DEP_1)
	v_clz_i32_u32_e32 v8, v7
	v_min_u32_e32 v8, 32, v8
	s_delay_alu instid0(VALU_DEP_1) | instskip(SKIP_1) | instid1(VALU_DEP_2)
	v_subrev_nc_u32_e32 v9, 29, v8
	v_sub_nc_u32_e32 v8, 30, v8
	v_lshlrev_b32_e32 v9, v9, v2
	v_bfe_u32 v2, v2, 2, 5
	s_delay_alu instid0(VALU_DEP_2) | instskip(NEXT) | instid1(VALU_DEP_2)
	v_and_b32_e32 v9, 3, v9
	v_cmp_eq_u32_e32 vcc_lo, 0, v2
	s_delay_alu instid0(VALU_DEP_2) | instskip(NEXT) | instid1(VALU_DEP_1)
	v_dual_cndmask_b32 v2, v2, v8 :: v_dual_cndmask_b32 v7, v7, v9
	v_lshl_add_u32 v2, v2, 23, 0x37800000
	s_delay_alu instid0(VALU_DEP_2) | instskip(NEXT) | instid1(VALU_DEP_1)
	v_lshlrev_b32_e32 v7, 21, v7
	v_or3_b32 v2, v3, v2, v7
.LBB126_1645:
	s_or_b32 exec_lo, exec_lo, s14
	s_mov_b32 s13, 0
	s_branch .LBB126_1651
.LBB126_1646:
                                        ; implicit-def: $vgpr2
	s_mov_b32 s14, 0
	s_branch .LBB126_1657
.LBB126_1647:
	s_or_saveexec_b32 s18, s18
	v_mov_b32_e32 v2, s17
	s_xor_b32 exec_lo, exec_lo, s18
	s_cbranch_execz .LBB126_1631
.LBB126_1648:
	v_cmp_ne_u16_e32 vcc_lo, 0, v3
	v_mov_b32_e32 v2, 0
	s_and_not1_b32 s13, s13, exec_lo
	s_and_b32 s17, vcc_lo, exec_lo
	s_delay_alu instid0(SALU_CYCLE_1)
	s_or_b32 s13, s13, s17
	s_or_b32 exec_lo, exec_lo, s18
	s_and_saveexec_b32 s17, s13
	s_cbranch_execnz .LBB126_1632
	s_branch .LBB126_1633
.LBB126_1649:
	s_mov_b32 s13, -1
                                        ; implicit-def: $vgpr2
	s_branch .LBB126_1654
.LBB126_1650:
	s_mov_b32 s13, -1
                                        ; implicit-def: $vgpr2
.LBB126_1651:
	s_delay_alu instid0(SALU_CYCLE_1)
	s_and_b32 vcc_lo, exec_lo, s13
	s_cbranch_vccz .LBB126_1653
; %bb.1652:
	global_load_u8 v2, v[0:1], off
	s_waitcnt vmcnt(0)
	v_lshlrev_b32_e32 v2, 24, v2
	s_delay_alu instid0(VALU_DEP_1) | instskip(NEXT) | instid1(VALU_DEP_1)
	v_and_b32_e32 v3, 0x7f000000, v2
	v_clz_i32_u32_e32 v7, v3
	v_add_nc_u32_e32 v9, 0x1000000, v3
	v_cmp_ne_u32_e32 vcc_lo, 0, v3
	s_delay_alu instid0(VALU_DEP_3) | instskip(NEXT) | instid1(VALU_DEP_1)
	v_min_u32_e32 v7, 32, v7
	v_sub_nc_u32_e64 v7, v7, 4 clamp
	s_delay_alu instid0(VALU_DEP_1) | instskip(SKIP_1) | instid1(VALU_DEP_2)
	v_lshlrev_b32_e32 v8, v7, v3
	v_lshlrev_b32_e32 v7, 23, v7
	v_lshrrev_b32_e32 v8, 4, v8
	s_delay_alu instid0(VALU_DEP_1) | instskip(SKIP_1) | instid1(VALU_DEP_2)
	v_sub_nc_u32_e32 v7, v8, v7
	v_ashrrev_i32_e32 v8, 8, v9
	v_add_nc_u32_e32 v7, 0x3c000000, v7
	s_delay_alu instid0(VALU_DEP_1) | instskip(NEXT) | instid1(VALU_DEP_1)
	v_and_or_b32 v7, 0x7f800000, v8, v7
	v_cndmask_b32_e32 v3, 0, v7, vcc_lo
	s_delay_alu instid0(VALU_DEP_1)
	v_and_or_b32 v2, 0x80000000, v2, v3
.LBB126_1653:
	s_mov_b32 s13, 0
.LBB126_1654:
	s_delay_alu instid0(SALU_CYCLE_1)
	s_and_not1_b32 vcc_lo, exec_lo, s13
	s_cbranch_vccnz .LBB126_1656
; %bb.1655:
	global_load_u8 v2, v[0:1], off
	s_waitcnt vmcnt(0)
	v_lshlrev_b32_e32 v3, 25, v2
	v_lshlrev_b16 v2, 8, v2
	s_delay_alu instid0(VALU_DEP_1) | instskip(SKIP_1) | instid1(VALU_DEP_2)
	v_and_or_b32 v8, 0x7f00, v2, 0.5
	v_bfe_i32 v2, v2, 0, 16
	v_add_f32_e32 v8, -0.5, v8
	v_lshrrev_b32_e32 v7, 4, v3
	v_cmp_gt_u32_e32 vcc_lo, 0x8000000, v3
	s_delay_alu instid0(VALU_DEP_2) | instskip(NEXT) | instid1(VALU_DEP_1)
	v_or_b32_e32 v7, 0x70000000, v7
	v_mul_f32_e32 v7, 0x7800000, v7
	s_delay_alu instid0(VALU_DEP_1) | instskip(NEXT) | instid1(VALU_DEP_1)
	v_cndmask_b32_e32 v3, v7, v8, vcc_lo
	v_and_or_b32 v2, 0x80000000, v2, v3
.LBB126_1656:
	s_mov_b32 s17, -1
	s_mov_b32 s14, 0
	s_cbranch_execnz .LBB126_1667
.LBB126_1657:
	v_cmp_lt_i16_e32 vcc_lo, 14, v5
	s_cbranch_vccz .LBB126_1660
; %bb.1658:
	v_cmp_eq_u16_e32 vcc_lo, 15, v5
	s_cbranch_vccz .LBB126_1663
; %bb.1659:
	global_load_u16 v2, v[0:1], off
	s_mov_b32 s0, 0
	s_mov_b32 s17, -1
	s_waitcnt vmcnt(0)
	v_lshlrev_b32_e32 v2, 16, v2
	s_branch .LBB126_1664
.LBB126_1660:
	s_mov_b32 s13, -1
                                        ; implicit-def: $vgpr2
	s_branch .LBB126_1665
.LBB126_1661:
	s_or_saveexec_b32 s17, s17
	v_mov_b32_e32 v2, s14
	s_xor_b32 exec_lo, exec_lo, s17
	s_cbranch_execz .LBB126_1643
.LBB126_1662:
	v_cmp_ne_u16_e32 vcc_lo, 0, v3
	v_mov_b32_e32 v2, 0
	s_and_not1_b32 s13, s13, exec_lo
	s_and_b32 s14, vcc_lo, exec_lo
	s_delay_alu instid0(SALU_CYCLE_1)
	s_or_b32 s13, s13, s14
	s_or_b32 exec_lo, exec_lo, s17
	s_and_saveexec_b32 s14, s13
	s_cbranch_execnz .LBB126_1644
	s_branch .LBB126_1645
.LBB126_1663:
	s_mov_b32 s0, -1
                                        ; implicit-def: $vgpr2
.LBB126_1664:
	s_mov_b32 s13, 0
.LBB126_1665:
	s_delay_alu instid0(SALU_CYCLE_1)
	s_and_b32 vcc_lo, exec_lo, s13
	s_cbranch_vccz .LBB126_1667
; %bb.1666:
	v_cmp_ne_u16_e64 s0, 11, v5
	s_mov_b32 s14, -1
                                        ; implicit-def: $vgpr2
.LBB126_1667:
	s_delay_alu instid0(VALU_DEP_1)
	s_and_b32 vcc_lo, exec_lo, s0
	s_mov_b32 s13, s16
	s_cbranch_vccnz .LBB126_1691
; %bb.1668:
	s_and_not1_b32 vcc_lo, exec_lo, s14
	s_cbranch_vccnz .LBB126_1670
.LBB126_1669:
	global_load_u8 v2, v[0:1], off
	s_mov_b32 s17, -1
	s_waitcnt vmcnt(0)
	v_cmp_ne_u16_e32 vcc_lo, 0, v2
	v_cndmask_b32_e64 v2, 0, 1.0, vcc_lo
.LBB126_1670:
.LBB126_1671:
	s_and_not1_b32 vcc_lo, exec_lo, s17
	s_cbranch_vccnz .LBB126_3037
.LBB126_1672:
	v_mul_lo_u32 v7, s10, v4
	s_waitcnt vmcnt(0)
	v_and_b32_e64 v3, 0xff, s1
	s_delay_alu instid0(VALU_DEP_1) | instskip(NEXT) | instid1(VALU_DEP_3)
	v_cmp_gt_i16_e32 vcc_lo, 11, v3
	v_ashrrev_i32_e32 v1, 31, v7
	v_add_co_u32 v0, s0, s2, v7
	s_delay_alu instid0(VALU_DEP_1)
	v_add_co_ci_u32_e64 v1, s0, s3, v1, s0
	s_cbranch_vccnz .LBB126_1679
; %bb.1673:
	v_cmp_lt_i16_e32 vcc_lo, 25, v3
	s_mov_b32 s0, 0
	s_cbranch_vccz .LBB126_1685
; %bb.1674:
	v_cmp_lt_i16_e32 vcc_lo, 28, v3
	s_cbranch_vccz .LBB126_1687
; %bb.1675:
	v_cmp_lt_i16_e32 vcc_lo, 43, v3
	;; [unrolled: 3-line block ×3, first 2 shown]
	s_cbranch_vccz .LBB126_1693
; %bb.1677:
	v_cmp_eq_u16_e32 vcc_lo, 46, v3
	s_mov_b32 s18, 0
	s_cbranch_vccz .LBB126_1737
; %bb.1678:
	global_load_b32 v8, v[0:1], off
	s_mov_b32 s14, 0
	s_mov_b32 s17, -1
	s_waitcnt vmcnt(0)
	v_and_b32_e32 v8, 0x7fff7fff, v8
	s_delay_alu instid0(VALU_DEP_1)
	v_cmp_ne_u32_e32 vcc_lo, 0, v8
	s_and_b32 s1, vcc_lo, exec_lo
	s_branch .LBB126_1739
.LBB126_1679:
	s_mov_b32 s17, 0
                                        ; implicit-def: $sgpr1
	s_cbranch_execz .LBB126_1802
; %bb.1680:
	v_cmp_gt_i16_e32 vcc_lo, 5, v3
	s_cbranch_vccnz .LBB126_1686
; %bb.1681:
	v_cmp_gt_i16_e32 vcc_lo, 8, v3
	s_cbranch_vccnz .LBB126_1688
	;; [unrolled: 3-line block ×3, first 2 shown]
; %bb.1683:
	v_cmp_lt_i16_e32 vcc_lo, 9, v3
	s_cbranch_vccz .LBB126_1696
; %bb.1684:
	global_load_b128 v[8:11], v[0:1], off
	s_waitcnt vmcnt(0)
	v_cmp_neq_f64_e32 vcc_lo, 0, v[8:9]
	v_cmp_neq_f64_e64 s0, 0, v[10:11]
	s_delay_alu instid0(VALU_DEP_1)
	s_or_b32 s1, vcc_lo, s0
	s_mov_b32 s0, 0
	s_and_b32 s1, s1, exec_lo
	s_branch .LBB126_1697
.LBB126_1685:
	s_mov_b32 s17, 0
	s_mov_b32 s14, 0
                                        ; implicit-def: $sgpr1
	s_cbranch_execnz .LBB126_1766
	s_branch .LBB126_1798
.LBB126_1686:
                                        ; implicit-def: $sgpr1
	s_branch .LBB126_1715
.LBB126_1687:
	s_mov_b32 s18, -1
	s_mov_b32 s17, 0
	s_mov_b32 s14, 0
                                        ; implicit-def: $sgpr1
	s_branch .LBB126_1747
.LBB126_1688:
	s_mov_b32 s0, -1
                                        ; implicit-def: $sgpr1
	s_branch .LBB126_1703
.LBB126_1689:
	s_mov_b32 s18, -1
	s_mov_b32 s17, 0
	s_mov_b32 s14, 0
                                        ; implicit-def: $sgpr1
	s_branch .LBB126_1742
.LBB126_1690:
	s_mov_b32 s0, -1
                                        ; implicit-def: $sgpr1
	s_branch .LBB126_1700
.LBB126_1691:
	s_cbranch_execnz .LBB126_1735
; %bb.1692:
	s_or_b32 s13, s16, exec_lo
                                        ; implicit-def: $vgpr2
	s_cbranch_execz .LBB126_1669
	s_branch .LBB126_1670
.LBB126_1693:
	s_mov_b32 s18, -1
	s_mov_b32 s17, 0
	s_mov_b32 s14, 0
	s_branch .LBB126_1738
.LBB126_1694:
	s_or_saveexec_b32 s21, s21
                                        ; implicit-def: $sgpr22
	s_delay_alu instid0(SALU_CYCLE_1)
	s_xor_b32 exec_lo, exec_lo, s21
	s_cbranch_execz .LBB126_1455
.LBB126_1695:
	v_add_f32_e64 v3, 0x46000000, |v2|
	s_and_not1_b32 s20, s20, exec_lo
	s_mov_b32 s22, 0
	s_delay_alu instid0(VALU_DEP_1) | instskip(NEXT) | instid1(VALU_DEP_1)
	v_and_b32_e32 v3, 0xff, v3
	v_cmp_ne_u32_e32 vcc_lo, 0, v3
	s_and_b32 s23, vcc_lo, exec_lo
	s_delay_alu instid0(SALU_CYCLE_1)
	s_or_b32 s20, s20, s23
	s_or_b32 exec_lo, exec_lo, s21
	v_mov_b32_e32 v4, s22
	s_and_saveexec_b32 s21, s20
	s_cbranch_execnz .LBB126_1456
	s_branch .LBB126_1457
.LBB126_1696:
	s_mov_b32 s0, -1
                                        ; implicit-def: $sgpr1
.LBB126_1697:
	s_delay_alu instid0(SALU_CYCLE_1)
	s_and_not1_b32 vcc_lo, exec_lo, s0
	s_cbranch_vccnz .LBB126_1699
; %bb.1698:
	global_load_b64 v[8:9], v[0:1], off
	s_and_not1_b32 s0, s1, exec_lo
	s_waitcnt vmcnt(0)
	v_or_b32_e32 v8, v8, v9
	s_delay_alu instid0(VALU_DEP_1) | instskip(NEXT) | instid1(VALU_DEP_1)
	v_and_b32_e32 v8, 0x7fffffff, v8
	v_cmp_ne_u32_e32 vcc_lo, 0, v8
	s_and_b32 s1, vcc_lo, exec_lo
	s_delay_alu instid0(SALU_CYCLE_1)
	s_or_b32 s1, s0, s1
.LBB126_1699:
	s_mov_b32 s0, 0
.LBB126_1700:
	s_delay_alu instid0(SALU_CYCLE_1)
	s_and_not1_b32 vcc_lo, exec_lo, s0
	s_cbranch_vccnz .LBB126_1702
; %bb.1701:
	global_load_b32 v8, v[0:1], off
	s_and_not1_b32 s0, s1, exec_lo
	s_waitcnt vmcnt(0)
	v_and_b32_e32 v8, 0x7fff7fff, v8
	s_delay_alu instid0(VALU_DEP_1) | instskip(SKIP_1) | instid1(SALU_CYCLE_1)
	v_cmp_ne_u32_e32 vcc_lo, 0, v8
	s_and_b32 s1, vcc_lo, exec_lo
	s_or_b32 s1, s0, s1
.LBB126_1702:
	s_mov_b32 s0, 0
.LBB126_1703:
	s_delay_alu instid0(SALU_CYCLE_1)
	s_and_not1_b32 vcc_lo, exec_lo, s0
	s_cbranch_vccnz .LBB126_1714
; %bb.1704:
	v_cmp_gt_i16_e32 vcc_lo, 6, v3
	s_cbranch_vccnz .LBB126_1707
; %bb.1705:
	v_cmp_lt_i16_e32 vcc_lo, 6, v3
	s_cbranch_vccz .LBB126_1708
; %bb.1706:
	global_load_b64 v[8:9], v[0:1], off
	s_mov_b32 s0, 0
	s_waitcnt vmcnt(0)
	v_cmp_neq_f64_e32 vcc_lo, 0, v[8:9]
	s_and_b32 s1, vcc_lo, exec_lo
	s_branch .LBB126_1709
.LBB126_1707:
	s_mov_b32 s0, -1
                                        ; implicit-def: $sgpr1
	s_branch .LBB126_1712
.LBB126_1708:
	s_mov_b32 s0, -1
                                        ; implicit-def: $sgpr1
.LBB126_1709:
	s_delay_alu instid0(SALU_CYCLE_1)
	s_and_not1_b32 vcc_lo, exec_lo, s0
	s_cbranch_vccnz .LBB126_1711
; %bb.1710:
	global_load_b32 v8, v[0:1], off
	s_and_not1_b32 s0, s1, exec_lo
	s_waitcnt vmcnt(0)
	v_cmp_neq_f32_e32 vcc_lo, 0, v8
	s_and_b32 s1, vcc_lo, exec_lo
	s_delay_alu instid0(SALU_CYCLE_1)
	s_or_b32 s1, s0, s1
.LBB126_1711:
	s_mov_b32 s0, 0
.LBB126_1712:
	s_delay_alu instid0(SALU_CYCLE_1)
	s_and_not1_b32 vcc_lo, exec_lo, s0
	s_cbranch_vccnz .LBB126_1714
; %bb.1713:
	global_load_u16 v8, v[0:1], off
	s_and_not1_b32 s0, s1, exec_lo
	s_waitcnt vmcnt(0)
	v_and_b32_e32 v8, 0x7fff, v8
	s_delay_alu instid0(VALU_DEP_1) | instskip(SKIP_1) | instid1(SALU_CYCLE_1)
	v_cmp_ne_u16_e32 vcc_lo, 0, v8
	s_and_b32 s1, vcc_lo, exec_lo
	s_or_b32 s1, s0, s1
.LBB126_1714:
	s_cbranch_execnz .LBB126_1734
.LBB126_1715:
	v_cmp_gt_i16_e32 vcc_lo, 2, v3
	s_cbranch_vccnz .LBB126_1719
; %bb.1716:
	v_cmp_gt_i16_e32 vcc_lo, 3, v3
	s_cbranch_vccnz .LBB126_1720
; %bb.1717:
	v_cmp_lt_i16_e32 vcc_lo, 3, v3
	s_cbranch_vccz .LBB126_1721
; %bb.1718:
	global_load_b64 v[8:9], v[0:1], off
	s_mov_b32 s0, 0
	s_waitcnt vmcnt(0)
	v_cmp_ne_u64_e32 vcc_lo, 0, v[8:9]
	s_and_b32 s1, vcc_lo, exec_lo
	s_branch .LBB126_1722
.LBB126_1719:
	s_mov_b32 s0, -1
                                        ; implicit-def: $sgpr1
	s_branch .LBB126_1728
.LBB126_1720:
	s_mov_b32 s0, -1
                                        ; implicit-def: $sgpr1
	s_branch .LBB126_1725
.LBB126_1721:
	s_mov_b32 s0, -1
                                        ; implicit-def: $sgpr1
.LBB126_1722:
	s_delay_alu instid0(SALU_CYCLE_1)
	s_and_not1_b32 vcc_lo, exec_lo, s0
	s_cbranch_vccnz .LBB126_1724
; %bb.1723:
	global_load_b32 v8, v[0:1], off
	s_and_not1_b32 s0, s1, exec_lo
	s_waitcnt vmcnt(0)
	v_cmp_ne_u32_e32 vcc_lo, 0, v8
	s_and_b32 s1, vcc_lo, exec_lo
	s_delay_alu instid0(SALU_CYCLE_1)
	s_or_b32 s1, s0, s1
.LBB126_1724:
	s_mov_b32 s0, 0
.LBB126_1725:
	s_delay_alu instid0(SALU_CYCLE_1)
	s_and_not1_b32 vcc_lo, exec_lo, s0
	s_cbranch_vccnz .LBB126_1727
; %bb.1726:
	global_load_u16 v8, v[0:1], off
	s_and_not1_b32 s0, s1, exec_lo
	s_waitcnt vmcnt(0)
	v_cmp_ne_u16_e32 vcc_lo, 0, v8
	s_and_b32 s1, vcc_lo, exec_lo
	s_delay_alu instid0(SALU_CYCLE_1)
	s_or_b32 s1, s0, s1
.LBB126_1727:
	s_mov_b32 s0, 0
.LBB126_1728:
	s_delay_alu instid0(SALU_CYCLE_1)
	s_and_not1_b32 vcc_lo, exec_lo, s0
	s_cbranch_vccnz .LBB126_1734
; %bb.1729:
	v_cmp_lt_i16_e32 vcc_lo, 0, v3
	s_mov_b32 s0, 0
	s_cbranch_vccz .LBB126_1731
; %bb.1730:
	global_load_u8 v8, v[0:1], off
	s_waitcnt vmcnt(0)
	v_cmp_ne_u16_e32 vcc_lo, 0, v8
	s_and_b32 s1, vcc_lo, exec_lo
	s_branch .LBB126_1732
.LBB126_1731:
	s_mov_b32 s0, -1
                                        ; implicit-def: $sgpr1
.LBB126_1732:
	s_delay_alu instid0(SALU_CYCLE_1)
	s_and_not1_b32 vcc_lo, exec_lo, s0
	s_cbranch_vccnz .LBB126_1734
; %bb.1733:
	global_load_u8 v0, v[0:1], off
	s_and_not1_b32 s0, s1, exec_lo
	s_waitcnt vmcnt(0)
	v_cmp_ne_u16_e32 vcc_lo, 0, v0
	s_and_b32 s1, vcc_lo, exec_lo
	s_delay_alu instid0(SALU_CYCLE_1)
	s_or_b32 s1, s0, s1
.LBB126_1734:
	s_branch .LBB126_1803
.LBB126_1735:
	s_trap 2
	s_sendmsg_rtn_b32 s0, sendmsg(MSG_RTN_GET_DOORBELL)
	s_mov_b32 ttmp2, m0
	s_waitcnt lgkmcnt(0)
	s_and_b32 s0, s0, 0x3ff
	s_delay_alu instid0(SALU_CYCLE_1) | instskip(NEXT) | instid1(SALU_CYCLE_1)
	s_bitset1_b32 s0, 10
	s_mov_b32 m0, s0
	s_sendmsg sendmsg(MSG_INTERRUPT)
	s_mov_b32 m0, ttmp2
.LBB126_1736:                           ; =>This Inner Loop Header: Depth=1
	s_sethalt 5
	s_branch .LBB126_1736
.LBB126_1737:
	s_mov_b32 s14, -1
	s_mov_b32 s17, 0
.LBB126_1738:
                                        ; implicit-def: $sgpr1
.LBB126_1739:
	s_and_b32 vcc_lo, exec_lo, s18
	s_cbranch_vccz .LBB126_1741
; %bb.1740:
	v_cmp_ne_u16_e64 s14, 44, v3
	s_mov_b32 s17, -1
	s_or_b32 s1, s1, exec_lo
.LBB126_1741:
	s_mov_b32 s18, 0
.LBB126_1742:
	s_delay_alu instid0(SALU_CYCLE_1)
	s_and_b32 vcc_lo, exec_lo, s18
	s_cbranch_vccz .LBB126_1746
; %bb.1743:
	v_cmp_eq_u16_e32 vcc_lo, 29, v3
	s_cbranch_vccz .LBB126_1745
; %bb.1744:
	global_load_b64 v[8:9], v[0:1], off
	s_mov_b32 s14, 0
	s_mov_b32 s17, -1
	s_mov_b32 s18, 0
	s_waitcnt vmcnt(0)
	v_cmp_ne_u64_e32 vcc_lo, 0, v[8:9]
	s_and_b32 s1, vcc_lo, exec_lo
	s_branch .LBB126_1747
.LBB126_1745:
	s_mov_b32 s14, -1
                                        ; implicit-def: $sgpr1
.LBB126_1746:
	s_mov_b32 s18, 0
.LBB126_1747:
	s_delay_alu instid0(SALU_CYCLE_1)
	s_and_b32 vcc_lo, exec_lo, s18
	s_cbranch_vccz .LBB126_1765
; %bb.1748:
	v_cmp_gt_i16_e32 vcc_lo, 27, v3
	s_cbranch_vccnz .LBB126_1751
; %bb.1749:
	v_cmp_lt_i16_e32 vcc_lo, 27, v3
	s_cbranch_vccz .LBB126_1752
; %bb.1750:
	global_load_b32 v8, v[0:1], off
	s_mov_b32 s17, 0
	s_waitcnt vmcnt(0)
	v_cmp_ne_u32_e32 vcc_lo, 0, v8
	s_and_b32 s1, vcc_lo, exec_lo
	s_branch .LBB126_1753
.LBB126_1751:
	s_mov_b32 s17, -1
                                        ; implicit-def: $sgpr1
	s_branch .LBB126_1756
.LBB126_1752:
	s_mov_b32 s17, -1
                                        ; implicit-def: $sgpr1
.LBB126_1753:
	s_delay_alu instid0(SALU_CYCLE_1)
	s_and_not1_b32 vcc_lo, exec_lo, s17
	s_cbranch_vccnz .LBB126_1755
; %bb.1754:
	global_load_u16 v8, v[0:1], off
	s_and_not1_b32 s1, s1, exec_lo
	s_waitcnt vmcnt(0)
	v_cmp_ne_u16_e32 vcc_lo, 0, v8
	s_and_b32 s17, vcc_lo, exec_lo
	s_delay_alu instid0(SALU_CYCLE_1)
	s_or_b32 s1, s1, s17
.LBB126_1755:
	s_mov_b32 s17, 0
.LBB126_1756:
	s_delay_alu instid0(SALU_CYCLE_1)
	s_and_not1_b32 vcc_lo, exec_lo, s17
	s_cbranch_vccnz .LBB126_1764
; %bb.1757:
	global_load_u8 v8, v[0:1], off
	s_mov_b32 s17, 0
	s_mov_b32 s18, exec_lo
                                        ; implicit-def: $sgpr1
	s_waitcnt vmcnt(0)
	v_cmpx_lt_i16_e32 0x7f, v8
	s_xor_b32 s18, exec_lo, s18
	s_cbranch_execz .LBB126_1777
; %bb.1758:
	s_mov_b32 s17, -1
	s_mov_b32 s19, exec_lo
                                        ; implicit-def: $sgpr1
	v_cmpx_eq_u16_e32 0x80, v8
; %bb.1759:
	s_mov_b32 s1, -1
	s_xor_b32 s17, exec_lo, -1
; %bb.1760:
	s_or_b32 exec_lo, exec_lo, s19
	s_delay_alu instid0(SALU_CYCLE_1)
	s_and_b32 s17, s17, exec_lo
	s_and_not1_saveexec_b32 s18, s18
	s_cbranch_execnz .LBB126_1778
.LBB126_1761:
	s_or_b32 exec_lo, exec_lo, s18
	s_and_saveexec_b32 s18, s17
	s_cbranch_execz .LBB126_1763
.LBB126_1762:
	v_and_b32_e32 v8, 0xffff, v8
	s_and_not1_b32 s1, s1, exec_lo
	s_delay_alu instid0(VALU_DEP_1) | instskip(NEXT) | instid1(VALU_DEP_1)
	v_and_b32_e32 v9, 7, v8
	v_clz_i32_u32_e32 v10, v9
	s_delay_alu instid0(VALU_DEP_1) | instskip(NEXT) | instid1(VALU_DEP_1)
	v_min_u32_e32 v10, 32, v10
	v_subrev_nc_u32_e32 v11, 28, v10
	v_sub_nc_u32_e32 v10, 29, v10
	s_delay_alu instid0(VALU_DEP_2) | instskip(SKIP_1) | instid1(VALU_DEP_2)
	v_lshlrev_b32_e32 v11, v11, v8
	v_bfe_u32 v8, v8, 3, 4
	v_and_b32_e32 v11, 7, v11
	s_delay_alu instid0(VALU_DEP_2) | instskip(NEXT) | instid1(VALU_DEP_2)
	v_cmp_eq_u32_e32 vcc_lo, 0, v8
	v_dual_cndmask_b32 v8, v8, v10 :: v_dual_cndmask_b32 v9, v9, v11
	s_delay_alu instid0(VALU_DEP_1) | instskip(NEXT) | instid1(VALU_DEP_2)
	v_lshl_add_u32 v8, v8, 23, 0x3b800000
	v_lshlrev_b32_e32 v9, 20, v9
	s_delay_alu instid0(VALU_DEP_1) | instskip(NEXT) | instid1(VALU_DEP_1)
	v_and_or_b32 v8, 0x7f800000, v8, v9
	v_cmp_ne_u32_e32 vcc_lo, 0, v8
	s_and_b32 s17, vcc_lo, exec_lo
	s_delay_alu instid0(SALU_CYCLE_1)
	s_or_b32 s1, s1, s17
.LBB126_1763:
	s_or_b32 exec_lo, exec_lo, s18
.LBB126_1764:
	s_mov_b32 s17, -1
.LBB126_1765:
	s_branch .LBB126_1798
.LBB126_1766:
	v_cmp_lt_i16_e32 vcc_lo, 22, v3
	s_cbranch_vccz .LBB126_1776
; %bb.1767:
	v_cmp_gt_i16_e32 vcc_lo, 24, v3
	s_cbranch_vccnz .LBB126_1779
; %bb.1768:
	v_cmp_lt_i16_e32 vcc_lo, 24, v3
	s_cbranch_vccz .LBB126_1780
; %bb.1769:
	global_load_u8 v8, v[0:1], off
	s_mov_b32 s17, exec_lo
                                        ; implicit-def: $sgpr1
	s_waitcnt vmcnt(0)
	v_cmpx_lt_i16_e32 0x7f, v8
	s_xor_b32 s17, exec_lo, s17
	s_cbranch_execz .LBB126_1792
; %bb.1770:
	s_mov_b32 s0, -1
	s_mov_b32 s18, exec_lo
                                        ; implicit-def: $sgpr1
	v_cmpx_eq_u16_e32 0x80, v8
; %bb.1771:
	s_mov_b32 s1, -1
	s_xor_b32 s0, exec_lo, -1
; %bb.1772:
	s_or_b32 exec_lo, exec_lo, s18
	s_delay_alu instid0(SALU_CYCLE_1)
	s_and_b32 s0, s0, exec_lo
	s_and_not1_saveexec_b32 s17, s17
	s_cbranch_execnz .LBB126_1793
.LBB126_1773:
	s_or_b32 exec_lo, exec_lo, s17
	s_and_saveexec_b32 s17, s0
	s_cbranch_execz .LBB126_1775
.LBB126_1774:
	v_and_b32_e32 v8, 0xffff, v8
	s_and_not1_b32 s0, s1, exec_lo
	s_delay_alu instid0(VALU_DEP_1) | instskip(NEXT) | instid1(VALU_DEP_1)
	v_and_b32_e32 v9, 3, v8
	v_clz_i32_u32_e32 v10, v9
	s_delay_alu instid0(VALU_DEP_1) | instskip(NEXT) | instid1(VALU_DEP_1)
	v_min_u32_e32 v10, 32, v10
	v_subrev_nc_u32_e32 v11, 29, v10
	v_sub_nc_u32_e32 v10, 30, v10
	s_delay_alu instid0(VALU_DEP_2) | instskip(SKIP_1) | instid1(VALU_DEP_2)
	v_lshlrev_b32_e32 v11, v11, v8
	v_bfe_u32 v8, v8, 2, 5
	v_and_b32_e32 v11, 3, v11
	s_delay_alu instid0(VALU_DEP_2) | instskip(NEXT) | instid1(VALU_DEP_2)
	v_cmp_eq_u32_e32 vcc_lo, 0, v8
	v_dual_cndmask_b32 v8, v8, v10 :: v_dual_cndmask_b32 v9, v9, v11
	s_delay_alu instid0(VALU_DEP_1) | instskip(NEXT) | instid1(VALU_DEP_2)
	v_lshl_add_u32 v8, v8, 23, 0x37800000
	v_lshlrev_b32_e32 v9, 21, v9
	s_delay_alu instid0(VALU_DEP_1) | instskip(NEXT) | instid1(VALU_DEP_1)
	v_and_or_b32 v8, 0x7f800000, v8, v9
	v_cmp_ne_u32_e32 vcc_lo, 0, v8
	s_and_b32 s1, vcc_lo, exec_lo
	s_delay_alu instid0(SALU_CYCLE_1)
	s_or_b32 s1, s0, s1
.LBB126_1775:
	s_or_b32 exec_lo, exec_lo, s17
	s_mov_b32 s0, 0
	s_branch .LBB126_1781
.LBB126_1776:
	s_mov_b32 s0, -1
                                        ; implicit-def: $sgpr1
	s_branch .LBB126_1787
.LBB126_1777:
	s_and_not1_saveexec_b32 s18, s18
	s_cbranch_execz .LBB126_1761
.LBB126_1778:
	v_cmp_ne_u16_e32 vcc_lo, 0, v8
	s_and_not1_b32 s17, s17, exec_lo
	s_and_not1_b32 s1, s1, exec_lo
	s_and_b32 s19, vcc_lo, exec_lo
	s_delay_alu instid0(SALU_CYCLE_1)
	s_or_b32 s17, s17, s19
	s_or_b32 exec_lo, exec_lo, s18
	s_and_saveexec_b32 s18, s17
	s_cbranch_execnz .LBB126_1762
	s_branch .LBB126_1763
.LBB126_1779:
	s_mov_b32 s0, -1
                                        ; implicit-def: $sgpr1
	s_branch .LBB126_1784
.LBB126_1780:
	s_mov_b32 s0, -1
                                        ; implicit-def: $sgpr1
.LBB126_1781:
	s_delay_alu instid0(SALU_CYCLE_1)
	s_and_b32 vcc_lo, exec_lo, s0
	s_cbranch_vccz .LBB126_1783
; %bb.1782:
	global_load_u8 v8, v[0:1], off
	s_and_not1_b32 s1, s1, exec_lo
	s_waitcnt vmcnt(0)
	v_lshlrev_b32_e32 v8, 24, v8
	s_delay_alu instid0(VALU_DEP_1) | instskip(NEXT) | instid1(VALU_DEP_1)
	v_and_b32_e32 v8, 0x7f000000, v8
	v_clz_i32_u32_e32 v9, v8
	v_add_nc_u32_e32 v11, 0x1000000, v8
	v_cmp_ne_u32_e32 vcc_lo, 0, v8
	s_delay_alu instid0(VALU_DEP_3) | instskip(NEXT) | instid1(VALU_DEP_3)
	v_min_u32_e32 v9, 32, v9
	v_ashrrev_i32_e32 v11, 8, v11
	s_delay_alu instid0(VALU_DEP_2) | instskip(NEXT) | instid1(VALU_DEP_1)
	v_sub_nc_u32_e64 v9, v9, 4 clamp
	v_lshlrev_b32_e32 v10, v9, v8
	v_lshlrev_b32_e32 v9, 23, v9
	s_delay_alu instid0(VALU_DEP_2) | instskip(NEXT) | instid1(VALU_DEP_1)
	v_lshrrev_b32_e32 v10, 4, v10
	v_sub_nc_u32_e32 v9, v10, v9
	v_and_b32_e32 v10, 0x7f800000, v11
	s_delay_alu instid0(VALU_DEP_2) | instskip(NEXT) | instid1(VALU_DEP_1)
	v_add_nc_u32_e32 v9, 0x3c000000, v9
	v_and_or_b32 v9, 0x7ff00000, v9, v10
	s_delay_alu instid0(VALU_DEP_1) | instskip(NEXT) | instid1(VALU_DEP_1)
	v_cmp_ne_u32_e64 s0, 0, v9
	s_and_b32 s0, vcc_lo, s0
	s_delay_alu instid0(SALU_CYCLE_1) | instskip(NEXT) | instid1(SALU_CYCLE_1)
	s_and_b32 s0, s0, exec_lo
	s_or_b32 s1, s1, s0
.LBB126_1783:
	s_mov_b32 s0, 0
.LBB126_1784:
	s_delay_alu instid0(SALU_CYCLE_1)
	s_and_not1_b32 vcc_lo, exec_lo, s0
	s_cbranch_vccnz .LBB126_1786
; %bb.1785:
	global_load_u8 v8, v[0:1], off
	s_and_not1_b32 s0, s1, exec_lo
	s_waitcnt vmcnt(0)
	v_lshlrev_b32_e32 v9, 25, v8
	v_lshlrev_b32_e32 v8, 8, v8
	s_delay_alu instid0(VALU_DEP_2) | instskip(NEXT) | instid1(VALU_DEP_2)
	v_lshrrev_b32_e32 v10, 4, v9
	v_and_or_b32 v8, 0x7f00, v8, 0.5
	s_delay_alu instid0(VALU_DEP_2) | instskip(NEXT) | instid1(VALU_DEP_2)
	v_or_b32_e32 v10, 0x70000000, v10
	v_add_f32_e32 v8, -0.5, v8
	s_delay_alu instid0(VALU_DEP_2) | instskip(SKIP_1) | instid1(VALU_DEP_2)
	v_mul_f32_e32 v10, 0x7800000, v10
	v_cmp_gt_u32_e32 vcc_lo, 0x8000000, v9
	v_cndmask_b32_e32 v8, v10, v8, vcc_lo
	s_delay_alu instid0(VALU_DEP_1) | instskip(SKIP_1) | instid1(SALU_CYCLE_1)
	v_cmp_neq_f32_e32 vcc_lo, 0, v8
	s_and_b32 s1, vcc_lo, exec_lo
	s_or_b32 s1, s0, s1
.LBB126_1786:
	s_mov_b32 s0, 0
	s_mov_b32 s17, -1
.LBB126_1787:
	s_and_not1_b32 vcc_lo, exec_lo, s0
	s_mov_b32 s0, 0
	s_cbranch_vccnz .LBB126_1798
; %bb.1788:
	v_cmp_lt_i16_e32 vcc_lo, 14, v3
	s_cbranch_vccz .LBB126_1791
; %bb.1789:
	v_cmp_eq_u16_e32 vcc_lo, 15, v3
	s_cbranch_vccz .LBB126_1794
; %bb.1790:
	global_load_u16 v8, v[0:1], off
	s_mov_b32 s14, 0
	s_mov_b32 s17, -1
	s_waitcnt vmcnt(0)
	v_and_b32_e32 v8, 0x7fff, v8
	s_delay_alu instid0(VALU_DEP_1)
	v_cmp_ne_u16_e32 vcc_lo, 0, v8
	s_and_b32 s1, vcc_lo, exec_lo
	s_branch .LBB126_1796
.LBB126_1791:
	s_mov_b32 s0, -1
	s_branch .LBB126_1795
.LBB126_1792:
	s_and_not1_saveexec_b32 s17, s17
	s_cbranch_execz .LBB126_1773
.LBB126_1793:
	v_cmp_ne_u16_e32 vcc_lo, 0, v8
	s_and_not1_b32 s0, s0, exec_lo
	s_and_not1_b32 s1, s1, exec_lo
	s_and_b32 s18, vcc_lo, exec_lo
	s_delay_alu instid0(SALU_CYCLE_1)
	s_or_b32 s0, s0, s18
	s_or_b32 exec_lo, exec_lo, s17
	s_and_saveexec_b32 s17, s0
	s_cbranch_execnz .LBB126_1774
	s_branch .LBB126_1775
.LBB126_1794:
	s_mov_b32 s14, -1
.LBB126_1795:
                                        ; implicit-def: $sgpr1
.LBB126_1796:
	s_and_b32 vcc_lo, exec_lo, s0
	s_mov_b32 s0, 0
	s_cbranch_vccz .LBB126_1798
; %bb.1797:
	v_cmp_ne_u16_e64 s14, 11, v3
	s_mov_b32 s0, -1
	s_and_not1_b32 s1, s1, exec_lo
.LBB126_1798:
	s_delay_alu instid0(VALU_DEP_1)
	s_and_b32 vcc_lo, exec_lo, s14
	s_cbranch_vccnz .LBB126_1822
; %bb.1799:
	s_and_not1_b32 vcc_lo, exec_lo, s0
	s_cbranch_vccnz .LBB126_1801
.LBB126_1800:
	global_load_u8 v8, v[0:1], off
	s_and_not1_b32 s0, s1, exec_lo
	s_mov_b32 s17, -1
	s_waitcnt vmcnt(0)
	v_cmp_ne_u16_e32 vcc_lo, 0, v8
	s_and_b32 s1, vcc_lo, exec_lo
	s_delay_alu instid0(SALU_CYCLE_1)
	s_or_b32 s1, s0, s1
.LBB126_1801:
.LBB126_1802:
	s_and_not1_b32 vcc_lo, exec_lo, s17
	s_cbranch_vccnz .LBB126_3037
.LBB126_1803:
	s_lshl_b32 s14, s9, 7
	v_cmp_gt_i16_e32 vcc_lo, 11, v5
	v_add_nc_u32_e32 v8, s14, v6
	s_delay_alu instid0(VALU_DEP_1) | instskip(SKIP_1) | instid1(VALU_DEP_1)
	v_ashrrev_i32_e32 v1, 31, v8
	v_add_co_u32 v0, s0, s6, v8
	v_add_co_ci_u32_e64 v1, s0, s7, v1, s0
	s_cbranch_vccnz .LBB126_1810
; %bb.1804:
	v_cmp_lt_i16_e32 vcc_lo, 25, v5
	s_mov_b32 s9, 0
	s_cbranch_vccz .LBB126_1816
; %bb.1805:
	v_cmp_lt_i16_e32 vcc_lo, 28, v5
	s_cbranch_vccz .LBB126_1818
; %bb.1806:
	v_cmp_lt_i16_e32 vcc_lo, 43, v5
	s_cbranch_vccz .LBB126_1820
; %bb.1807:
	v_cmp_lt_i16_e32 vcc_lo, 45, v5
	s_cbranch_vccz .LBB126_1826
; %bb.1808:
	v_cmp_eq_u16_e32 vcc_lo, 46, v5
	s_mov_b32 s18, 0
	s_cbranch_vccz .LBB126_1869
; %bb.1809:
	global_load_b32 v6, v[0:1], off
	s_mov_b32 s0, 0
	s_mov_b32 s17, -1
	s_waitcnt vmcnt(0)
	v_lshlrev_b32_e32 v6, 16, v6
	s_branch .LBB126_1871
.LBB126_1810:
	s_mov_b32 s17, 0
                                        ; implicit-def: $vgpr6
	s_cbranch_execz .LBB126_1937
; %bb.1811:
	v_cmp_gt_i16_e32 vcc_lo, 5, v5
	s_cbranch_vccnz .LBB126_1817
; %bb.1812:
	v_cmp_gt_i16_e32 vcc_lo, 8, v5
	s_cbranch_vccnz .LBB126_1819
	;; [unrolled: 3-line block ×3, first 2 shown]
; %bb.1814:
	v_cmp_lt_i16_e32 vcc_lo, 9, v5
	s_cbranch_vccz .LBB126_1827
; %bb.1815:
	global_load_b64 v[9:10], v[0:1], off
	s_mov_b32 s0, 0
	s_waitcnt vmcnt(0)
	v_cvt_f32_f64_e32 v6, v[9:10]
	s_branch .LBB126_1828
.LBB126_1816:
	s_mov_b32 s18, -1
	s_mov_b32 s17, 0
	s_mov_b32 s0, 0
                                        ; implicit-def: $vgpr6
	s_branch .LBB126_1900
.LBB126_1817:
	s_mov_b32 s0, -1
                                        ; implicit-def: $vgpr6
	s_branch .LBB126_1846
.LBB126_1818:
	s_mov_b32 s18, -1
	s_mov_b32 s17, 0
	s_mov_b32 s0, 0
                                        ; implicit-def: $vgpr6
	s_branch .LBB126_1881
.LBB126_1819:
	s_mov_b32 s0, -1
                                        ; implicit-def: $vgpr6
	s_branch .LBB126_1834
.LBB126_1820:
	s_mov_b32 s18, -1
	s_mov_b32 s17, 0
	s_mov_b32 s0, 0
                                        ; implicit-def: $vgpr6
	s_branch .LBB126_1876
.LBB126_1821:
	s_mov_b32 s0, -1
                                        ; implicit-def: $vgpr6
	s_branch .LBB126_1831
.LBB126_1822:
	s_cbranch_execnz .LBB126_1867
; %bb.1823:
	s_mov_b32 s17, 0
	s_and_not1_b32 s1, s1, exec_lo
	s_or_b32 s13, s13, exec_lo
	s_cbranch_execz .LBB126_1800
	s_branch .LBB126_1801
.LBB126_1824:
	s_or_saveexec_b32 s22, s22
                                        ; implicit-def: $sgpr23
	s_delay_alu instid0(SALU_CYCLE_1)
	s_xor_b32 exec_lo, exec_lo, s22
	s_cbranch_execz .LBB126_1467
.LBB126_1825:
	v_add_f32_e64 v3, 0x42800000, |v2|
	s_and_not1_b32 s21, s21, exec_lo
	s_mov_b32 s23, 0
	s_delay_alu instid0(VALU_DEP_1) | instskip(NEXT) | instid1(VALU_DEP_1)
	v_and_b32_e32 v3, 0xff, v3
	v_cmp_ne_u32_e32 vcc_lo, 0, v3
	s_and_b32 s24, vcc_lo, exec_lo
	s_delay_alu instid0(SALU_CYCLE_1)
	s_or_b32 s21, s21, s24
	s_or_b32 exec_lo, exec_lo, s22
	v_mov_b32_e32 v4, s23
	s_and_saveexec_b32 s22, s21
	s_cbranch_execnz .LBB126_1468
	s_branch .LBB126_1469
.LBB126_1826:
	s_mov_b32 s18, -1
	s_mov_b32 s17, 0
	s_mov_b32 s0, 0
	s_branch .LBB126_1870
.LBB126_1827:
	s_mov_b32 s0, -1
                                        ; implicit-def: $vgpr6
.LBB126_1828:
	s_delay_alu instid0(SALU_CYCLE_1)
	s_and_not1_b32 vcc_lo, exec_lo, s0
	s_cbranch_vccnz .LBB126_1830
; %bb.1829:
	global_load_b32 v6, v[0:1], off
.LBB126_1830:
	s_mov_b32 s0, 0
.LBB126_1831:
	s_delay_alu instid0(SALU_CYCLE_1)
	s_and_not1_b32 vcc_lo, exec_lo, s0
	s_cbranch_vccnz .LBB126_1833
; %bb.1832:
	global_load_b32 v6, v[0:1], off
	s_waitcnt vmcnt(0)
	v_cvt_f32_f16_e32 v6, v6
.LBB126_1833:
	s_mov_b32 s0, 0
.LBB126_1834:
	s_delay_alu instid0(SALU_CYCLE_1)
	s_and_not1_b32 vcc_lo, exec_lo, s0
	s_cbranch_vccnz .LBB126_1845
; %bb.1835:
	v_cmp_gt_i16_e32 vcc_lo, 6, v5
	s_cbranch_vccnz .LBB126_1838
; %bb.1836:
	v_cmp_lt_i16_e32 vcc_lo, 6, v5
	s_cbranch_vccz .LBB126_1839
; %bb.1837:
	global_load_b64 v[9:10], v[0:1], off
	s_mov_b32 s0, 0
	s_waitcnt vmcnt(0)
	v_cvt_f32_f64_e32 v6, v[9:10]
	s_branch .LBB126_1840
.LBB126_1838:
	s_mov_b32 s0, -1
                                        ; implicit-def: $vgpr6
	s_branch .LBB126_1843
.LBB126_1839:
	s_mov_b32 s0, -1
                                        ; implicit-def: $vgpr6
.LBB126_1840:
	s_delay_alu instid0(SALU_CYCLE_1)
	s_and_not1_b32 vcc_lo, exec_lo, s0
	s_cbranch_vccnz .LBB126_1842
; %bb.1841:
	global_load_b32 v6, v[0:1], off
.LBB126_1842:
	s_mov_b32 s0, 0
.LBB126_1843:
	s_delay_alu instid0(SALU_CYCLE_1)
	s_and_not1_b32 vcc_lo, exec_lo, s0
	s_cbranch_vccnz .LBB126_1845
; %bb.1844:
	global_load_u16 v6, v[0:1], off
	s_waitcnt vmcnt(0)
	v_cvt_f32_f16_e32 v6, v6
.LBB126_1845:
	s_mov_b32 s0, 0
.LBB126_1846:
	s_delay_alu instid0(SALU_CYCLE_1)
	s_and_not1_b32 vcc_lo, exec_lo, s0
	s_cbranch_vccnz .LBB126_1866
; %bb.1847:
	v_cmp_gt_i16_e32 vcc_lo, 2, v5
	s_cbranch_vccnz .LBB126_1851
; %bb.1848:
	v_cmp_gt_i16_e32 vcc_lo, 3, v5
	s_cbranch_vccnz .LBB126_1852
; %bb.1849:
	v_cmp_lt_i16_e32 vcc_lo, 3, v5
	s_cbranch_vccz .LBB126_1853
; %bb.1850:
	global_load_b64 v[9:10], v[0:1], off
	s_mov_b32 s0, 0
	s_waitcnt vmcnt(0)
	v_xor_b32_e32 v6, v9, v10
	v_cls_i32_e32 v11, v10
	s_delay_alu instid0(VALU_DEP_2) | instskip(NEXT) | instid1(VALU_DEP_2)
	v_ashrrev_i32_e32 v6, 31, v6
	v_add_nc_u32_e32 v11, -1, v11
	s_delay_alu instid0(VALU_DEP_2) | instskip(NEXT) | instid1(VALU_DEP_1)
	v_add_nc_u32_e32 v6, 32, v6
	v_min_u32_e32 v6, v11, v6
	s_delay_alu instid0(VALU_DEP_1) | instskip(SKIP_1) | instid1(VALU_DEP_2)
	v_lshlrev_b64 v[9:10], v6, v[9:10]
	v_sub_nc_u32_e32 v6, 32, v6
	v_min_u32_e32 v9, 1, v9
	s_delay_alu instid0(VALU_DEP_1) | instskip(NEXT) | instid1(VALU_DEP_1)
	v_or_b32_e32 v9, v10, v9
	v_cvt_f32_i32_e32 v9, v9
	s_delay_alu instid0(VALU_DEP_1)
	v_ldexp_f32 v6, v9, v6
	s_branch .LBB126_1854
.LBB126_1851:
	s_mov_b32 s0, -1
                                        ; implicit-def: $vgpr6
	s_branch .LBB126_1860
.LBB126_1852:
	s_mov_b32 s0, -1
                                        ; implicit-def: $vgpr6
	s_branch .LBB126_1857
.LBB126_1853:
	s_mov_b32 s0, -1
                                        ; implicit-def: $vgpr6
.LBB126_1854:
	s_delay_alu instid0(SALU_CYCLE_1)
	s_and_not1_b32 vcc_lo, exec_lo, s0
	s_cbranch_vccnz .LBB126_1856
; %bb.1855:
	global_load_b32 v6, v[0:1], off
	s_waitcnt vmcnt(0)
	v_cvt_f32_i32_e32 v6, v6
.LBB126_1856:
	s_mov_b32 s0, 0
.LBB126_1857:
	s_delay_alu instid0(SALU_CYCLE_1)
	s_and_not1_b32 vcc_lo, exec_lo, s0
	s_cbranch_vccnz .LBB126_1859
; %bb.1858:
	global_load_i16 v6, v[0:1], off
	s_waitcnt vmcnt(0)
	v_cvt_f32_i32_e32 v6, v6
.LBB126_1859:
	s_mov_b32 s0, 0
.LBB126_1860:
	s_delay_alu instid0(SALU_CYCLE_1)
	s_and_not1_b32 vcc_lo, exec_lo, s0
	s_cbranch_vccnz .LBB126_1866
; %bb.1861:
	v_cmp_lt_i16_e32 vcc_lo, 0, v5
	s_mov_b32 s0, 0
	s_cbranch_vccz .LBB126_1863
; %bb.1862:
	global_load_i8 v6, v[0:1], off
	s_waitcnt vmcnt(0)
	v_cvt_f32_i32_e32 v6, v6
	s_branch .LBB126_1864
.LBB126_1863:
	s_mov_b32 s0, -1
                                        ; implicit-def: $vgpr6
.LBB126_1864:
	s_delay_alu instid0(SALU_CYCLE_1)
	s_and_not1_b32 vcc_lo, exec_lo, s0
	s_cbranch_vccnz .LBB126_1866
; %bb.1865:
	global_load_u8 v0, v[0:1], off
	s_waitcnt vmcnt(0)
	v_cvt_f32_ubyte0_e32 v6, v0
.LBB126_1866:
	s_branch .LBB126_1938
.LBB126_1867:
	s_trap 2
	s_sendmsg_rtn_b32 s0, sendmsg(MSG_RTN_GET_DOORBELL)
	s_mov_b32 ttmp2, m0
	s_waitcnt lgkmcnt(0)
	s_and_b32 s0, s0, 0x3ff
	s_delay_alu instid0(SALU_CYCLE_1) | instskip(NEXT) | instid1(SALU_CYCLE_1)
	s_bitset1_b32 s0, 10
	s_mov_b32 m0, s0
	s_sendmsg sendmsg(MSG_INTERRUPT)
	s_mov_b32 m0, ttmp2
.LBB126_1868:                           ; =>This Inner Loop Header: Depth=1
	s_sethalt 5
	s_branch .LBB126_1868
.LBB126_1869:
	s_mov_b32 s0, -1
	s_mov_b32 s17, 0
.LBB126_1870:
                                        ; implicit-def: $vgpr6
.LBB126_1871:
	s_and_b32 vcc_lo, exec_lo, s18
	s_cbranch_vccz .LBB126_1875
; %bb.1872:
	v_cmp_eq_u16_e32 vcc_lo, 44, v5
	s_cbranch_vccz .LBB126_1874
; %bb.1873:
	global_load_u8 v6, v[0:1], off
	s_mov_b32 s0, 0
	s_mov_b32 s17, -1
	s_waitcnt vmcnt(0)
	v_lshlrev_b32_e32 v9, 23, v6
	v_cmp_ne_u32_e32 vcc_lo, 0xff, v6
	s_delay_alu instid0(VALU_DEP_2) | instskip(SKIP_1) | instid1(VALU_DEP_2)
	v_cndmask_b32_e32 v9, 0x7f800001, v9, vcc_lo
	v_cmp_ne_u32_e32 vcc_lo, 0, v6
	v_cndmask_b32_e32 v6, 0x400000, v9, vcc_lo
	s_branch .LBB126_1875
.LBB126_1874:
	s_mov_b32 s0, -1
                                        ; implicit-def: $vgpr6
.LBB126_1875:
	s_mov_b32 s18, 0
.LBB126_1876:
	s_delay_alu instid0(SALU_CYCLE_1)
	s_and_b32 vcc_lo, exec_lo, s18
	s_cbranch_vccz .LBB126_1880
; %bb.1877:
	v_cmp_eq_u16_e32 vcc_lo, 29, v5
	s_cbranch_vccz .LBB126_1879
; %bb.1878:
	global_load_b64 v[9:10], v[0:1], off
	s_mov_b32 s0, 0
	s_mov_b32 s17, -1
	s_mov_b32 s18, 0
	s_waitcnt vmcnt(0)
	v_clz_i32_u32_e32 v6, v10
	s_delay_alu instid0(VALU_DEP_1) | instskip(NEXT) | instid1(VALU_DEP_1)
	v_min_u32_e32 v6, 32, v6
	v_lshlrev_b64 v[9:10], v6, v[9:10]
	v_sub_nc_u32_e32 v6, 32, v6
	s_delay_alu instid0(VALU_DEP_2) | instskip(NEXT) | instid1(VALU_DEP_1)
	v_min_u32_e32 v9, 1, v9
	v_or_b32_e32 v9, v10, v9
	s_delay_alu instid0(VALU_DEP_1) | instskip(NEXT) | instid1(VALU_DEP_1)
	v_cvt_f32_u32_e32 v9, v9
	v_ldexp_f32 v6, v9, v6
	s_branch .LBB126_1881
.LBB126_1879:
	s_mov_b32 s0, -1
                                        ; implicit-def: $vgpr6
.LBB126_1880:
	s_mov_b32 s18, 0
.LBB126_1881:
	s_delay_alu instid0(SALU_CYCLE_1)
	s_and_b32 vcc_lo, exec_lo, s18
	s_cbranch_vccz .LBB126_1899
; %bb.1882:
	v_cmp_gt_i16_e32 vcc_lo, 27, v5
	s_cbranch_vccnz .LBB126_1885
; %bb.1883:
	v_cmp_lt_i16_e32 vcc_lo, 27, v5
	s_cbranch_vccz .LBB126_1886
; %bb.1884:
	global_load_b32 v6, v[0:1], off
	s_mov_b32 s17, 0
	s_waitcnt vmcnt(0)
	v_cvt_f32_u32_e32 v6, v6
	s_branch .LBB126_1887
.LBB126_1885:
	s_mov_b32 s17, -1
                                        ; implicit-def: $vgpr6
	s_branch .LBB126_1890
.LBB126_1886:
	s_mov_b32 s17, -1
                                        ; implicit-def: $vgpr6
.LBB126_1887:
	s_delay_alu instid0(SALU_CYCLE_1)
	s_and_not1_b32 vcc_lo, exec_lo, s17
	s_cbranch_vccnz .LBB126_1889
; %bb.1888:
	global_load_u16 v6, v[0:1], off
	s_waitcnt vmcnt(0)
	v_cvt_f32_u32_e32 v6, v6
.LBB126_1889:
	s_mov_b32 s17, 0
.LBB126_1890:
	s_delay_alu instid0(SALU_CYCLE_1)
	s_and_not1_b32 vcc_lo, exec_lo, s17
	s_cbranch_vccnz .LBB126_1898
; %bb.1891:
	global_load_u8 v9, v[0:1], off
	s_mov_b32 s17, 0
	s_mov_b32 s19, exec_lo
                                        ; implicit-def: $sgpr18
	s_waitcnt vmcnt(0)
	v_cmpx_lt_i16_e32 0x7f, v9
	s_xor_b32 s19, exec_lo, s19
	s_cbranch_execz .LBB126_1912
; %bb.1892:
	s_mov_b32 s17, -1
	s_mov_b32 s20, exec_lo
                                        ; implicit-def: $sgpr18
	v_cmpx_eq_u16_e32 0x80, v9
; %bb.1893:
	s_mov_b32 s18, 0x7f800001
	s_xor_b32 s17, exec_lo, -1
; %bb.1894:
	s_or_b32 exec_lo, exec_lo, s20
	s_delay_alu instid0(SALU_CYCLE_1)
	s_and_b32 s17, s17, exec_lo
	s_or_saveexec_b32 s19, s19
	v_mov_b32_e32 v6, s18
	s_xor_b32 exec_lo, exec_lo, s19
	s_cbranch_execnz .LBB126_1913
.LBB126_1895:
	s_or_b32 exec_lo, exec_lo, s19
	s_and_saveexec_b32 s18, s17
	s_cbranch_execz .LBB126_1897
.LBB126_1896:
	v_and_b32_e32 v6, 0xffff, v9
	s_delay_alu instid0(VALU_DEP_1) | instskip(NEXT) | instid1(VALU_DEP_1)
	v_and_b32_e32 v10, 7, v6
	v_clz_i32_u32_e32 v11, v10
	s_delay_alu instid0(VALU_DEP_1) | instskip(NEXT) | instid1(VALU_DEP_1)
	v_min_u32_e32 v11, 32, v11
	v_subrev_nc_u32_e32 v12, 28, v11
	v_sub_nc_u32_e32 v11, 29, v11
	s_delay_alu instid0(VALU_DEP_2) | instskip(SKIP_1) | instid1(VALU_DEP_2)
	v_lshlrev_b32_e32 v12, v12, v6
	v_bfe_u32 v6, v6, 3, 4
	v_and_b32_e32 v12, 7, v12
	s_delay_alu instid0(VALU_DEP_2) | instskip(SKIP_1) | instid1(VALU_DEP_1)
	v_cmp_eq_u32_e32 vcc_lo, 0, v6
	v_dual_cndmask_b32 v6, v6, v11 :: v_dual_lshlrev_b32 v9, 24, v9
	v_dual_cndmask_b32 v10, v10, v12 :: v_dual_and_b32 v9, 0x80000000, v9
	s_delay_alu instid0(VALU_DEP_2) | instskip(NEXT) | instid1(VALU_DEP_2)
	v_lshl_add_u32 v6, v6, 23, 0x3b800000
	v_lshlrev_b32_e32 v10, 20, v10
	s_delay_alu instid0(VALU_DEP_1)
	v_or3_b32 v6, v9, v6, v10
.LBB126_1897:
	s_or_b32 exec_lo, exec_lo, s18
.LBB126_1898:
	s_mov_b32 s17, -1
.LBB126_1899:
	s_mov_b32 s18, 0
.LBB126_1900:
	s_delay_alu instid0(SALU_CYCLE_1)
	s_and_b32 vcc_lo, exec_lo, s18
	s_cbranch_vccz .LBB126_1933
; %bb.1901:
	v_cmp_lt_i16_e32 vcc_lo, 22, v5
	s_cbranch_vccz .LBB126_1911
; %bb.1902:
	v_cmp_gt_i16_e32 vcc_lo, 24, v5
	s_cbranch_vccnz .LBB126_1914
; %bb.1903:
	v_cmp_lt_i16_e32 vcc_lo, 24, v5
	s_cbranch_vccz .LBB126_1915
; %bb.1904:
	global_load_u8 v9, v[0:1], off
	s_mov_b32 s18, exec_lo
                                        ; implicit-def: $sgpr17
	s_waitcnt vmcnt(0)
	v_cmpx_lt_i16_e32 0x7f, v9
	s_xor_b32 s18, exec_lo, s18
	s_cbranch_execz .LBB126_1927
; %bb.1905:
	s_mov_b32 s9, -1
	s_mov_b32 s19, exec_lo
                                        ; implicit-def: $sgpr17
	v_cmpx_eq_u16_e32 0x80, v9
; %bb.1906:
	s_mov_b32 s17, 0x7f800001
	s_xor_b32 s9, exec_lo, -1
; %bb.1907:
	s_or_b32 exec_lo, exec_lo, s19
	s_delay_alu instid0(SALU_CYCLE_1)
	s_and_b32 s9, s9, exec_lo
	s_or_saveexec_b32 s18, s18
	v_mov_b32_e32 v6, s17
	s_xor_b32 exec_lo, exec_lo, s18
	s_cbranch_execnz .LBB126_1928
.LBB126_1908:
	s_or_b32 exec_lo, exec_lo, s18
	s_and_saveexec_b32 s17, s9
	s_cbranch_execz .LBB126_1910
.LBB126_1909:
	v_and_b32_e32 v6, 0xffff, v9
	s_delay_alu instid0(VALU_DEP_1) | instskip(NEXT) | instid1(VALU_DEP_1)
	v_and_b32_e32 v10, 3, v6
	v_clz_i32_u32_e32 v11, v10
	s_delay_alu instid0(VALU_DEP_1) | instskip(NEXT) | instid1(VALU_DEP_1)
	v_min_u32_e32 v11, 32, v11
	v_subrev_nc_u32_e32 v12, 29, v11
	v_sub_nc_u32_e32 v11, 30, v11
	s_delay_alu instid0(VALU_DEP_2) | instskip(SKIP_1) | instid1(VALU_DEP_2)
	v_lshlrev_b32_e32 v12, v12, v6
	v_bfe_u32 v6, v6, 2, 5
	v_and_b32_e32 v12, 3, v12
	s_delay_alu instid0(VALU_DEP_2) | instskip(SKIP_1) | instid1(VALU_DEP_1)
	v_cmp_eq_u32_e32 vcc_lo, 0, v6
	v_dual_cndmask_b32 v6, v6, v11 :: v_dual_lshlrev_b32 v9, 24, v9
	v_dual_cndmask_b32 v10, v10, v12 :: v_dual_and_b32 v9, 0x80000000, v9
	s_delay_alu instid0(VALU_DEP_2) | instskip(NEXT) | instid1(VALU_DEP_2)
	v_lshl_add_u32 v6, v6, 23, 0x37800000
	v_lshlrev_b32_e32 v10, 21, v10
	s_delay_alu instid0(VALU_DEP_1)
	v_or3_b32 v6, v9, v6, v10
.LBB126_1910:
	s_or_b32 exec_lo, exec_lo, s17
	s_mov_b32 s9, 0
	s_branch .LBB126_1916
.LBB126_1911:
	s_mov_b32 s9, -1
                                        ; implicit-def: $vgpr6
	s_branch .LBB126_1922
.LBB126_1912:
	s_or_saveexec_b32 s19, s19
	v_mov_b32_e32 v6, s18
	s_xor_b32 exec_lo, exec_lo, s19
	s_cbranch_execz .LBB126_1895
.LBB126_1913:
	v_cmp_ne_u16_e32 vcc_lo, 0, v9
	v_mov_b32_e32 v6, 0
	s_and_not1_b32 s17, s17, exec_lo
	s_and_b32 s18, vcc_lo, exec_lo
	s_delay_alu instid0(SALU_CYCLE_1)
	s_or_b32 s17, s17, s18
	s_or_b32 exec_lo, exec_lo, s19
	s_and_saveexec_b32 s18, s17
	s_cbranch_execnz .LBB126_1896
	s_branch .LBB126_1897
.LBB126_1914:
	s_mov_b32 s9, -1
                                        ; implicit-def: $vgpr6
	s_branch .LBB126_1919
.LBB126_1915:
	s_mov_b32 s9, -1
                                        ; implicit-def: $vgpr6
.LBB126_1916:
	s_delay_alu instid0(SALU_CYCLE_1)
	s_and_b32 vcc_lo, exec_lo, s9
	s_cbranch_vccz .LBB126_1918
; %bb.1917:
	global_load_u8 v6, v[0:1], off
	s_waitcnt vmcnt(0)
	v_lshlrev_b32_e32 v6, 24, v6
	s_delay_alu instid0(VALU_DEP_1) | instskip(NEXT) | instid1(VALU_DEP_1)
	v_and_b32_e32 v9, 0x7f000000, v6
	v_clz_i32_u32_e32 v10, v9
	v_cmp_ne_u32_e32 vcc_lo, 0, v9
	v_add_nc_u32_e32 v12, 0x1000000, v9
	s_delay_alu instid0(VALU_DEP_3) | instskip(NEXT) | instid1(VALU_DEP_1)
	v_min_u32_e32 v10, 32, v10
	v_sub_nc_u32_e64 v10, v10, 4 clamp
	s_delay_alu instid0(VALU_DEP_1) | instskip(SKIP_1) | instid1(VALU_DEP_2)
	v_lshlrev_b32_e32 v11, v10, v9
	v_lshlrev_b32_e32 v10, 23, v10
	v_lshrrev_b32_e32 v11, 4, v11
	s_delay_alu instid0(VALU_DEP_1) | instskip(SKIP_1) | instid1(VALU_DEP_2)
	v_sub_nc_u32_e32 v10, v11, v10
	v_ashrrev_i32_e32 v11, 8, v12
	v_add_nc_u32_e32 v10, 0x3c000000, v10
	s_delay_alu instid0(VALU_DEP_1) | instskip(NEXT) | instid1(VALU_DEP_1)
	v_and_or_b32 v10, 0x7f800000, v11, v10
	v_cndmask_b32_e32 v9, 0, v10, vcc_lo
	s_delay_alu instid0(VALU_DEP_1)
	v_and_or_b32 v6, 0x80000000, v6, v9
.LBB126_1918:
	s_mov_b32 s9, 0
.LBB126_1919:
	s_delay_alu instid0(SALU_CYCLE_1)
	s_and_not1_b32 vcc_lo, exec_lo, s9
	s_cbranch_vccnz .LBB126_1921
; %bb.1920:
	global_load_u8 v6, v[0:1], off
	s_waitcnt vmcnt(0)
	v_lshlrev_b32_e32 v9, 25, v6
	v_lshlrev_b16 v6, 8, v6
	s_delay_alu instid0(VALU_DEP_2) | instskip(NEXT) | instid1(VALU_DEP_2)
	v_lshrrev_b32_e32 v10, 4, v9
	v_and_or_b32 v11, 0x7f00, v6, 0.5
	v_cmp_gt_u32_e32 vcc_lo, 0x8000000, v9
	v_bfe_i32 v6, v6, 0, 16
	s_delay_alu instid0(VALU_DEP_4) | instskip(NEXT) | instid1(VALU_DEP_1)
	v_or_b32_e32 v10, 0x70000000, v10
	v_dual_add_f32 v11, -0.5, v11 :: v_dual_mul_f32 v10, 0x7800000, v10
	s_delay_alu instid0(VALU_DEP_1) | instskip(NEXT) | instid1(VALU_DEP_1)
	v_cndmask_b32_e32 v9, v10, v11, vcc_lo
	v_and_or_b32 v6, 0x80000000, v6, v9
.LBB126_1921:
	s_mov_b32 s9, 0
	s_mov_b32 s17, -1
.LBB126_1922:
	s_and_not1_b32 vcc_lo, exec_lo, s9
	s_mov_b32 s9, 0
	s_cbranch_vccnz .LBB126_1933
; %bb.1923:
	v_cmp_lt_i16_e32 vcc_lo, 14, v5
	s_cbranch_vccz .LBB126_1926
; %bb.1924:
	v_cmp_eq_u16_e32 vcc_lo, 15, v5
	s_cbranch_vccz .LBB126_1929
; %bb.1925:
	global_load_u16 v6, v[0:1], off
	s_mov_b32 s0, 0
	s_mov_b32 s17, -1
	s_waitcnt vmcnt(0)
	v_lshlrev_b32_e32 v6, 16, v6
	s_branch .LBB126_1931
.LBB126_1926:
	s_mov_b32 s9, -1
	s_branch .LBB126_1930
.LBB126_1927:
	s_or_saveexec_b32 s18, s18
	v_mov_b32_e32 v6, s17
	s_xor_b32 exec_lo, exec_lo, s18
	s_cbranch_execz .LBB126_1908
.LBB126_1928:
	v_cmp_ne_u16_e32 vcc_lo, 0, v9
	v_mov_b32_e32 v6, 0
	s_and_not1_b32 s9, s9, exec_lo
	s_and_b32 s17, vcc_lo, exec_lo
	s_delay_alu instid0(SALU_CYCLE_1)
	s_or_b32 s9, s9, s17
	s_or_b32 exec_lo, exec_lo, s18
	s_and_saveexec_b32 s17, s9
	s_cbranch_execnz .LBB126_1909
	s_branch .LBB126_1910
.LBB126_1929:
	s_mov_b32 s0, -1
.LBB126_1930:
                                        ; implicit-def: $vgpr6
.LBB126_1931:
	s_and_b32 vcc_lo, exec_lo, s9
	s_mov_b32 s9, 0
	s_cbranch_vccz .LBB126_1933
; %bb.1932:
	v_cmp_ne_u16_e64 s0, 11, v5
	s_mov_b32 s9, -1
                                        ; implicit-def: $vgpr6
.LBB126_1933:
	s_delay_alu instid0(VALU_DEP_1)
	s_and_b32 vcc_lo, exec_lo, s0
	s_cbranch_vccnz .LBB126_1949
; %bb.1934:
	s_and_not1_b32 vcc_lo, exec_lo, s9
	s_cbranch_vccnz .LBB126_1936
.LBB126_1935:
	global_load_u8 v6, v[0:1], off
	s_mov_b32 s17, -1
	s_waitcnt vmcnt(0)
	v_cmp_ne_u16_e32 vcc_lo, 0, v6
	v_cndmask_b32_e64 v6, 0, 1.0, vcc_lo
.LBB126_1936:
.LBB126_1937:
	s_and_not1_b32 vcc_lo, exec_lo, s17
	s_cbranch_vccnz .LBB126_3037
.LBB126_1938:
	s_lshl_b32 s17, s10, 7
	v_cmp_gt_i16_e32 vcc_lo, 11, v3
	v_add_nc_u32_e32 v9, s17, v7
	s_delay_alu instid0(VALU_DEP_1) | instskip(SKIP_1) | instid1(VALU_DEP_1)
	v_ashrrev_i32_e32 v1, 31, v9
	v_add_co_u32 v0, s0, s2, v9
	v_add_co_ci_u32_e64 v1, s0, s3, v1, s0
	s_cbranch_vccnz .LBB126_1945
; %bb.1939:
	v_cmp_lt_i16_e32 vcc_lo, 25, v3
	s_mov_b32 s0, 0
	s_cbranch_vccz .LBB126_1946
; %bb.1940:
	v_cmp_lt_i16_e32 vcc_lo, 28, v3
	s_cbranch_vccz .LBB126_1947
; %bb.1941:
	v_cmp_lt_i16_e32 vcc_lo, 43, v3
	;; [unrolled: 3-line block ×3, first 2 shown]
	s_cbranch_vccz .LBB126_1951
; %bb.1943:
	v_cmp_eq_u16_e32 vcc_lo, 46, v3
	s_mov_b32 s19, 0
	s_cbranch_vccz .LBB126_1954
; %bb.1944:
	global_load_b32 v7, v[0:1], off
	s_mov_b32 s10, 0
	s_mov_b32 s18, -1
	s_waitcnt vmcnt(0)
	v_and_b32_e32 v7, 0x7fff7fff, v7
	s_delay_alu instid0(VALU_DEP_1)
	v_cmp_ne_u32_e32 vcc_lo, 0, v7
	s_and_b32 s9, vcc_lo, exec_lo
	s_branch .LBB126_1956
.LBB126_1945:
	s_mov_b32 s0, -1
	s_mov_b32 s18, 0
                                        ; implicit-def: $sgpr9
	s_branch .LBB126_2020
.LBB126_1946:
	s_mov_b32 s19, -1
	s_mov_b32 s18, 0
	s_mov_b32 s10, 0
                                        ; implicit-def: $sgpr9
	s_branch .LBB126_1983
.LBB126_1947:
	s_mov_b32 s19, -1
	s_mov_b32 s18, 0
	s_mov_b32 s10, 0
                                        ; implicit-def: $sgpr9
	s_branch .LBB126_1964
.LBB126_1948:
	s_mov_b32 s19, -1
	s_mov_b32 s18, 0
	s_mov_b32 s10, 0
                                        ; implicit-def: $sgpr9
	s_branch .LBB126_1959
.LBB126_1949:
	s_cbranch_execnz .LBB126_1952
; %bb.1950:
	s_or_b32 s13, s13, exec_lo
                                        ; implicit-def: $vgpr6
	s_cbranch_execz .LBB126_1935
	s_branch .LBB126_1936
.LBB126_1951:
	s_mov_b32 s19, -1
	s_mov_b32 s18, 0
	s_mov_b32 s10, 0
	s_branch .LBB126_1955
.LBB126_1952:
	s_trap 2
	s_sendmsg_rtn_b32 s0, sendmsg(MSG_RTN_GET_DOORBELL)
	s_mov_b32 ttmp2, m0
	s_waitcnt lgkmcnt(0)
	s_and_b32 s0, s0, 0x3ff
	s_delay_alu instid0(SALU_CYCLE_1) | instskip(NEXT) | instid1(SALU_CYCLE_1)
	s_bitset1_b32 s0, 10
	s_mov_b32 m0, s0
	s_sendmsg sendmsg(MSG_INTERRUPT)
	s_mov_b32 m0, ttmp2
.LBB126_1953:                           ; =>This Inner Loop Header: Depth=1
	s_sethalt 5
	s_branch .LBB126_1953
.LBB126_1954:
	s_mov_b32 s10, -1
	s_mov_b32 s18, 0
.LBB126_1955:
                                        ; implicit-def: $sgpr9
.LBB126_1956:
	s_and_b32 vcc_lo, exec_lo, s19
	s_cbranch_vccz .LBB126_1958
; %bb.1957:
	v_cmp_ne_u16_e64 s10, 44, v3
	s_mov_b32 s18, -1
	s_or_b32 s9, s9, exec_lo
.LBB126_1958:
	s_mov_b32 s19, 0
.LBB126_1959:
	s_delay_alu instid0(SALU_CYCLE_1)
	s_and_b32 vcc_lo, exec_lo, s19
	s_cbranch_vccz .LBB126_1963
; %bb.1960:
	v_cmp_eq_u16_e32 vcc_lo, 29, v3
	s_cbranch_vccz .LBB126_1962
; %bb.1961:
	global_load_b64 v[10:11], v[0:1], off
	s_mov_b32 s10, 0
	s_mov_b32 s18, -1
	s_mov_b32 s19, 0
	s_waitcnt vmcnt(0)
	v_cmp_ne_u64_e32 vcc_lo, 0, v[10:11]
	s_and_b32 s9, vcc_lo, exec_lo
	s_branch .LBB126_1964
.LBB126_1962:
	s_mov_b32 s10, -1
                                        ; implicit-def: $sgpr9
.LBB126_1963:
	s_mov_b32 s19, 0
.LBB126_1964:
	s_delay_alu instid0(SALU_CYCLE_1)
	s_and_b32 vcc_lo, exec_lo, s19
	s_cbranch_vccz .LBB126_1982
; %bb.1965:
	v_cmp_gt_i16_e32 vcc_lo, 27, v3
	s_cbranch_vccnz .LBB126_1968
; %bb.1966:
	v_cmp_lt_i16_e32 vcc_lo, 27, v3
	s_cbranch_vccz .LBB126_1969
; %bb.1967:
	global_load_b32 v7, v[0:1], off
	s_mov_b32 s18, 0
	s_waitcnt vmcnt(0)
	v_cmp_ne_u32_e32 vcc_lo, 0, v7
	s_and_b32 s9, vcc_lo, exec_lo
	s_branch .LBB126_1970
.LBB126_1968:
	s_mov_b32 s18, -1
                                        ; implicit-def: $sgpr9
	s_branch .LBB126_1973
.LBB126_1969:
	s_mov_b32 s18, -1
                                        ; implicit-def: $sgpr9
.LBB126_1970:
	s_delay_alu instid0(SALU_CYCLE_1)
	s_and_not1_b32 vcc_lo, exec_lo, s18
	s_cbranch_vccnz .LBB126_1972
; %bb.1971:
	global_load_u16 v7, v[0:1], off
	s_and_not1_b32 s9, s9, exec_lo
	s_waitcnt vmcnt(0)
	v_cmp_ne_u16_e32 vcc_lo, 0, v7
	s_and_b32 s18, vcc_lo, exec_lo
	s_delay_alu instid0(SALU_CYCLE_1)
	s_or_b32 s9, s9, s18
.LBB126_1972:
	s_mov_b32 s18, 0
.LBB126_1973:
	s_delay_alu instid0(SALU_CYCLE_1)
	s_and_not1_b32 vcc_lo, exec_lo, s18
	s_cbranch_vccnz .LBB126_1981
; %bb.1974:
	global_load_u8 v7, v[0:1], off
	s_mov_b32 s18, 0
	s_mov_b32 s19, exec_lo
                                        ; implicit-def: $sgpr9
	s_waitcnt vmcnt(0)
	v_cmpx_lt_i16_e32 0x7f, v7
	s_xor_b32 s19, exec_lo, s19
	s_cbranch_execz .LBB126_1995
; %bb.1975:
	s_mov_b32 s18, -1
	s_mov_b32 s20, exec_lo
                                        ; implicit-def: $sgpr9
	v_cmpx_eq_u16_e32 0x80, v7
; %bb.1976:
	s_mov_b32 s9, -1
	s_xor_b32 s18, exec_lo, -1
; %bb.1977:
	s_or_b32 exec_lo, exec_lo, s20
	s_delay_alu instid0(SALU_CYCLE_1)
	s_and_b32 s18, s18, exec_lo
	s_and_not1_saveexec_b32 s19, s19
	s_cbranch_execnz .LBB126_1996
.LBB126_1978:
	s_or_b32 exec_lo, exec_lo, s19
	s_and_saveexec_b32 s19, s18
	s_cbranch_execz .LBB126_1980
.LBB126_1979:
	v_and_b32_e32 v7, 0xffff, v7
	s_and_not1_b32 s9, s9, exec_lo
	s_delay_alu instid0(VALU_DEP_1) | instskip(NEXT) | instid1(VALU_DEP_1)
	v_and_b32_e32 v10, 7, v7
	v_clz_i32_u32_e32 v11, v10
	s_delay_alu instid0(VALU_DEP_1) | instskip(NEXT) | instid1(VALU_DEP_1)
	v_min_u32_e32 v11, 32, v11
	v_subrev_nc_u32_e32 v12, 28, v11
	v_sub_nc_u32_e32 v11, 29, v11
	s_delay_alu instid0(VALU_DEP_2) | instskip(SKIP_1) | instid1(VALU_DEP_1)
	v_lshlrev_b32_e32 v12, v12, v7
	v_bfe_u32 v7, v7, 3, 4
	v_cmp_eq_u32_e32 vcc_lo, 0, v7
	s_delay_alu instid0(VALU_DEP_3) | instskip(NEXT) | instid1(VALU_DEP_1)
	v_dual_cndmask_b32 v7, v7, v11 :: v_dual_and_b32 v12, 7, v12
	v_cndmask_b32_e32 v10, v10, v12, vcc_lo
	s_delay_alu instid0(VALU_DEP_2) | instskip(NEXT) | instid1(VALU_DEP_2)
	v_lshl_add_u32 v7, v7, 23, 0x3b800000
	v_lshlrev_b32_e32 v10, 20, v10
	s_delay_alu instid0(VALU_DEP_1) | instskip(NEXT) | instid1(VALU_DEP_1)
	v_and_or_b32 v7, 0x7f800000, v7, v10
	v_cmp_ne_u32_e32 vcc_lo, 0, v7
	s_and_b32 s18, vcc_lo, exec_lo
	s_delay_alu instid0(SALU_CYCLE_1)
	s_or_b32 s9, s9, s18
.LBB126_1980:
	s_or_b32 exec_lo, exec_lo, s19
.LBB126_1981:
	s_mov_b32 s18, -1
.LBB126_1982:
	s_mov_b32 s19, 0
.LBB126_1983:
	s_delay_alu instid0(SALU_CYCLE_1)
	s_and_b32 vcc_lo, exec_lo, s19
	s_cbranch_vccz .LBB126_2016
; %bb.1984:
	v_cmp_lt_i16_e32 vcc_lo, 22, v3
	s_cbranch_vccz .LBB126_1994
; %bb.1985:
	v_cmp_gt_i16_e32 vcc_lo, 24, v3
	s_cbranch_vccnz .LBB126_1997
; %bb.1986:
	v_cmp_lt_i16_e32 vcc_lo, 24, v3
	s_cbranch_vccz .LBB126_1998
; %bb.1987:
	global_load_u8 v7, v[0:1], off
	s_mov_b32 s18, exec_lo
                                        ; implicit-def: $sgpr9
	s_waitcnt vmcnt(0)
	v_cmpx_lt_i16_e32 0x7f, v7
	s_xor_b32 s18, exec_lo, s18
	s_cbranch_execz .LBB126_2010
; %bb.1988:
	s_mov_b32 s0, -1
	s_mov_b32 s19, exec_lo
                                        ; implicit-def: $sgpr9
	v_cmpx_eq_u16_e32 0x80, v7
; %bb.1989:
	s_mov_b32 s9, -1
	s_xor_b32 s0, exec_lo, -1
; %bb.1990:
	s_or_b32 exec_lo, exec_lo, s19
	s_delay_alu instid0(SALU_CYCLE_1)
	s_and_b32 s0, s0, exec_lo
	s_and_not1_saveexec_b32 s18, s18
	s_cbranch_execnz .LBB126_2011
.LBB126_1991:
	s_or_b32 exec_lo, exec_lo, s18
	s_and_saveexec_b32 s18, s0
	s_cbranch_execz .LBB126_1993
.LBB126_1992:
	v_and_b32_e32 v7, 0xffff, v7
	s_and_not1_b32 s0, s9, exec_lo
	s_delay_alu instid0(VALU_DEP_1) | instskip(NEXT) | instid1(VALU_DEP_1)
	v_and_b32_e32 v10, 3, v7
	v_clz_i32_u32_e32 v11, v10
	s_delay_alu instid0(VALU_DEP_1) | instskip(NEXT) | instid1(VALU_DEP_1)
	v_min_u32_e32 v11, 32, v11
	v_subrev_nc_u32_e32 v12, 29, v11
	v_sub_nc_u32_e32 v11, 30, v11
	s_delay_alu instid0(VALU_DEP_2) | instskip(SKIP_1) | instid1(VALU_DEP_1)
	v_lshlrev_b32_e32 v12, v12, v7
	v_bfe_u32 v7, v7, 2, 5
	v_cmp_eq_u32_e32 vcc_lo, 0, v7
	s_delay_alu instid0(VALU_DEP_3) | instskip(NEXT) | instid1(VALU_DEP_1)
	v_dual_cndmask_b32 v7, v7, v11 :: v_dual_and_b32 v12, 3, v12
	v_cndmask_b32_e32 v10, v10, v12, vcc_lo
	s_delay_alu instid0(VALU_DEP_2) | instskip(NEXT) | instid1(VALU_DEP_2)
	v_lshl_add_u32 v7, v7, 23, 0x37800000
	v_lshlrev_b32_e32 v10, 21, v10
	s_delay_alu instid0(VALU_DEP_1) | instskip(NEXT) | instid1(VALU_DEP_1)
	v_and_or_b32 v7, 0x7f800000, v7, v10
	v_cmp_ne_u32_e32 vcc_lo, 0, v7
	s_and_b32 s9, vcc_lo, exec_lo
	s_delay_alu instid0(SALU_CYCLE_1)
	s_or_b32 s9, s0, s9
.LBB126_1993:
	s_or_b32 exec_lo, exec_lo, s18
	s_mov_b32 s0, 0
	s_branch .LBB126_1999
.LBB126_1994:
	s_mov_b32 s0, -1
                                        ; implicit-def: $sgpr9
	s_branch .LBB126_2005
.LBB126_1995:
	s_and_not1_saveexec_b32 s19, s19
	s_cbranch_execz .LBB126_1978
.LBB126_1996:
	v_cmp_ne_u16_e32 vcc_lo, 0, v7
	s_and_not1_b32 s18, s18, exec_lo
	s_and_not1_b32 s9, s9, exec_lo
	s_and_b32 s20, vcc_lo, exec_lo
	s_delay_alu instid0(SALU_CYCLE_1)
	s_or_b32 s18, s18, s20
	s_or_b32 exec_lo, exec_lo, s19
	s_and_saveexec_b32 s19, s18
	s_cbranch_execnz .LBB126_1979
	s_branch .LBB126_1980
.LBB126_1997:
	s_mov_b32 s0, -1
                                        ; implicit-def: $sgpr9
	s_branch .LBB126_2002
.LBB126_1998:
	s_mov_b32 s0, -1
                                        ; implicit-def: $sgpr9
.LBB126_1999:
	s_delay_alu instid0(SALU_CYCLE_1)
	s_and_b32 vcc_lo, exec_lo, s0
	s_cbranch_vccz .LBB126_2001
; %bb.2000:
	global_load_u8 v7, v[0:1], off
	s_and_not1_b32 s9, s9, exec_lo
	s_waitcnt vmcnt(0)
	v_lshlrev_b32_e32 v7, 24, v7
	s_delay_alu instid0(VALU_DEP_1) | instskip(NEXT) | instid1(VALU_DEP_1)
	v_and_b32_e32 v7, 0x7f000000, v7
	v_clz_i32_u32_e32 v10, v7
	v_add_nc_u32_e32 v12, 0x1000000, v7
	v_cmp_ne_u32_e32 vcc_lo, 0, v7
	s_delay_alu instid0(VALU_DEP_3) | instskip(NEXT) | instid1(VALU_DEP_3)
	v_min_u32_e32 v10, 32, v10
	v_ashrrev_i32_e32 v12, 8, v12
	s_delay_alu instid0(VALU_DEP_2) | instskip(NEXT) | instid1(VALU_DEP_1)
	v_sub_nc_u32_e64 v10, v10, 4 clamp
	v_lshlrev_b32_e32 v11, v10, v7
	v_lshlrev_b32_e32 v10, 23, v10
	s_delay_alu instid0(VALU_DEP_2) | instskip(NEXT) | instid1(VALU_DEP_1)
	v_lshrrev_b32_e32 v11, 4, v11
	v_sub_nc_u32_e32 v10, v11, v10
	v_and_b32_e32 v11, 0x7f800000, v12
	s_delay_alu instid0(VALU_DEP_2) | instskip(NEXT) | instid1(VALU_DEP_1)
	v_add_nc_u32_e32 v10, 0x3c000000, v10
	v_and_or_b32 v10, 0x7ff00000, v10, v11
	s_delay_alu instid0(VALU_DEP_1) | instskip(NEXT) | instid1(VALU_DEP_1)
	v_cmp_ne_u32_e64 s0, 0, v10
	s_and_b32 s0, vcc_lo, s0
	s_delay_alu instid0(SALU_CYCLE_1) | instskip(NEXT) | instid1(SALU_CYCLE_1)
	s_and_b32 s0, s0, exec_lo
	s_or_b32 s9, s9, s0
.LBB126_2001:
	s_mov_b32 s0, 0
.LBB126_2002:
	s_delay_alu instid0(SALU_CYCLE_1)
	s_and_not1_b32 vcc_lo, exec_lo, s0
	s_cbranch_vccnz .LBB126_2004
; %bb.2003:
	global_load_u8 v7, v[0:1], off
	s_and_not1_b32 s0, s9, exec_lo
	s_waitcnt vmcnt(0)
	v_lshlrev_b32_e32 v10, 25, v7
	v_lshlrev_b32_e32 v7, 8, v7
	s_delay_alu instid0(VALU_DEP_2) | instskip(NEXT) | instid1(VALU_DEP_2)
	v_lshrrev_b32_e32 v11, 4, v10
	v_and_or_b32 v7, 0x7f00, v7, 0.5
	v_cmp_gt_u32_e32 vcc_lo, 0x8000000, v10
	s_delay_alu instid0(VALU_DEP_3) | instskip(NEXT) | instid1(VALU_DEP_3)
	v_or_b32_e32 v11, 0x70000000, v11
	v_add_f32_e32 v7, -0.5, v7
	s_delay_alu instid0(VALU_DEP_2) | instskip(NEXT) | instid1(VALU_DEP_1)
	v_mul_f32_e32 v11, 0x7800000, v11
	v_cndmask_b32_e32 v7, v11, v7, vcc_lo
	s_delay_alu instid0(VALU_DEP_1) | instskip(SKIP_1) | instid1(SALU_CYCLE_1)
	v_cmp_neq_f32_e32 vcc_lo, 0, v7
	s_and_b32 s9, vcc_lo, exec_lo
	s_or_b32 s9, s0, s9
.LBB126_2004:
	s_mov_b32 s0, 0
	s_mov_b32 s18, -1
.LBB126_2005:
	s_and_not1_b32 vcc_lo, exec_lo, s0
	s_mov_b32 s0, 0
	s_cbranch_vccnz .LBB126_2016
; %bb.2006:
	v_cmp_lt_i16_e32 vcc_lo, 14, v3
	s_cbranch_vccz .LBB126_2009
; %bb.2007:
	v_cmp_eq_u16_e32 vcc_lo, 15, v3
	s_cbranch_vccz .LBB126_2012
; %bb.2008:
	global_load_u16 v7, v[0:1], off
	s_mov_b32 s10, 0
	s_mov_b32 s18, -1
	s_waitcnt vmcnt(0)
	v_and_b32_e32 v7, 0x7fff, v7
	s_delay_alu instid0(VALU_DEP_1)
	v_cmp_ne_u16_e32 vcc_lo, 0, v7
	s_and_b32 s9, vcc_lo, exec_lo
	s_branch .LBB126_2014
.LBB126_2009:
	s_mov_b32 s0, -1
	s_branch .LBB126_2013
.LBB126_2010:
	s_and_not1_saveexec_b32 s18, s18
	s_cbranch_execz .LBB126_1991
.LBB126_2011:
	v_cmp_ne_u16_e32 vcc_lo, 0, v7
	s_and_not1_b32 s0, s0, exec_lo
	s_and_not1_b32 s9, s9, exec_lo
	s_and_b32 s19, vcc_lo, exec_lo
	s_delay_alu instid0(SALU_CYCLE_1)
	s_or_b32 s0, s0, s19
	s_or_b32 exec_lo, exec_lo, s18
	s_and_saveexec_b32 s18, s0
	s_cbranch_execnz .LBB126_1992
	s_branch .LBB126_1993
.LBB126_2012:
	s_mov_b32 s10, -1
.LBB126_2013:
                                        ; implicit-def: $sgpr9
.LBB126_2014:
	s_and_b32 vcc_lo, exec_lo, s0
	s_mov_b32 s0, 0
	s_cbranch_vccz .LBB126_2016
; %bb.2015:
	v_cmp_ne_u16_e64 s10, 11, v3
	s_mov_b32 s0, -1
	s_and_not1_b32 s9, s9, exec_lo
.LBB126_2016:
	s_delay_alu instid0(VALU_DEP_1)
	s_and_b32 vcc_lo, exec_lo, s10
	s_cbranch_vccnz .LBB126_2081
; %bb.2017:
	s_and_not1_b32 vcc_lo, exec_lo, s0
	s_cbranch_vccnz .LBB126_2019
.LBB126_2018:
	global_load_u8 v7, v[0:1], off
	s_and_not1_b32 s0, s9, exec_lo
	s_mov_b32 s18, -1
	s_waitcnt vmcnt(0)
	v_cmp_ne_u16_e32 vcc_lo, 0, v7
	s_and_b32 s9, vcc_lo, exec_lo
	s_delay_alu instid0(SALU_CYCLE_1)
	s_or_b32 s9, s0, s9
.LBB126_2019:
	s_mov_b32 s0, 0
.LBB126_2020:
	s_delay_alu instid0(SALU_CYCLE_1)
	s_and_b32 vcc_lo, exec_lo, s0
	s_cbranch_vccz .LBB126_2069
; %bb.2021:
	v_cmp_gt_i16_e32 vcc_lo, 5, v3
	s_cbranch_vccnz .LBB126_2026
; %bb.2022:
	v_cmp_gt_i16_e32 vcc_lo, 8, v3
	s_cbranch_vccnz .LBB126_2027
	;; [unrolled: 3-line block ×3, first 2 shown]
; %bb.2024:
	v_cmp_lt_i16_e32 vcc_lo, 9, v3
	s_cbranch_vccz .LBB126_2029
; %bb.2025:
	global_load_b128 v[10:13], v[0:1], off
	s_waitcnt vmcnt(0)
	v_cmp_neq_f64_e32 vcc_lo, 0, v[10:11]
	v_cmp_neq_f64_e64 s0, 0, v[12:13]
	s_delay_alu instid0(VALU_DEP_1)
	s_or_b32 s9, vcc_lo, s0
	s_mov_b32 s0, 0
	s_and_b32 s9, s9, exec_lo
	s_branch .LBB126_2030
.LBB126_2026:
	s_mov_b32 s0, -1
                                        ; implicit-def: $sgpr9
	s_branch .LBB126_2048
.LBB126_2027:
	s_mov_b32 s0, -1
                                        ; implicit-def: $sgpr9
	s_branch .LBB126_2036
.LBB126_2028:
	s_mov_b32 s0, -1
                                        ; implicit-def: $sgpr9
	s_branch .LBB126_2033
.LBB126_2029:
	s_mov_b32 s0, -1
                                        ; implicit-def: $sgpr9
.LBB126_2030:
	s_delay_alu instid0(SALU_CYCLE_1)
	s_and_not1_b32 vcc_lo, exec_lo, s0
	s_cbranch_vccnz .LBB126_2032
; %bb.2031:
	global_load_b64 v[10:11], v[0:1], off
	s_and_not1_b32 s0, s9, exec_lo
	s_waitcnt vmcnt(0)
	v_or_b32_e32 v7, v10, v11
	s_delay_alu instid0(VALU_DEP_1) | instskip(NEXT) | instid1(VALU_DEP_1)
	v_and_b32_e32 v7, 0x7fffffff, v7
	v_cmp_ne_u32_e32 vcc_lo, 0, v7
	s_and_b32 s9, vcc_lo, exec_lo
	s_delay_alu instid0(SALU_CYCLE_1)
	s_or_b32 s9, s0, s9
.LBB126_2032:
	s_mov_b32 s0, 0
.LBB126_2033:
	s_delay_alu instid0(SALU_CYCLE_1)
	s_and_not1_b32 vcc_lo, exec_lo, s0
	s_cbranch_vccnz .LBB126_2035
; %bb.2034:
	global_load_b32 v7, v[0:1], off
	s_and_not1_b32 s0, s9, exec_lo
	s_waitcnt vmcnt(0)
	v_and_b32_e32 v7, 0x7fff7fff, v7
	s_delay_alu instid0(VALU_DEP_1) | instskip(SKIP_1) | instid1(SALU_CYCLE_1)
	v_cmp_ne_u32_e32 vcc_lo, 0, v7
	s_and_b32 s9, vcc_lo, exec_lo
	s_or_b32 s9, s0, s9
.LBB126_2035:
	s_mov_b32 s0, 0
.LBB126_2036:
	s_delay_alu instid0(SALU_CYCLE_1)
	s_and_not1_b32 vcc_lo, exec_lo, s0
	s_cbranch_vccnz .LBB126_2047
; %bb.2037:
	v_cmp_gt_i16_e32 vcc_lo, 6, v3
	s_cbranch_vccnz .LBB126_2040
; %bb.2038:
	v_cmp_lt_i16_e32 vcc_lo, 6, v3
	s_cbranch_vccz .LBB126_2041
; %bb.2039:
	global_load_b64 v[10:11], v[0:1], off
	s_mov_b32 s0, 0
	s_waitcnt vmcnt(0)
	v_cmp_neq_f64_e32 vcc_lo, 0, v[10:11]
	s_and_b32 s9, vcc_lo, exec_lo
	s_branch .LBB126_2042
.LBB126_2040:
	s_mov_b32 s0, -1
                                        ; implicit-def: $sgpr9
	s_branch .LBB126_2045
.LBB126_2041:
	s_mov_b32 s0, -1
                                        ; implicit-def: $sgpr9
.LBB126_2042:
	s_delay_alu instid0(SALU_CYCLE_1)
	s_and_not1_b32 vcc_lo, exec_lo, s0
	s_cbranch_vccnz .LBB126_2044
; %bb.2043:
	global_load_b32 v7, v[0:1], off
	s_and_not1_b32 s0, s9, exec_lo
	s_waitcnt vmcnt(0)
	v_cmp_neq_f32_e32 vcc_lo, 0, v7
	s_and_b32 s9, vcc_lo, exec_lo
	s_delay_alu instid0(SALU_CYCLE_1)
	s_or_b32 s9, s0, s9
.LBB126_2044:
	s_mov_b32 s0, 0
.LBB126_2045:
	s_delay_alu instid0(SALU_CYCLE_1)
	s_and_not1_b32 vcc_lo, exec_lo, s0
	s_cbranch_vccnz .LBB126_2047
; %bb.2046:
	global_load_u16 v7, v[0:1], off
	s_and_not1_b32 s0, s9, exec_lo
	s_waitcnt vmcnt(0)
	v_and_b32_e32 v7, 0x7fff, v7
	s_delay_alu instid0(VALU_DEP_1) | instskip(SKIP_1) | instid1(SALU_CYCLE_1)
	v_cmp_ne_u16_e32 vcc_lo, 0, v7
	s_and_b32 s9, vcc_lo, exec_lo
	s_or_b32 s9, s0, s9
.LBB126_2047:
	s_mov_b32 s0, 0
.LBB126_2048:
	s_delay_alu instid0(SALU_CYCLE_1)
	s_and_not1_b32 vcc_lo, exec_lo, s0
	s_cbranch_vccnz .LBB126_2068
; %bb.2049:
	v_cmp_gt_i16_e32 vcc_lo, 2, v3
	s_cbranch_vccnz .LBB126_2053
; %bb.2050:
	v_cmp_gt_i16_e32 vcc_lo, 3, v3
	s_cbranch_vccnz .LBB126_2054
; %bb.2051:
	v_cmp_lt_i16_e32 vcc_lo, 3, v3
	s_cbranch_vccz .LBB126_2055
; %bb.2052:
	global_load_b64 v[10:11], v[0:1], off
	s_mov_b32 s0, 0
	s_waitcnt vmcnt(0)
	v_cmp_ne_u64_e32 vcc_lo, 0, v[10:11]
	s_and_b32 s9, vcc_lo, exec_lo
	s_branch .LBB126_2056
.LBB126_2053:
	s_mov_b32 s0, -1
                                        ; implicit-def: $sgpr9
	s_branch .LBB126_2062
.LBB126_2054:
	s_mov_b32 s0, -1
                                        ; implicit-def: $sgpr9
	s_branch .LBB126_2059
.LBB126_2055:
	s_mov_b32 s0, -1
                                        ; implicit-def: $sgpr9
.LBB126_2056:
	s_delay_alu instid0(SALU_CYCLE_1)
	s_and_not1_b32 vcc_lo, exec_lo, s0
	s_cbranch_vccnz .LBB126_2058
; %bb.2057:
	global_load_b32 v7, v[0:1], off
	s_and_not1_b32 s0, s9, exec_lo
	s_waitcnt vmcnt(0)
	v_cmp_ne_u32_e32 vcc_lo, 0, v7
	s_and_b32 s9, vcc_lo, exec_lo
	s_delay_alu instid0(SALU_CYCLE_1)
	s_or_b32 s9, s0, s9
.LBB126_2058:
	s_mov_b32 s0, 0
.LBB126_2059:
	s_delay_alu instid0(SALU_CYCLE_1)
	s_and_not1_b32 vcc_lo, exec_lo, s0
	s_cbranch_vccnz .LBB126_2061
; %bb.2060:
	global_load_u16 v7, v[0:1], off
	s_and_not1_b32 s0, s9, exec_lo
	s_waitcnt vmcnt(0)
	v_cmp_ne_u16_e32 vcc_lo, 0, v7
	s_and_b32 s9, vcc_lo, exec_lo
	s_delay_alu instid0(SALU_CYCLE_1)
	s_or_b32 s9, s0, s9
.LBB126_2061:
	s_mov_b32 s0, 0
.LBB126_2062:
	s_delay_alu instid0(SALU_CYCLE_1)
	s_and_not1_b32 vcc_lo, exec_lo, s0
	s_cbranch_vccnz .LBB126_2068
; %bb.2063:
	v_cmp_lt_i16_e32 vcc_lo, 0, v3
	s_mov_b32 s0, 0
	s_cbranch_vccz .LBB126_2065
; %bb.2064:
	global_load_u8 v7, v[0:1], off
	s_waitcnt vmcnt(0)
	v_cmp_ne_u16_e32 vcc_lo, 0, v7
	s_and_b32 s9, vcc_lo, exec_lo
	s_branch .LBB126_2066
.LBB126_2065:
	s_mov_b32 s0, -1
                                        ; implicit-def: $sgpr9
.LBB126_2066:
	s_delay_alu instid0(SALU_CYCLE_1)
	s_and_not1_b32 vcc_lo, exec_lo, s0
	s_cbranch_vccnz .LBB126_2068
; %bb.2067:
	global_load_u8 v0, v[0:1], off
	s_and_not1_b32 s0, s9, exec_lo
	s_waitcnt vmcnt(0)
	v_cmp_ne_u16_e32 vcc_lo, 0, v0
	s_and_b32 s9, vcc_lo, exec_lo
	s_delay_alu instid0(SALU_CYCLE_1)
	s_or_b32 s9, s0, s9
.LBB126_2068:
	s_mov_b32 s18, -1
.LBB126_2069:
	s_delay_alu instid0(SALU_CYCLE_1)
	s_and_not1_b32 vcc_lo, exec_lo, s18
	s_cbranch_vccnz .LBB126_3037
; %bb.2070:
	v_add_nc_u32_e32 v8, s14, v8
	v_cmp_gt_i16_e32 vcc_lo, 11, v5
	s_delay_alu instid0(VALU_DEP_2) | instskip(SKIP_1) | instid1(VALU_DEP_1)
	v_ashrrev_i32_e32 v1, 31, v8
	v_add_co_u32 v0, s0, s6, v8
	v_add_co_ci_u32_e64 v1, s0, s7, v1, s0
	s_cbranch_vccnz .LBB126_2077
; %bb.2071:
	v_cmp_lt_i16_e32 vcc_lo, 25, v5
	s_mov_b32 s10, 0
	s_cbranch_vccz .LBB126_2078
; %bb.2072:
	v_cmp_lt_i16_e32 vcc_lo, 28, v5
	s_cbranch_vccz .LBB126_2079
; %bb.2073:
	v_cmp_lt_i16_e32 vcc_lo, 43, v5
	;; [unrolled: 3-line block ×3, first 2 shown]
	s_cbranch_vccz .LBB126_2083
; %bb.2075:
	v_cmp_eq_u16_e32 vcc_lo, 46, v5
	s_mov_b32 s19, 0
	s_cbranch_vccz .LBB126_2086
; %bb.2076:
	global_load_b32 v7, v[0:1], off
	s_mov_b32 s0, 0
	s_mov_b32 s18, -1
	s_waitcnt vmcnt(0)
	v_lshlrev_b32_e32 v7, 16, v7
	s_branch .LBB126_2088
.LBB126_2077:
	s_mov_b32 s0, -1
	s_mov_b32 s18, 0
                                        ; implicit-def: $vgpr7
	s_branch .LBB126_2154
.LBB126_2078:
	s_mov_b32 s19, -1
	s_mov_b32 s18, 0
	s_mov_b32 s0, 0
                                        ; implicit-def: $vgpr7
	s_branch .LBB126_2117
.LBB126_2079:
	s_mov_b32 s19, -1
	s_mov_b32 s18, 0
	s_mov_b32 s0, 0
                                        ; implicit-def: $vgpr7
	s_branch .LBB126_2098
.LBB126_2080:
	s_mov_b32 s19, -1
	s_mov_b32 s18, 0
	s_mov_b32 s0, 0
                                        ; implicit-def: $vgpr7
	s_branch .LBB126_2093
.LBB126_2081:
	s_cbranch_execnz .LBB126_2084
; %bb.2082:
	s_mov_b32 s18, 0
	s_and_not1_b32 s9, s9, exec_lo
	s_or_b32 s13, s13, exec_lo
	s_cbranch_execz .LBB126_2018
	s_branch .LBB126_2019
.LBB126_2083:
	s_mov_b32 s19, -1
	s_mov_b32 s18, 0
	s_mov_b32 s0, 0
	s_branch .LBB126_2087
.LBB126_2084:
	s_trap 2
	s_sendmsg_rtn_b32 s0, sendmsg(MSG_RTN_GET_DOORBELL)
	s_mov_b32 ttmp2, m0
	s_waitcnt lgkmcnt(0)
	s_and_b32 s0, s0, 0x3ff
	s_delay_alu instid0(SALU_CYCLE_1) | instskip(NEXT) | instid1(SALU_CYCLE_1)
	s_bitset1_b32 s0, 10
	s_mov_b32 m0, s0
	s_sendmsg sendmsg(MSG_INTERRUPT)
	s_mov_b32 m0, ttmp2
.LBB126_2085:                           ; =>This Inner Loop Header: Depth=1
	s_sethalt 5
	s_branch .LBB126_2085
.LBB126_2086:
	s_mov_b32 s0, -1
	s_mov_b32 s18, 0
.LBB126_2087:
                                        ; implicit-def: $vgpr7
.LBB126_2088:
	s_and_b32 vcc_lo, exec_lo, s19
	s_cbranch_vccz .LBB126_2092
; %bb.2089:
	v_cmp_eq_u16_e32 vcc_lo, 44, v5
	s_cbranch_vccz .LBB126_2091
; %bb.2090:
	global_load_u8 v7, v[0:1], off
	s_mov_b32 s0, 0
	s_mov_b32 s18, -1
	s_waitcnt vmcnt(0)
	v_lshlrev_b32_e32 v10, 23, v7
	v_cmp_ne_u32_e32 vcc_lo, 0xff, v7
	s_delay_alu instid0(VALU_DEP_2) | instskip(SKIP_1) | instid1(VALU_DEP_2)
	v_cndmask_b32_e32 v10, 0x7f800001, v10, vcc_lo
	v_cmp_ne_u32_e32 vcc_lo, 0, v7
	v_cndmask_b32_e32 v7, 0x400000, v10, vcc_lo
	s_branch .LBB126_2092
.LBB126_2091:
	s_mov_b32 s0, -1
                                        ; implicit-def: $vgpr7
.LBB126_2092:
	s_mov_b32 s19, 0
.LBB126_2093:
	s_delay_alu instid0(SALU_CYCLE_1)
	s_and_b32 vcc_lo, exec_lo, s19
	s_cbranch_vccz .LBB126_2097
; %bb.2094:
	v_cmp_eq_u16_e32 vcc_lo, 29, v5
	s_cbranch_vccz .LBB126_2096
; %bb.2095:
	global_load_b64 v[10:11], v[0:1], off
	s_mov_b32 s0, 0
	s_mov_b32 s18, -1
	s_mov_b32 s19, 0
	s_waitcnt vmcnt(0)
	v_clz_i32_u32_e32 v7, v11
	s_delay_alu instid0(VALU_DEP_1) | instskip(NEXT) | instid1(VALU_DEP_1)
	v_min_u32_e32 v7, 32, v7
	v_lshlrev_b64 v[10:11], v7, v[10:11]
	v_sub_nc_u32_e32 v7, 32, v7
	s_delay_alu instid0(VALU_DEP_2) | instskip(NEXT) | instid1(VALU_DEP_1)
	v_min_u32_e32 v10, 1, v10
	v_or_b32_e32 v10, v11, v10
	s_delay_alu instid0(VALU_DEP_1) | instskip(NEXT) | instid1(VALU_DEP_1)
	v_cvt_f32_u32_e32 v10, v10
	v_ldexp_f32 v7, v10, v7
	s_branch .LBB126_2098
.LBB126_2096:
	s_mov_b32 s0, -1
                                        ; implicit-def: $vgpr7
.LBB126_2097:
	s_mov_b32 s19, 0
.LBB126_2098:
	s_delay_alu instid0(SALU_CYCLE_1)
	s_and_b32 vcc_lo, exec_lo, s19
	s_cbranch_vccz .LBB126_2116
; %bb.2099:
	v_cmp_gt_i16_e32 vcc_lo, 27, v5
	s_cbranch_vccnz .LBB126_2102
; %bb.2100:
	v_cmp_lt_i16_e32 vcc_lo, 27, v5
	s_cbranch_vccz .LBB126_2103
; %bb.2101:
	global_load_b32 v7, v[0:1], off
	s_mov_b32 s18, 0
	s_waitcnt vmcnt(0)
	v_cvt_f32_u32_e32 v7, v7
	s_branch .LBB126_2104
.LBB126_2102:
	s_mov_b32 s18, -1
                                        ; implicit-def: $vgpr7
	s_branch .LBB126_2107
.LBB126_2103:
	s_mov_b32 s18, -1
                                        ; implicit-def: $vgpr7
.LBB126_2104:
	s_delay_alu instid0(SALU_CYCLE_1)
	s_and_not1_b32 vcc_lo, exec_lo, s18
	s_cbranch_vccnz .LBB126_2106
; %bb.2105:
	global_load_u16 v7, v[0:1], off
	s_waitcnt vmcnt(0)
	v_cvt_f32_u32_e32 v7, v7
.LBB126_2106:
	s_mov_b32 s18, 0
.LBB126_2107:
	s_delay_alu instid0(SALU_CYCLE_1)
	s_and_not1_b32 vcc_lo, exec_lo, s18
	s_cbranch_vccnz .LBB126_2115
; %bb.2108:
	global_load_u8 v10, v[0:1], off
	s_mov_b32 s18, 0
	s_mov_b32 s20, exec_lo
                                        ; implicit-def: $sgpr19
	s_waitcnt vmcnt(0)
	v_cmpx_lt_i16_e32 0x7f, v10
	s_xor_b32 s20, exec_lo, s20
	s_cbranch_execz .LBB126_2129
; %bb.2109:
	s_mov_b32 s18, -1
	s_mov_b32 s21, exec_lo
                                        ; implicit-def: $sgpr19
	v_cmpx_eq_u16_e32 0x80, v10
; %bb.2110:
	s_mov_b32 s19, 0x7f800001
	s_xor_b32 s18, exec_lo, -1
; %bb.2111:
	s_or_b32 exec_lo, exec_lo, s21
	s_delay_alu instid0(SALU_CYCLE_1)
	s_and_b32 s18, s18, exec_lo
	s_or_saveexec_b32 s20, s20
	v_mov_b32_e32 v7, s19
	s_xor_b32 exec_lo, exec_lo, s20
	s_cbranch_execnz .LBB126_2130
.LBB126_2112:
	s_or_b32 exec_lo, exec_lo, s20
	s_and_saveexec_b32 s19, s18
	s_cbranch_execz .LBB126_2114
.LBB126_2113:
	v_and_b32_e32 v7, 0xffff, v10
	s_delay_alu instid0(VALU_DEP_1) | instskip(NEXT) | instid1(VALU_DEP_1)
	v_and_b32_e32 v11, 7, v7
	v_clz_i32_u32_e32 v12, v11
	s_delay_alu instid0(VALU_DEP_1) | instskip(NEXT) | instid1(VALU_DEP_1)
	v_min_u32_e32 v12, 32, v12
	v_subrev_nc_u32_e32 v13, 28, v12
	v_sub_nc_u32_e32 v12, 29, v12
	s_delay_alu instid0(VALU_DEP_2) | instskip(SKIP_1) | instid1(VALU_DEP_2)
	v_lshlrev_b32_e32 v13, v13, v7
	v_bfe_u32 v7, v7, 3, 4
	v_and_b32_e32 v13, 7, v13
	s_delay_alu instid0(VALU_DEP_2) | instskip(SKIP_1) | instid1(VALU_DEP_1)
	v_cmp_eq_u32_e32 vcc_lo, 0, v7
	v_dual_cndmask_b32 v7, v7, v12 :: v_dual_lshlrev_b32 v10, 24, v10
	v_dual_cndmask_b32 v11, v11, v13 :: v_dual_and_b32 v10, 0x80000000, v10
	s_delay_alu instid0(VALU_DEP_2) | instskip(NEXT) | instid1(VALU_DEP_2)
	v_lshl_add_u32 v7, v7, 23, 0x3b800000
	v_lshlrev_b32_e32 v11, 20, v11
	s_delay_alu instid0(VALU_DEP_1)
	v_or3_b32 v7, v10, v7, v11
.LBB126_2114:
	s_or_b32 exec_lo, exec_lo, s19
.LBB126_2115:
	s_mov_b32 s18, -1
.LBB126_2116:
	s_mov_b32 s19, 0
.LBB126_2117:
	s_delay_alu instid0(SALU_CYCLE_1)
	s_and_b32 vcc_lo, exec_lo, s19
	s_cbranch_vccz .LBB126_2150
; %bb.2118:
	v_cmp_lt_i16_e32 vcc_lo, 22, v5
	s_cbranch_vccz .LBB126_2128
; %bb.2119:
	v_cmp_gt_i16_e32 vcc_lo, 24, v5
	s_cbranch_vccnz .LBB126_2131
; %bb.2120:
	v_cmp_lt_i16_e32 vcc_lo, 24, v5
	s_cbranch_vccz .LBB126_2132
; %bb.2121:
	global_load_u8 v10, v[0:1], off
	s_mov_b32 s19, exec_lo
                                        ; implicit-def: $sgpr18
	s_waitcnt vmcnt(0)
	v_cmpx_lt_i16_e32 0x7f, v10
	s_xor_b32 s19, exec_lo, s19
	s_cbranch_execz .LBB126_2144
; %bb.2122:
	s_mov_b32 s10, -1
	s_mov_b32 s20, exec_lo
                                        ; implicit-def: $sgpr18
	v_cmpx_eq_u16_e32 0x80, v10
; %bb.2123:
	s_mov_b32 s18, 0x7f800001
	s_xor_b32 s10, exec_lo, -1
; %bb.2124:
	s_or_b32 exec_lo, exec_lo, s20
	s_delay_alu instid0(SALU_CYCLE_1)
	s_and_b32 s10, s10, exec_lo
	s_or_saveexec_b32 s19, s19
	v_mov_b32_e32 v7, s18
	s_xor_b32 exec_lo, exec_lo, s19
	s_cbranch_execnz .LBB126_2145
.LBB126_2125:
	s_or_b32 exec_lo, exec_lo, s19
	s_and_saveexec_b32 s18, s10
	s_cbranch_execz .LBB126_2127
.LBB126_2126:
	v_and_b32_e32 v7, 0xffff, v10
	s_delay_alu instid0(VALU_DEP_1) | instskip(NEXT) | instid1(VALU_DEP_1)
	v_and_b32_e32 v11, 3, v7
	v_clz_i32_u32_e32 v12, v11
	s_delay_alu instid0(VALU_DEP_1) | instskip(NEXT) | instid1(VALU_DEP_1)
	v_min_u32_e32 v12, 32, v12
	v_subrev_nc_u32_e32 v13, 29, v12
	v_sub_nc_u32_e32 v12, 30, v12
	s_delay_alu instid0(VALU_DEP_2) | instskip(SKIP_1) | instid1(VALU_DEP_2)
	v_lshlrev_b32_e32 v13, v13, v7
	v_bfe_u32 v7, v7, 2, 5
	v_and_b32_e32 v13, 3, v13
	s_delay_alu instid0(VALU_DEP_2) | instskip(SKIP_1) | instid1(VALU_DEP_1)
	v_cmp_eq_u32_e32 vcc_lo, 0, v7
	v_dual_cndmask_b32 v7, v7, v12 :: v_dual_lshlrev_b32 v10, 24, v10
	v_dual_cndmask_b32 v11, v11, v13 :: v_dual_and_b32 v10, 0x80000000, v10
	s_delay_alu instid0(VALU_DEP_2) | instskip(NEXT) | instid1(VALU_DEP_2)
	v_lshl_add_u32 v7, v7, 23, 0x37800000
	v_lshlrev_b32_e32 v11, 21, v11
	s_delay_alu instid0(VALU_DEP_1)
	v_or3_b32 v7, v10, v7, v11
.LBB126_2127:
	s_or_b32 exec_lo, exec_lo, s18
	s_mov_b32 s10, 0
	s_branch .LBB126_2133
.LBB126_2128:
	s_mov_b32 s10, -1
                                        ; implicit-def: $vgpr7
	s_branch .LBB126_2139
.LBB126_2129:
	s_or_saveexec_b32 s20, s20
	v_mov_b32_e32 v7, s19
	s_xor_b32 exec_lo, exec_lo, s20
	s_cbranch_execz .LBB126_2112
.LBB126_2130:
	v_cmp_ne_u16_e32 vcc_lo, 0, v10
	v_mov_b32_e32 v7, 0
	s_and_not1_b32 s18, s18, exec_lo
	s_and_b32 s19, vcc_lo, exec_lo
	s_delay_alu instid0(SALU_CYCLE_1)
	s_or_b32 s18, s18, s19
	s_or_b32 exec_lo, exec_lo, s20
	s_and_saveexec_b32 s19, s18
	s_cbranch_execnz .LBB126_2113
	s_branch .LBB126_2114
.LBB126_2131:
	s_mov_b32 s10, -1
                                        ; implicit-def: $vgpr7
	s_branch .LBB126_2136
.LBB126_2132:
	s_mov_b32 s10, -1
                                        ; implicit-def: $vgpr7
.LBB126_2133:
	s_delay_alu instid0(SALU_CYCLE_1)
	s_and_b32 vcc_lo, exec_lo, s10
	s_cbranch_vccz .LBB126_2135
; %bb.2134:
	global_load_u8 v7, v[0:1], off
	s_waitcnt vmcnt(0)
	v_lshlrev_b32_e32 v7, 24, v7
	s_delay_alu instid0(VALU_DEP_1) | instskip(NEXT) | instid1(VALU_DEP_1)
	v_and_b32_e32 v10, 0x7f000000, v7
	v_clz_i32_u32_e32 v11, v10
	v_cmp_ne_u32_e32 vcc_lo, 0, v10
	v_add_nc_u32_e32 v13, 0x1000000, v10
	s_delay_alu instid0(VALU_DEP_3) | instskip(NEXT) | instid1(VALU_DEP_1)
	v_min_u32_e32 v11, 32, v11
	v_sub_nc_u32_e64 v11, v11, 4 clamp
	s_delay_alu instid0(VALU_DEP_1) | instskip(SKIP_1) | instid1(VALU_DEP_2)
	v_lshlrev_b32_e32 v12, v11, v10
	v_lshlrev_b32_e32 v11, 23, v11
	v_lshrrev_b32_e32 v12, 4, v12
	s_delay_alu instid0(VALU_DEP_1) | instskip(SKIP_1) | instid1(VALU_DEP_2)
	v_sub_nc_u32_e32 v11, v12, v11
	v_ashrrev_i32_e32 v12, 8, v13
	v_add_nc_u32_e32 v11, 0x3c000000, v11
	s_delay_alu instid0(VALU_DEP_1) | instskip(NEXT) | instid1(VALU_DEP_1)
	v_and_or_b32 v11, 0x7f800000, v12, v11
	v_cndmask_b32_e32 v10, 0, v11, vcc_lo
	s_delay_alu instid0(VALU_DEP_1)
	v_and_or_b32 v7, 0x80000000, v7, v10
.LBB126_2135:
	s_mov_b32 s10, 0
.LBB126_2136:
	s_delay_alu instid0(SALU_CYCLE_1)
	s_and_not1_b32 vcc_lo, exec_lo, s10
	s_cbranch_vccnz .LBB126_2138
; %bb.2137:
	global_load_u8 v7, v[0:1], off
	s_waitcnt vmcnt(0)
	v_lshlrev_b32_e32 v10, 25, v7
	v_lshlrev_b16 v7, 8, v7
	s_delay_alu instid0(VALU_DEP_2) | instskip(NEXT) | instid1(VALU_DEP_2)
	v_lshrrev_b32_e32 v11, 4, v10
	v_and_or_b32 v12, 0x7f00, v7, 0.5
	v_cmp_gt_u32_e32 vcc_lo, 0x8000000, v10
	v_bfe_i32 v7, v7, 0, 16
	s_delay_alu instid0(VALU_DEP_4) | instskip(NEXT) | instid1(VALU_DEP_1)
	v_or_b32_e32 v11, 0x70000000, v11
	v_dual_add_f32 v12, -0.5, v12 :: v_dual_mul_f32 v11, 0x7800000, v11
	s_delay_alu instid0(VALU_DEP_1) | instskip(NEXT) | instid1(VALU_DEP_1)
	v_cndmask_b32_e32 v10, v11, v12, vcc_lo
	v_and_or_b32 v7, 0x80000000, v7, v10
.LBB126_2138:
	s_mov_b32 s10, 0
	s_mov_b32 s18, -1
.LBB126_2139:
	s_and_not1_b32 vcc_lo, exec_lo, s10
	s_mov_b32 s10, 0
	s_cbranch_vccnz .LBB126_2150
; %bb.2140:
	v_cmp_lt_i16_e32 vcc_lo, 14, v5
	s_cbranch_vccz .LBB126_2143
; %bb.2141:
	v_cmp_eq_u16_e32 vcc_lo, 15, v5
	s_cbranch_vccz .LBB126_2146
; %bb.2142:
	global_load_u16 v7, v[0:1], off
	s_mov_b32 s0, 0
	s_mov_b32 s18, -1
	s_waitcnt vmcnt(0)
	v_lshlrev_b32_e32 v7, 16, v7
	s_branch .LBB126_2148
.LBB126_2143:
	s_mov_b32 s10, -1
	s_branch .LBB126_2147
.LBB126_2144:
	s_or_saveexec_b32 s19, s19
	v_mov_b32_e32 v7, s18
	s_xor_b32 exec_lo, exec_lo, s19
	s_cbranch_execz .LBB126_2125
.LBB126_2145:
	v_cmp_ne_u16_e32 vcc_lo, 0, v10
	v_mov_b32_e32 v7, 0
	s_and_not1_b32 s10, s10, exec_lo
	s_and_b32 s18, vcc_lo, exec_lo
	s_delay_alu instid0(SALU_CYCLE_1)
	s_or_b32 s10, s10, s18
	s_or_b32 exec_lo, exec_lo, s19
	s_and_saveexec_b32 s18, s10
	s_cbranch_execnz .LBB126_2126
	s_branch .LBB126_2127
.LBB126_2146:
	s_mov_b32 s0, -1
.LBB126_2147:
                                        ; implicit-def: $vgpr7
.LBB126_2148:
	s_and_b32 vcc_lo, exec_lo, s10
	s_mov_b32 s10, 0
	s_cbranch_vccz .LBB126_2150
; %bb.2149:
	v_cmp_ne_u16_e64 s0, 11, v5
	s_mov_b32 s10, -1
                                        ; implicit-def: $vgpr7
.LBB126_2150:
	s_delay_alu instid0(VALU_DEP_1)
	s_and_b32 vcc_lo, exec_lo, s0
	s_cbranch_vccnz .LBB126_2215
; %bb.2151:
	s_and_not1_b32 vcc_lo, exec_lo, s10
	s_cbranch_vccnz .LBB126_2153
.LBB126_2152:
	global_load_u8 v7, v[0:1], off
	s_mov_b32 s18, -1
	s_waitcnt vmcnt(0)
	v_cmp_ne_u16_e32 vcc_lo, 0, v7
	v_cndmask_b32_e64 v7, 0, 1.0, vcc_lo
.LBB126_2153:
	s_mov_b32 s0, 0
.LBB126_2154:
	s_delay_alu instid0(SALU_CYCLE_1)
	s_and_b32 vcc_lo, exec_lo, s0
	s_cbranch_vccz .LBB126_2203
; %bb.2155:
	v_cmp_gt_i16_e32 vcc_lo, 5, v5
	s_cbranch_vccnz .LBB126_2160
; %bb.2156:
	v_cmp_gt_i16_e32 vcc_lo, 8, v5
	s_cbranch_vccnz .LBB126_2161
	;; [unrolled: 3-line block ×3, first 2 shown]
; %bb.2158:
	v_cmp_lt_i16_e32 vcc_lo, 9, v5
	s_cbranch_vccz .LBB126_2163
; %bb.2159:
	global_load_b64 v[10:11], v[0:1], off
	s_mov_b32 s0, 0
	s_waitcnt vmcnt(0)
	v_cvt_f32_f64_e32 v7, v[10:11]
	s_branch .LBB126_2164
.LBB126_2160:
	s_mov_b32 s0, -1
                                        ; implicit-def: $vgpr7
	s_branch .LBB126_2182
.LBB126_2161:
	s_mov_b32 s0, -1
                                        ; implicit-def: $vgpr7
	s_branch .LBB126_2170
.LBB126_2162:
	s_mov_b32 s0, -1
                                        ; implicit-def: $vgpr7
	s_branch .LBB126_2167
.LBB126_2163:
	s_mov_b32 s0, -1
                                        ; implicit-def: $vgpr7
.LBB126_2164:
	s_delay_alu instid0(SALU_CYCLE_1)
	s_and_not1_b32 vcc_lo, exec_lo, s0
	s_cbranch_vccnz .LBB126_2166
; %bb.2165:
	global_load_b32 v7, v[0:1], off
.LBB126_2166:
	s_mov_b32 s0, 0
.LBB126_2167:
	s_delay_alu instid0(SALU_CYCLE_1)
	s_and_not1_b32 vcc_lo, exec_lo, s0
	s_cbranch_vccnz .LBB126_2169
; %bb.2168:
	global_load_b32 v7, v[0:1], off
	s_waitcnt vmcnt(0)
	v_cvt_f32_f16_e32 v7, v7
.LBB126_2169:
	s_mov_b32 s0, 0
.LBB126_2170:
	s_delay_alu instid0(SALU_CYCLE_1)
	s_and_not1_b32 vcc_lo, exec_lo, s0
	s_cbranch_vccnz .LBB126_2181
; %bb.2171:
	v_cmp_gt_i16_e32 vcc_lo, 6, v5
	s_cbranch_vccnz .LBB126_2174
; %bb.2172:
	v_cmp_lt_i16_e32 vcc_lo, 6, v5
	s_cbranch_vccz .LBB126_2175
; %bb.2173:
	global_load_b64 v[10:11], v[0:1], off
	s_mov_b32 s0, 0
	s_waitcnt vmcnt(0)
	v_cvt_f32_f64_e32 v7, v[10:11]
	s_branch .LBB126_2176
.LBB126_2174:
	s_mov_b32 s0, -1
                                        ; implicit-def: $vgpr7
	s_branch .LBB126_2179
.LBB126_2175:
	s_mov_b32 s0, -1
                                        ; implicit-def: $vgpr7
.LBB126_2176:
	s_delay_alu instid0(SALU_CYCLE_1)
	s_and_not1_b32 vcc_lo, exec_lo, s0
	s_cbranch_vccnz .LBB126_2178
; %bb.2177:
	global_load_b32 v7, v[0:1], off
.LBB126_2178:
	s_mov_b32 s0, 0
.LBB126_2179:
	s_delay_alu instid0(SALU_CYCLE_1)
	s_and_not1_b32 vcc_lo, exec_lo, s0
	s_cbranch_vccnz .LBB126_2181
; %bb.2180:
	global_load_u16 v7, v[0:1], off
	s_waitcnt vmcnt(0)
	v_cvt_f32_f16_e32 v7, v7
.LBB126_2181:
	s_mov_b32 s0, 0
.LBB126_2182:
	s_delay_alu instid0(SALU_CYCLE_1)
	s_and_not1_b32 vcc_lo, exec_lo, s0
	s_cbranch_vccnz .LBB126_2202
; %bb.2183:
	v_cmp_gt_i16_e32 vcc_lo, 2, v5
	s_cbranch_vccnz .LBB126_2187
; %bb.2184:
	v_cmp_gt_i16_e32 vcc_lo, 3, v5
	s_cbranch_vccnz .LBB126_2188
; %bb.2185:
	v_cmp_lt_i16_e32 vcc_lo, 3, v5
	s_cbranch_vccz .LBB126_2189
; %bb.2186:
	global_load_b64 v[10:11], v[0:1], off
	s_mov_b32 s0, 0
	s_waitcnt vmcnt(0)
	v_xor_b32_e32 v7, v10, v11
	v_cls_i32_e32 v12, v11
	s_delay_alu instid0(VALU_DEP_2) | instskip(NEXT) | instid1(VALU_DEP_2)
	v_ashrrev_i32_e32 v7, 31, v7
	v_add_nc_u32_e32 v12, -1, v12
	s_delay_alu instid0(VALU_DEP_2) | instskip(NEXT) | instid1(VALU_DEP_1)
	v_add_nc_u32_e32 v7, 32, v7
	v_min_u32_e32 v7, v12, v7
	s_delay_alu instid0(VALU_DEP_1) | instskip(SKIP_1) | instid1(VALU_DEP_2)
	v_lshlrev_b64 v[10:11], v7, v[10:11]
	v_sub_nc_u32_e32 v7, 32, v7
	v_min_u32_e32 v10, 1, v10
	s_delay_alu instid0(VALU_DEP_1) | instskip(NEXT) | instid1(VALU_DEP_1)
	v_or_b32_e32 v10, v11, v10
	v_cvt_f32_i32_e32 v10, v10
	s_delay_alu instid0(VALU_DEP_1)
	v_ldexp_f32 v7, v10, v7
	s_branch .LBB126_2190
.LBB126_2187:
	s_mov_b32 s0, -1
                                        ; implicit-def: $vgpr7
	s_branch .LBB126_2196
.LBB126_2188:
	s_mov_b32 s0, -1
                                        ; implicit-def: $vgpr7
	s_branch .LBB126_2193
.LBB126_2189:
	s_mov_b32 s0, -1
                                        ; implicit-def: $vgpr7
.LBB126_2190:
	s_delay_alu instid0(SALU_CYCLE_1)
	s_and_not1_b32 vcc_lo, exec_lo, s0
	s_cbranch_vccnz .LBB126_2192
; %bb.2191:
	global_load_b32 v7, v[0:1], off
	s_waitcnt vmcnt(0)
	v_cvt_f32_i32_e32 v7, v7
.LBB126_2192:
	s_mov_b32 s0, 0
.LBB126_2193:
	s_delay_alu instid0(SALU_CYCLE_1)
	s_and_not1_b32 vcc_lo, exec_lo, s0
	s_cbranch_vccnz .LBB126_2195
; %bb.2194:
	global_load_i16 v7, v[0:1], off
	s_waitcnt vmcnt(0)
	v_cvt_f32_i32_e32 v7, v7
.LBB126_2195:
	s_mov_b32 s0, 0
.LBB126_2196:
	s_delay_alu instid0(SALU_CYCLE_1)
	s_and_not1_b32 vcc_lo, exec_lo, s0
	s_cbranch_vccnz .LBB126_2202
; %bb.2197:
	v_cmp_lt_i16_e32 vcc_lo, 0, v5
	s_mov_b32 s0, 0
	s_cbranch_vccz .LBB126_2199
; %bb.2198:
	global_load_i8 v7, v[0:1], off
	s_waitcnt vmcnt(0)
	v_cvt_f32_i32_e32 v7, v7
	s_branch .LBB126_2200
.LBB126_2199:
	s_mov_b32 s0, -1
                                        ; implicit-def: $vgpr7
.LBB126_2200:
	s_delay_alu instid0(SALU_CYCLE_1)
	s_and_not1_b32 vcc_lo, exec_lo, s0
	s_cbranch_vccnz .LBB126_2202
; %bb.2201:
	global_load_u8 v0, v[0:1], off
	s_waitcnt vmcnt(0)
	v_cvt_f32_ubyte0_e32 v7, v0
.LBB126_2202:
	s_mov_b32 s18, -1
.LBB126_2203:
	s_delay_alu instid0(SALU_CYCLE_1)
	s_and_not1_b32 vcc_lo, exec_lo, s18
	s_cbranch_vccnz .LBB126_3037
; %bb.2204:
	v_add_nc_u32_e32 v9, s17, v9
	v_cmp_gt_i16_e32 vcc_lo, 11, v3
	s_delay_alu instid0(VALU_DEP_2) | instskip(SKIP_1) | instid1(VALU_DEP_1)
	v_ashrrev_i32_e32 v1, 31, v9
	v_add_co_u32 v0, s0, s2, v9
	v_add_co_ci_u32_e64 v1, s0, s3, v1, s0
	s_cbranch_vccnz .LBB126_2211
; %bb.2205:
	v_cmp_lt_i16_e32 vcc_lo, 25, v3
	s_mov_b32 s0, 0
	s_cbranch_vccz .LBB126_2212
; %bb.2206:
	v_cmp_lt_i16_e32 vcc_lo, 28, v3
	s_cbranch_vccz .LBB126_2213
; %bb.2207:
	v_cmp_lt_i16_e32 vcc_lo, 43, v3
	;; [unrolled: 3-line block ×3, first 2 shown]
	s_cbranch_vccz .LBB126_2217
; %bb.2209:
	v_cmp_eq_u16_e32 vcc_lo, 46, v3
	s_mov_b32 s20, 0
	s_cbranch_vccz .LBB126_2222
; %bb.2210:
	global_load_b32 v10, v[0:1], off
	s_mov_b32 s18, 0
	s_mov_b32 s19, -1
	s_waitcnt vmcnt(0)
	v_and_b32_e32 v10, 0x7fff7fff, v10
	s_delay_alu instid0(VALU_DEP_1)
	v_cmp_ne_u32_e32 vcc_lo, 0, v10
	s_and_b32 s10, vcc_lo, exec_lo
	s_branch .LBB126_2224
.LBB126_2211:
	s_mov_b32 s0, -1
	s_mov_b32 s19, 0
                                        ; implicit-def: $sgpr10
	s_branch .LBB126_2288
.LBB126_2212:
	s_mov_b32 s20, -1
	s_mov_b32 s19, 0
	s_mov_b32 s18, 0
                                        ; implicit-def: $sgpr10
	s_branch .LBB126_2251
.LBB126_2213:
	s_mov_b32 s20, -1
	s_mov_b32 s19, 0
	s_mov_b32 s18, 0
                                        ; implicit-def: $sgpr10
	s_branch .LBB126_2232
.LBB126_2214:
	s_mov_b32 s20, -1
	s_mov_b32 s19, 0
	s_mov_b32 s18, 0
                                        ; implicit-def: $sgpr10
	s_branch .LBB126_2227
.LBB126_2215:
	s_cbranch_execnz .LBB126_2218
; %bb.2216:
	s_or_b32 s13, s13, exec_lo
                                        ; implicit-def: $vgpr7
	s_cbranch_execz .LBB126_2152
	s_branch .LBB126_2153
.LBB126_2217:
	s_mov_b32 s20, -1
	s_mov_b32 s19, 0
	s_mov_b32 s18, 0
	s_branch .LBB126_2223
.LBB126_2218:
	s_trap 2
	s_sendmsg_rtn_b32 s0, sendmsg(MSG_RTN_GET_DOORBELL)
	s_mov_b32 ttmp2, m0
	s_waitcnt lgkmcnt(0)
	s_and_b32 s0, s0, 0x3ff
	s_delay_alu instid0(SALU_CYCLE_1) | instskip(NEXT) | instid1(SALU_CYCLE_1)
	s_bitset1_b32 s0, 10
	s_mov_b32 m0, s0
	s_sendmsg sendmsg(MSG_INTERRUPT)
	s_mov_b32 m0, ttmp2
.LBB126_2219:                           ; =>This Inner Loop Header: Depth=1
	s_sethalt 5
	s_branch .LBB126_2219
.LBB126_2220:
	s_or_saveexec_b32 s29, s29
                                        ; implicit-def: $sgpr30
	s_delay_alu instid0(SALU_CYCLE_1)
	s_xor_b32 exec_lo, exec_lo, s29
	s_cbranch_execz .LBB126_1078
.LBB126_2221:
	v_add_f32_e64 v3, 0x42800000, |v2|
	s_and_not1_b32 s28, s28, exec_lo
	s_mov_b32 s30, 0
	s_delay_alu instid0(VALU_DEP_1) | instskip(NEXT) | instid1(VALU_DEP_1)
	v_and_b32_e32 v3, 0xff, v3
	v_cmp_ne_u32_e32 vcc_lo, 0, v3
	s_and_b32 s31, vcc_lo, exec_lo
	s_delay_alu instid0(SALU_CYCLE_1)
	s_or_b32 s28, s28, s31
	s_or_b32 exec_lo, exec_lo, s29
	v_mov_b32_e32 v6, s30
	s_and_saveexec_b32 s29, s28
	s_cbranch_execnz .LBB126_1079
	s_branch .LBB126_1080
.LBB126_2222:
	s_mov_b32 s18, -1
	s_mov_b32 s19, 0
.LBB126_2223:
                                        ; implicit-def: $sgpr10
.LBB126_2224:
	s_and_b32 vcc_lo, exec_lo, s20
	s_cbranch_vccz .LBB126_2226
; %bb.2225:
	v_cmp_ne_u16_e64 s18, 44, v3
	s_mov_b32 s19, -1
	s_or_b32 s10, s10, exec_lo
.LBB126_2226:
	s_mov_b32 s20, 0
.LBB126_2227:
	s_delay_alu instid0(SALU_CYCLE_1)
	s_and_b32 vcc_lo, exec_lo, s20
	s_cbranch_vccz .LBB126_2231
; %bb.2228:
	v_cmp_eq_u16_e32 vcc_lo, 29, v3
	s_cbranch_vccz .LBB126_2230
; %bb.2229:
	global_load_b64 v[10:11], v[0:1], off
	s_mov_b32 s18, 0
	s_mov_b32 s19, -1
	s_mov_b32 s20, 0
	s_waitcnt vmcnt(0)
	v_cmp_ne_u64_e32 vcc_lo, 0, v[10:11]
	s_and_b32 s10, vcc_lo, exec_lo
	s_branch .LBB126_2232
.LBB126_2230:
	s_mov_b32 s18, -1
                                        ; implicit-def: $sgpr10
.LBB126_2231:
	s_mov_b32 s20, 0
.LBB126_2232:
	s_delay_alu instid0(SALU_CYCLE_1)
	s_and_b32 vcc_lo, exec_lo, s20
	s_cbranch_vccz .LBB126_2250
; %bb.2233:
	v_cmp_gt_i16_e32 vcc_lo, 27, v3
	s_cbranch_vccnz .LBB126_2236
; %bb.2234:
	v_cmp_lt_i16_e32 vcc_lo, 27, v3
	s_cbranch_vccz .LBB126_2237
; %bb.2235:
	global_load_b32 v10, v[0:1], off
	s_mov_b32 s19, 0
	s_waitcnt vmcnt(0)
	v_cmp_ne_u32_e32 vcc_lo, 0, v10
	s_and_b32 s10, vcc_lo, exec_lo
	s_branch .LBB126_2238
.LBB126_2236:
	s_mov_b32 s19, -1
                                        ; implicit-def: $sgpr10
	s_branch .LBB126_2241
.LBB126_2237:
	s_mov_b32 s19, -1
                                        ; implicit-def: $sgpr10
.LBB126_2238:
	s_delay_alu instid0(SALU_CYCLE_1)
	s_and_not1_b32 vcc_lo, exec_lo, s19
	s_cbranch_vccnz .LBB126_2240
; %bb.2239:
	global_load_u16 v10, v[0:1], off
	s_and_not1_b32 s10, s10, exec_lo
	s_waitcnt vmcnt(0)
	v_cmp_ne_u16_e32 vcc_lo, 0, v10
	s_and_b32 s19, vcc_lo, exec_lo
	s_delay_alu instid0(SALU_CYCLE_1)
	s_or_b32 s10, s10, s19
.LBB126_2240:
	s_mov_b32 s19, 0
.LBB126_2241:
	s_delay_alu instid0(SALU_CYCLE_1)
	s_and_not1_b32 vcc_lo, exec_lo, s19
	s_cbranch_vccnz .LBB126_2249
; %bb.2242:
	global_load_u8 v10, v[0:1], off
	s_mov_b32 s19, 0
	s_mov_b32 s20, exec_lo
                                        ; implicit-def: $sgpr10
	s_waitcnt vmcnt(0)
	v_cmpx_lt_i16_e32 0x7f, v10
	s_xor_b32 s20, exec_lo, s20
	s_cbranch_execz .LBB126_2263
; %bb.2243:
	s_mov_b32 s19, -1
	s_mov_b32 s21, exec_lo
                                        ; implicit-def: $sgpr10
	v_cmpx_eq_u16_e32 0x80, v10
; %bb.2244:
	s_mov_b32 s10, -1
	s_xor_b32 s19, exec_lo, -1
; %bb.2245:
	s_or_b32 exec_lo, exec_lo, s21
	s_delay_alu instid0(SALU_CYCLE_1)
	s_and_b32 s19, s19, exec_lo
	s_and_not1_saveexec_b32 s20, s20
	s_cbranch_execnz .LBB126_2264
.LBB126_2246:
	s_or_b32 exec_lo, exec_lo, s20
	s_and_saveexec_b32 s20, s19
	s_cbranch_execz .LBB126_2248
.LBB126_2247:
	v_and_b32_e32 v10, 0xffff, v10
	s_and_not1_b32 s10, s10, exec_lo
	s_delay_alu instid0(VALU_DEP_1) | instskip(NEXT) | instid1(VALU_DEP_1)
	v_and_b32_e32 v11, 7, v10
	v_clz_i32_u32_e32 v12, v11
	s_delay_alu instid0(VALU_DEP_1) | instskip(NEXT) | instid1(VALU_DEP_1)
	v_min_u32_e32 v12, 32, v12
	v_subrev_nc_u32_e32 v13, 28, v12
	v_sub_nc_u32_e32 v12, 29, v12
	s_delay_alu instid0(VALU_DEP_2) | instskip(SKIP_1) | instid1(VALU_DEP_2)
	v_lshlrev_b32_e32 v13, v13, v10
	v_bfe_u32 v10, v10, 3, 4
	v_and_b32_e32 v13, 7, v13
	s_delay_alu instid0(VALU_DEP_2) | instskip(NEXT) | instid1(VALU_DEP_2)
	v_cmp_eq_u32_e32 vcc_lo, 0, v10
	v_dual_cndmask_b32 v10, v10, v12 :: v_dual_cndmask_b32 v11, v11, v13
	s_delay_alu instid0(VALU_DEP_1) | instskip(NEXT) | instid1(VALU_DEP_2)
	v_lshl_add_u32 v10, v10, 23, 0x3b800000
	v_lshlrev_b32_e32 v11, 20, v11
	s_delay_alu instid0(VALU_DEP_1) | instskip(NEXT) | instid1(VALU_DEP_1)
	v_and_or_b32 v10, 0x7f800000, v10, v11
	v_cmp_ne_u32_e32 vcc_lo, 0, v10
	s_and_b32 s19, vcc_lo, exec_lo
	s_delay_alu instid0(SALU_CYCLE_1)
	s_or_b32 s10, s10, s19
.LBB126_2248:
	s_or_b32 exec_lo, exec_lo, s20
.LBB126_2249:
	s_mov_b32 s19, -1
.LBB126_2250:
	s_mov_b32 s20, 0
.LBB126_2251:
	s_delay_alu instid0(SALU_CYCLE_1)
	s_and_b32 vcc_lo, exec_lo, s20
	s_cbranch_vccz .LBB126_2284
; %bb.2252:
	v_cmp_lt_i16_e32 vcc_lo, 22, v3
	s_cbranch_vccz .LBB126_2262
; %bb.2253:
	v_cmp_gt_i16_e32 vcc_lo, 24, v3
	s_cbranch_vccnz .LBB126_2265
; %bb.2254:
	v_cmp_lt_i16_e32 vcc_lo, 24, v3
	s_cbranch_vccz .LBB126_2266
; %bb.2255:
	global_load_u8 v10, v[0:1], off
	s_mov_b32 s19, exec_lo
                                        ; implicit-def: $sgpr10
	s_waitcnt vmcnt(0)
	v_cmpx_lt_i16_e32 0x7f, v10
	s_xor_b32 s19, exec_lo, s19
	s_cbranch_execz .LBB126_2278
; %bb.2256:
	s_mov_b32 s0, -1
	s_mov_b32 s20, exec_lo
                                        ; implicit-def: $sgpr10
	v_cmpx_eq_u16_e32 0x80, v10
; %bb.2257:
	s_mov_b32 s10, -1
	s_xor_b32 s0, exec_lo, -1
; %bb.2258:
	s_or_b32 exec_lo, exec_lo, s20
	s_delay_alu instid0(SALU_CYCLE_1)
	s_and_b32 s0, s0, exec_lo
	s_and_not1_saveexec_b32 s19, s19
	s_cbranch_execnz .LBB126_2279
.LBB126_2259:
	s_or_b32 exec_lo, exec_lo, s19
	s_and_saveexec_b32 s19, s0
	s_cbranch_execz .LBB126_2261
.LBB126_2260:
	v_and_b32_e32 v10, 0xffff, v10
	s_and_not1_b32 s0, s10, exec_lo
	s_delay_alu instid0(VALU_DEP_1) | instskip(NEXT) | instid1(VALU_DEP_1)
	v_and_b32_e32 v11, 3, v10
	v_clz_i32_u32_e32 v12, v11
	s_delay_alu instid0(VALU_DEP_1) | instskip(NEXT) | instid1(VALU_DEP_1)
	v_min_u32_e32 v12, 32, v12
	v_subrev_nc_u32_e32 v13, 29, v12
	v_sub_nc_u32_e32 v12, 30, v12
	s_delay_alu instid0(VALU_DEP_2) | instskip(SKIP_1) | instid1(VALU_DEP_2)
	v_lshlrev_b32_e32 v13, v13, v10
	v_bfe_u32 v10, v10, 2, 5
	v_and_b32_e32 v13, 3, v13
	s_delay_alu instid0(VALU_DEP_2) | instskip(NEXT) | instid1(VALU_DEP_2)
	v_cmp_eq_u32_e32 vcc_lo, 0, v10
	v_dual_cndmask_b32 v10, v10, v12 :: v_dual_cndmask_b32 v11, v11, v13
	s_delay_alu instid0(VALU_DEP_1) | instskip(NEXT) | instid1(VALU_DEP_2)
	v_lshl_add_u32 v10, v10, 23, 0x37800000
	v_lshlrev_b32_e32 v11, 21, v11
	s_delay_alu instid0(VALU_DEP_1) | instskip(NEXT) | instid1(VALU_DEP_1)
	v_and_or_b32 v10, 0x7f800000, v10, v11
	v_cmp_ne_u32_e32 vcc_lo, 0, v10
	s_and_b32 s10, vcc_lo, exec_lo
	s_delay_alu instid0(SALU_CYCLE_1)
	s_or_b32 s10, s0, s10
.LBB126_2261:
	s_or_b32 exec_lo, exec_lo, s19
	s_mov_b32 s0, 0
	s_branch .LBB126_2267
.LBB126_2262:
	s_mov_b32 s0, -1
                                        ; implicit-def: $sgpr10
	s_branch .LBB126_2273
.LBB126_2263:
	s_and_not1_saveexec_b32 s20, s20
	s_cbranch_execz .LBB126_2246
.LBB126_2264:
	v_cmp_ne_u16_e32 vcc_lo, 0, v10
	s_and_not1_b32 s19, s19, exec_lo
	s_and_not1_b32 s10, s10, exec_lo
	s_and_b32 s21, vcc_lo, exec_lo
	s_delay_alu instid0(SALU_CYCLE_1)
	s_or_b32 s19, s19, s21
	s_or_b32 exec_lo, exec_lo, s20
	s_and_saveexec_b32 s20, s19
	s_cbranch_execnz .LBB126_2247
	s_branch .LBB126_2248
.LBB126_2265:
	s_mov_b32 s0, -1
                                        ; implicit-def: $sgpr10
	s_branch .LBB126_2270
.LBB126_2266:
	s_mov_b32 s0, -1
                                        ; implicit-def: $sgpr10
.LBB126_2267:
	s_delay_alu instid0(SALU_CYCLE_1)
	s_and_b32 vcc_lo, exec_lo, s0
	s_cbranch_vccz .LBB126_2269
; %bb.2268:
	global_load_u8 v10, v[0:1], off
	s_and_not1_b32 s10, s10, exec_lo
	s_waitcnt vmcnt(0)
	v_lshlrev_b32_e32 v10, 24, v10
	s_delay_alu instid0(VALU_DEP_1) | instskip(NEXT) | instid1(VALU_DEP_1)
	v_and_b32_e32 v10, 0x7f000000, v10
	v_clz_i32_u32_e32 v11, v10
	v_add_nc_u32_e32 v13, 0x1000000, v10
	v_cmp_ne_u32_e32 vcc_lo, 0, v10
	s_delay_alu instid0(VALU_DEP_3) | instskip(NEXT) | instid1(VALU_DEP_3)
	v_min_u32_e32 v11, 32, v11
	v_ashrrev_i32_e32 v13, 8, v13
	s_delay_alu instid0(VALU_DEP_2) | instskip(NEXT) | instid1(VALU_DEP_1)
	v_sub_nc_u32_e64 v11, v11, 4 clamp
	v_lshlrev_b32_e32 v12, v11, v10
	v_lshlrev_b32_e32 v11, 23, v11
	s_delay_alu instid0(VALU_DEP_2) | instskip(NEXT) | instid1(VALU_DEP_1)
	v_lshrrev_b32_e32 v12, 4, v12
	v_sub_nc_u32_e32 v11, v12, v11
	v_and_b32_e32 v12, 0x7f800000, v13
	s_delay_alu instid0(VALU_DEP_2) | instskip(NEXT) | instid1(VALU_DEP_1)
	v_add_nc_u32_e32 v11, 0x3c000000, v11
	v_and_or_b32 v11, 0x7ff00000, v11, v12
	s_delay_alu instid0(VALU_DEP_1) | instskip(NEXT) | instid1(VALU_DEP_1)
	v_cmp_ne_u32_e64 s0, 0, v11
	s_and_b32 s0, vcc_lo, s0
	s_delay_alu instid0(SALU_CYCLE_1) | instskip(NEXT) | instid1(SALU_CYCLE_1)
	s_and_b32 s0, s0, exec_lo
	s_or_b32 s10, s10, s0
.LBB126_2269:
	s_mov_b32 s0, 0
.LBB126_2270:
	s_delay_alu instid0(SALU_CYCLE_1)
	s_and_not1_b32 vcc_lo, exec_lo, s0
	s_cbranch_vccnz .LBB126_2272
; %bb.2271:
	global_load_u8 v10, v[0:1], off
	s_and_not1_b32 s0, s10, exec_lo
	s_waitcnt vmcnt(0)
	v_lshlrev_b32_e32 v11, 25, v10
	v_lshlrev_b32_e32 v10, 8, v10
	s_delay_alu instid0(VALU_DEP_2) | instskip(NEXT) | instid1(VALU_DEP_2)
	v_lshrrev_b32_e32 v12, 4, v11
	v_and_or_b32 v10, 0x7f00, v10, 0.5
	s_delay_alu instid0(VALU_DEP_2) | instskip(NEXT) | instid1(VALU_DEP_2)
	v_or_b32_e32 v12, 0x70000000, v12
	v_add_f32_e32 v10, -0.5, v10
	s_delay_alu instid0(VALU_DEP_2) | instskip(SKIP_1) | instid1(VALU_DEP_2)
	v_mul_f32_e32 v12, 0x7800000, v12
	v_cmp_gt_u32_e32 vcc_lo, 0x8000000, v11
	v_cndmask_b32_e32 v10, v12, v10, vcc_lo
	s_delay_alu instid0(VALU_DEP_1) | instskip(SKIP_1) | instid1(SALU_CYCLE_1)
	v_cmp_neq_f32_e32 vcc_lo, 0, v10
	s_and_b32 s10, vcc_lo, exec_lo
	s_or_b32 s10, s0, s10
.LBB126_2272:
	s_mov_b32 s0, 0
	s_mov_b32 s19, -1
.LBB126_2273:
	s_and_not1_b32 vcc_lo, exec_lo, s0
	s_mov_b32 s0, 0
	s_cbranch_vccnz .LBB126_2284
; %bb.2274:
	v_cmp_lt_i16_e32 vcc_lo, 14, v3
	s_cbranch_vccz .LBB126_2277
; %bb.2275:
	v_cmp_eq_u16_e32 vcc_lo, 15, v3
	s_cbranch_vccz .LBB126_2280
; %bb.2276:
	global_load_u16 v10, v[0:1], off
	s_mov_b32 s18, 0
	s_mov_b32 s19, -1
	s_waitcnt vmcnt(0)
	v_and_b32_e32 v10, 0x7fff, v10
	s_delay_alu instid0(VALU_DEP_1)
	v_cmp_ne_u16_e32 vcc_lo, 0, v10
	s_and_b32 s10, vcc_lo, exec_lo
	s_branch .LBB126_2282
.LBB126_2277:
	s_mov_b32 s0, -1
	s_branch .LBB126_2281
.LBB126_2278:
	s_and_not1_saveexec_b32 s19, s19
	s_cbranch_execz .LBB126_2259
.LBB126_2279:
	v_cmp_ne_u16_e32 vcc_lo, 0, v10
	s_and_not1_b32 s0, s0, exec_lo
	s_and_not1_b32 s10, s10, exec_lo
	s_and_b32 s20, vcc_lo, exec_lo
	s_delay_alu instid0(SALU_CYCLE_1)
	s_or_b32 s0, s0, s20
	s_or_b32 exec_lo, exec_lo, s19
	s_and_saveexec_b32 s19, s0
	s_cbranch_execnz .LBB126_2260
	s_branch .LBB126_2261
.LBB126_2280:
	s_mov_b32 s18, -1
.LBB126_2281:
                                        ; implicit-def: $sgpr10
.LBB126_2282:
	s_and_b32 vcc_lo, exec_lo, s0
	s_mov_b32 s0, 0
	s_cbranch_vccz .LBB126_2284
; %bb.2283:
	v_cmp_ne_u16_e64 s18, 11, v3
	s_mov_b32 s0, -1
	s_and_not1_b32 s10, s10, exec_lo
.LBB126_2284:
	s_delay_alu instid0(VALU_DEP_1)
	s_and_b32 vcc_lo, exec_lo, s18
	s_cbranch_vccnz .LBB126_2349
; %bb.2285:
	s_and_not1_b32 vcc_lo, exec_lo, s0
	s_cbranch_vccnz .LBB126_2287
.LBB126_2286:
	global_load_u8 v10, v[0:1], off
	s_and_not1_b32 s0, s10, exec_lo
	s_mov_b32 s19, -1
	s_waitcnt vmcnt(0)
	v_cmp_ne_u16_e32 vcc_lo, 0, v10
	s_and_b32 s10, vcc_lo, exec_lo
	s_delay_alu instid0(SALU_CYCLE_1)
	s_or_b32 s10, s0, s10
.LBB126_2287:
	s_mov_b32 s0, 0
.LBB126_2288:
	s_delay_alu instid0(SALU_CYCLE_1)
	s_and_b32 vcc_lo, exec_lo, s0
	s_cbranch_vccz .LBB126_2337
; %bb.2289:
	v_cmp_gt_i16_e32 vcc_lo, 5, v3
	s_cbranch_vccnz .LBB126_2294
; %bb.2290:
	v_cmp_gt_i16_e32 vcc_lo, 8, v3
	s_cbranch_vccnz .LBB126_2295
	;; [unrolled: 3-line block ×3, first 2 shown]
; %bb.2292:
	v_cmp_lt_i16_e32 vcc_lo, 9, v3
	s_cbranch_vccz .LBB126_2297
; %bb.2293:
	global_load_b128 v[10:13], v[0:1], off
	s_waitcnt vmcnt(0)
	v_cmp_neq_f64_e32 vcc_lo, 0, v[10:11]
	v_cmp_neq_f64_e64 s0, 0, v[12:13]
	s_delay_alu instid0(VALU_DEP_1)
	s_or_b32 s10, vcc_lo, s0
	s_mov_b32 s0, 0
	s_and_b32 s10, s10, exec_lo
	s_branch .LBB126_2298
.LBB126_2294:
	s_mov_b32 s0, -1
                                        ; implicit-def: $sgpr10
	s_branch .LBB126_2316
.LBB126_2295:
	s_mov_b32 s0, -1
                                        ; implicit-def: $sgpr10
	s_branch .LBB126_2304
.LBB126_2296:
	s_mov_b32 s0, -1
                                        ; implicit-def: $sgpr10
	s_branch .LBB126_2301
.LBB126_2297:
	s_mov_b32 s0, -1
                                        ; implicit-def: $sgpr10
.LBB126_2298:
	s_delay_alu instid0(SALU_CYCLE_1)
	s_and_not1_b32 vcc_lo, exec_lo, s0
	s_cbranch_vccnz .LBB126_2300
; %bb.2299:
	global_load_b64 v[10:11], v[0:1], off
	s_and_not1_b32 s0, s10, exec_lo
	s_waitcnt vmcnt(0)
	v_or_b32_e32 v10, v10, v11
	s_delay_alu instid0(VALU_DEP_1) | instskip(NEXT) | instid1(VALU_DEP_1)
	v_and_b32_e32 v10, 0x7fffffff, v10
	v_cmp_ne_u32_e32 vcc_lo, 0, v10
	s_and_b32 s10, vcc_lo, exec_lo
	s_delay_alu instid0(SALU_CYCLE_1)
	s_or_b32 s10, s0, s10
.LBB126_2300:
	s_mov_b32 s0, 0
.LBB126_2301:
	s_delay_alu instid0(SALU_CYCLE_1)
	s_and_not1_b32 vcc_lo, exec_lo, s0
	s_cbranch_vccnz .LBB126_2303
; %bb.2302:
	global_load_b32 v10, v[0:1], off
	s_and_not1_b32 s0, s10, exec_lo
	s_waitcnt vmcnt(0)
	v_and_b32_e32 v10, 0x7fff7fff, v10
	s_delay_alu instid0(VALU_DEP_1) | instskip(SKIP_1) | instid1(SALU_CYCLE_1)
	v_cmp_ne_u32_e32 vcc_lo, 0, v10
	s_and_b32 s10, vcc_lo, exec_lo
	s_or_b32 s10, s0, s10
.LBB126_2303:
	s_mov_b32 s0, 0
.LBB126_2304:
	s_delay_alu instid0(SALU_CYCLE_1)
	s_and_not1_b32 vcc_lo, exec_lo, s0
	s_cbranch_vccnz .LBB126_2315
; %bb.2305:
	v_cmp_gt_i16_e32 vcc_lo, 6, v3
	s_cbranch_vccnz .LBB126_2308
; %bb.2306:
	v_cmp_lt_i16_e32 vcc_lo, 6, v3
	s_cbranch_vccz .LBB126_2309
; %bb.2307:
	global_load_b64 v[10:11], v[0:1], off
	s_mov_b32 s0, 0
	s_waitcnt vmcnt(0)
	v_cmp_neq_f64_e32 vcc_lo, 0, v[10:11]
	s_and_b32 s10, vcc_lo, exec_lo
	s_branch .LBB126_2310
.LBB126_2308:
	s_mov_b32 s0, -1
                                        ; implicit-def: $sgpr10
	s_branch .LBB126_2313
.LBB126_2309:
	s_mov_b32 s0, -1
                                        ; implicit-def: $sgpr10
.LBB126_2310:
	s_delay_alu instid0(SALU_CYCLE_1)
	s_and_not1_b32 vcc_lo, exec_lo, s0
	s_cbranch_vccnz .LBB126_2312
; %bb.2311:
	global_load_b32 v10, v[0:1], off
	s_and_not1_b32 s0, s10, exec_lo
	s_waitcnt vmcnt(0)
	v_cmp_neq_f32_e32 vcc_lo, 0, v10
	s_and_b32 s10, vcc_lo, exec_lo
	s_delay_alu instid0(SALU_CYCLE_1)
	s_or_b32 s10, s0, s10
.LBB126_2312:
	s_mov_b32 s0, 0
.LBB126_2313:
	s_delay_alu instid0(SALU_CYCLE_1)
	s_and_not1_b32 vcc_lo, exec_lo, s0
	s_cbranch_vccnz .LBB126_2315
; %bb.2314:
	global_load_u16 v10, v[0:1], off
	s_and_not1_b32 s0, s10, exec_lo
	s_waitcnt vmcnt(0)
	v_and_b32_e32 v10, 0x7fff, v10
	s_delay_alu instid0(VALU_DEP_1) | instskip(SKIP_1) | instid1(SALU_CYCLE_1)
	v_cmp_ne_u16_e32 vcc_lo, 0, v10
	s_and_b32 s10, vcc_lo, exec_lo
	s_or_b32 s10, s0, s10
.LBB126_2315:
	s_mov_b32 s0, 0
.LBB126_2316:
	s_delay_alu instid0(SALU_CYCLE_1)
	s_and_not1_b32 vcc_lo, exec_lo, s0
	s_cbranch_vccnz .LBB126_2336
; %bb.2317:
	v_cmp_gt_i16_e32 vcc_lo, 2, v3
	s_cbranch_vccnz .LBB126_2321
; %bb.2318:
	v_cmp_gt_i16_e32 vcc_lo, 3, v3
	s_cbranch_vccnz .LBB126_2322
; %bb.2319:
	v_cmp_lt_i16_e32 vcc_lo, 3, v3
	s_cbranch_vccz .LBB126_2323
; %bb.2320:
	global_load_b64 v[10:11], v[0:1], off
	s_mov_b32 s0, 0
	s_waitcnt vmcnt(0)
	v_cmp_ne_u64_e32 vcc_lo, 0, v[10:11]
	s_and_b32 s10, vcc_lo, exec_lo
	s_branch .LBB126_2324
.LBB126_2321:
	s_mov_b32 s0, -1
                                        ; implicit-def: $sgpr10
	s_branch .LBB126_2330
.LBB126_2322:
	s_mov_b32 s0, -1
                                        ; implicit-def: $sgpr10
	s_branch .LBB126_2327
.LBB126_2323:
	s_mov_b32 s0, -1
                                        ; implicit-def: $sgpr10
.LBB126_2324:
	s_delay_alu instid0(SALU_CYCLE_1)
	s_and_not1_b32 vcc_lo, exec_lo, s0
	s_cbranch_vccnz .LBB126_2326
; %bb.2325:
	global_load_b32 v10, v[0:1], off
	s_and_not1_b32 s0, s10, exec_lo
	s_waitcnt vmcnt(0)
	v_cmp_ne_u32_e32 vcc_lo, 0, v10
	s_and_b32 s10, vcc_lo, exec_lo
	s_delay_alu instid0(SALU_CYCLE_1)
	s_or_b32 s10, s0, s10
.LBB126_2326:
	s_mov_b32 s0, 0
.LBB126_2327:
	s_delay_alu instid0(SALU_CYCLE_1)
	s_and_not1_b32 vcc_lo, exec_lo, s0
	s_cbranch_vccnz .LBB126_2329
; %bb.2328:
	global_load_u16 v10, v[0:1], off
	s_and_not1_b32 s0, s10, exec_lo
	s_waitcnt vmcnt(0)
	v_cmp_ne_u16_e32 vcc_lo, 0, v10
	s_and_b32 s10, vcc_lo, exec_lo
	s_delay_alu instid0(SALU_CYCLE_1)
	s_or_b32 s10, s0, s10
.LBB126_2329:
	s_mov_b32 s0, 0
.LBB126_2330:
	s_delay_alu instid0(SALU_CYCLE_1)
	s_and_not1_b32 vcc_lo, exec_lo, s0
	s_cbranch_vccnz .LBB126_2336
; %bb.2331:
	v_cmp_lt_i16_e32 vcc_lo, 0, v3
	s_mov_b32 s0, 0
	s_cbranch_vccz .LBB126_2333
; %bb.2332:
	global_load_u8 v10, v[0:1], off
	s_waitcnt vmcnt(0)
	v_cmp_ne_u16_e32 vcc_lo, 0, v10
	s_and_b32 s10, vcc_lo, exec_lo
	s_branch .LBB126_2334
.LBB126_2333:
	s_mov_b32 s0, -1
                                        ; implicit-def: $sgpr10
.LBB126_2334:
	s_delay_alu instid0(SALU_CYCLE_1)
	s_and_not1_b32 vcc_lo, exec_lo, s0
	s_cbranch_vccnz .LBB126_2336
; %bb.2335:
	global_load_u8 v0, v[0:1], off
	s_and_not1_b32 s0, s10, exec_lo
	s_waitcnt vmcnt(0)
	v_cmp_ne_u16_e32 vcc_lo, 0, v0
	s_and_b32 s10, vcc_lo, exec_lo
	s_delay_alu instid0(SALU_CYCLE_1)
	s_or_b32 s10, s0, s10
.LBB126_2336:
	s_mov_b32 s19, -1
.LBB126_2337:
	s_delay_alu instid0(SALU_CYCLE_1)
	s_and_not1_b32 vcc_lo, exec_lo, s19
	s_cbranch_vccnz .LBB126_3037
; %bb.2338:
	v_add_nc_u32_e32 v0, s14, v8
	v_cmp_gt_i16_e32 vcc_lo, 11, v5
	s_delay_alu instid0(VALU_DEP_2) | instskip(SKIP_1) | instid1(VALU_DEP_1)
	v_ashrrev_i32_e32 v1, 31, v0
	v_add_co_u32 v0, s0, s6, v0
	v_add_co_ci_u32_e64 v1, s0, s7, v1, s0
	s_cbranch_vccnz .LBB126_2345
; %bb.2339:
	v_cmp_lt_i16_e32 vcc_lo, 25, v5
	s_mov_b32 s6, 0
	s_cbranch_vccz .LBB126_2346
; %bb.2340:
	v_cmp_lt_i16_e32 vcc_lo, 28, v5
	s_cbranch_vccz .LBB126_2347
; %bb.2341:
	v_cmp_lt_i16_e32 vcc_lo, 43, v5
	;; [unrolled: 3-line block ×3, first 2 shown]
	s_cbranch_vccz .LBB126_2351
; %bb.2343:
	v_cmp_eq_u16_e32 vcc_lo, 46, v5
	s_mov_b32 s14, 0
	s_cbranch_vccz .LBB126_2354
; %bb.2344:
	global_load_b32 v8, v[0:1], off
	s_mov_b32 s0, 0
	s_mov_b32 s7, -1
	s_waitcnt vmcnt(0)
	v_lshlrev_b32_e32 v8, 16, v8
	s_branch .LBB126_2356
.LBB126_2345:
	s_mov_b32 s0, -1
	s_mov_b32 s7, 0
                                        ; implicit-def: $vgpr8
	s_branch .LBB126_2422
.LBB126_2346:
	s_mov_b32 s14, -1
	s_mov_b32 s7, 0
	s_mov_b32 s0, 0
                                        ; implicit-def: $vgpr8
	s_branch .LBB126_2385
.LBB126_2347:
	s_mov_b32 s14, -1
	s_mov_b32 s7, 0
	s_mov_b32 s0, 0
                                        ; implicit-def: $vgpr8
	s_branch .LBB126_2366
.LBB126_2348:
	s_mov_b32 s14, -1
	s_mov_b32 s7, 0
	s_mov_b32 s0, 0
                                        ; implicit-def: $vgpr8
	s_branch .LBB126_2361
.LBB126_2349:
	s_cbranch_execnz .LBB126_2352
; %bb.2350:
	s_mov_b32 s19, 0
	s_and_not1_b32 s10, s10, exec_lo
	s_or_b32 s13, s13, exec_lo
	s_cbranch_execz .LBB126_2286
	s_branch .LBB126_2287
.LBB126_2351:
	s_mov_b32 s14, -1
	s_mov_b32 s7, 0
	s_mov_b32 s0, 0
	s_branch .LBB126_2355
.LBB126_2352:
	s_trap 2
	s_sendmsg_rtn_b32 s0, sendmsg(MSG_RTN_GET_DOORBELL)
	s_mov_b32 ttmp2, m0
	s_waitcnt lgkmcnt(0)
	s_and_b32 s0, s0, 0x3ff
	s_delay_alu instid0(SALU_CYCLE_1) | instskip(NEXT) | instid1(SALU_CYCLE_1)
	s_bitset1_b32 s0, 10
	s_mov_b32 m0, s0
	s_sendmsg sendmsg(MSG_INTERRUPT)
	s_mov_b32 m0, ttmp2
.LBB126_2353:                           ; =>This Inner Loop Header: Depth=1
	s_sethalt 5
	s_branch .LBB126_2353
.LBB126_2354:
	s_mov_b32 s0, -1
	s_mov_b32 s7, 0
.LBB126_2355:
                                        ; implicit-def: $vgpr8
.LBB126_2356:
	s_and_b32 vcc_lo, exec_lo, s14
	s_cbranch_vccz .LBB126_2360
; %bb.2357:
	v_cmp_eq_u16_e32 vcc_lo, 44, v5
	s_cbranch_vccz .LBB126_2359
; %bb.2358:
	global_load_u8 v8, v[0:1], off
	s_mov_b32 s0, 0
	s_mov_b32 s7, -1
	s_waitcnt vmcnt(0)
	v_lshlrev_b32_e32 v10, 23, v8
	v_cmp_ne_u32_e32 vcc_lo, 0xff, v8
	s_delay_alu instid0(VALU_DEP_2) | instskip(SKIP_1) | instid1(VALU_DEP_2)
	v_cndmask_b32_e32 v10, 0x7f800001, v10, vcc_lo
	v_cmp_ne_u32_e32 vcc_lo, 0, v8
	v_cndmask_b32_e32 v8, 0x400000, v10, vcc_lo
	s_branch .LBB126_2360
.LBB126_2359:
	s_mov_b32 s0, -1
                                        ; implicit-def: $vgpr8
.LBB126_2360:
	s_mov_b32 s14, 0
.LBB126_2361:
	s_delay_alu instid0(SALU_CYCLE_1)
	s_and_b32 vcc_lo, exec_lo, s14
	s_cbranch_vccz .LBB126_2365
; %bb.2362:
	v_cmp_eq_u16_e32 vcc_lo, 29, v5
	s_cbranch_vccz .LBB126_2364
; %bb.2363:
	global_load_b64 v[10:11], v[0:1], off
	s_mov_b32 s0, 0
	s_mov_b32 s7, -1
	s_mov_b32 s14, 0
	s_waitcnt vmcnt(0)
	v_clz_i32_u32_e32 v8, v11
	s_delay_alu instid0(VALU_DEP_1) | instskip(NEXT) | instid1(VALU_DEP_1)
	v_min_u32_e32 v8, 32, v8
	v_lshlrev_b64 v[10:11], v8, v[10:11]
	v_sub_nc_u32_e32 v8, 32, v8
	s_delay_alu instid0(VALU_DEP_2) | instskip(NEXT) | instid1(VALU_DEP_1)
	v_min_u32_e32 v10, 1, v10
	v_or_b32_e32 v10, v11, v10
	s_delay_alu instid0(VALU_DEP_1) | instskip(NEXT) | instid1(VALU_DEP_1)
	v_cvt_f32_u32_e32 v10, v10
	v_ldexp_f32 v8, v10, v8
	s_branch .LBB126_2366
.LBB126_2364:
	s_mov_b32 s0, -1
                                        ; implicit-def: $vgpr8
.LBB126_2365:
	s_mov_b32 s14, 0
.LBB126_2366:
	s_delay_alu instid0(SALU_CYCLE_1)
	s_and_b32 vcc_lo, exec_lo, s14
	s_cbranch_vccz .LBB126_2384
; %bb.2367:
	v_cmp_gt_i16_e32 vcc_lo, 27, v5
	s_cbranch_vccnz .LBB126_2370
; %bb.2368:
	v_cmp_lt_i16_e32 vcc_lo, 27, v5
	s_cbranch_vccz .LBB126_2371
; %bb.2369:
	global_load_b32 v8, v[0:1], off
	s_mov_b32 s7, 0
	s_waitcnt vmcnt(0)
	v_cvt_f32_u32_e32 v8, v8
	s_branch .LBB126_2372
.LBB126_2370:
	s_mov_b32 s7, -1
                                        ; implicit-def: $vgpr8
	s_branch .LBB126_2375
.LBB126_2371:
	s_mov_b32 s7, -1
                                        ; implicit-def: $vgpr8
.LBB126_2372:
	s_delay_alu instid0(SALU_CYCLE_1)
	s_and_not1_b32 vcc_lo, exec_lo, s7
	s_cbranch_vccnz .LBB126_2374
; %bb.2373:
	global_load_u16 v8, v[0:1], off
	s_waitcnt vmcnt(0)
	v_cvt_f32_u32_e32 v8, v8
.LBB126_2374:
	s_mov_b32 s7, 0
.LBB126_2375:
	s_delay_alu instid0(SALU_CYCLE_1)
	s_and_not1_b32 vcc_lo, exec_lo, s7
	s_cbranch_vccnz .LBB126_2383
; %bb.2376:
	global_load_u8 v10, v[0:1], off
	s_mov_b32 s7, 0
	s_mov_b32 s18, exec_lo
                                        ; implicit-def: $sgpr14
	s_waitcnt vmcnt(0)
	v_cmpx_lt_i16_e32 0x7f, v10
	s_xor_b32 s18, exec_lo, s18
	s_cbranch_execz .LBB126_2397
; %bb.2377:
	s_mov_b32 s7, -1
	s_mov_b32 s19, exec_lo
                                        ; implicit-def: $sgpr14
	v_cmpx_eq_u16_e32 0x80, v10
; %bb.2378:
	s_mov_b32 s14, 0x7f800001
	s_xor_b32 s7, exec_lo, -1
; %bb.2379:
	s_or_b32 exec_lo, exec_lo, s19
	s_delay_alu instid0(SALU_CYCLE_1)
	s_and_b32 s7, s7, exec_lo
	s_or_saveexec_b32 s18, s18
	v_mov_b32_e32 v8, s14
	s_xor_b32 exec_lo, exec_lo, s18
	s_cbranch_execnz .LBB126_2398
.LBB126_2380:
	s_or_b32 exec_lo, exec_lo, s18
	s_and_saveexec_b32 s14, s7
	s_cbranch_execz .LBB126_2382
.LBB126_2381:
	v_and_b32_e32 v8, 0xffff, v10
	v_lshlrev_b32_e32 v10, 24, v10
	s_delay_alu instid0(VALU_DEP_2) | instskip(NEXT) | instid1(VALU_DEP_2)
	v_and_b32_e32 v11, 7, v8
	v_and_b32_e32 v10, 0x80000000, v10
	s_delay_alu instid0(VALU_DEP_2) | instskip(NEXT) | instid1(VALU_DEP_1)
	v_clz_i32_u32_e32 v12, v11
	v_min_u32_e32 v12, 32, v12
	s_delay_alu instid0(VALU_DEP_1) | instskip(SKIP_1) | instid1(VALU_DEP_2)
	v_subrev_nc_u32_e32 v13, 28, v12
	v_sub_nc_u32_e32 v12, 29, v12
	v_lshlrev_b32_e32 v13, v13, v8
	v_bfe_u32 v8, v8, 3, 4
	s_delay_alu instid0(VALU_DEP_1) | instskip(NEXT) | instid1(VALU_DEP_3)
	v_cmp_eq_u32_e32 vcc_lo, 0, v8
	v_dual_cndmask_b32 v8, v8, v12 :: v_dual_and_b32 v13, 7, v13
	s_delay_alu instid0(VALU_DEP_1) | instskip(NEXT) | instid1(VALU_DEP_2)
	v_cndmask_b32_e32 v11, v11, v13, vcc_lo
	v_lshl_add_u32 v8, v8, 23, 0x3b800000
	s_delay_alu instid0(VALU_DEP_2) | instskip(NEXT) | instid1(VALU_DEP_1)
	v_lshlrev_b32_e32 v11, 20, v11
	v_or3_b32 v8, v10, v8, v11
.LBB126_2382:
	s_or_b32 exec_lo, exec_lo, s14
.LBB126_2383:
	s_mov_b32 s7, -1
.LBB126_2384:
	s_mov_b32 s14, 0
.LBB126_2385:
	s_delay_alu instid0(SALU_CYCLE_1)
	s_and_b32 vcc_lo, exec_lo, s14
	s_cbranch_vccz .LBB126_2418
; %bb.2386:
	v_cmp_lt_i16_e32 vcc_lo, 22, v5
	s_cbranch_vccz .LBB126_2396
; %bb.2387:
	v_cmp_gt_i16_e32 vcc_lo, 24, v5
	s_cbranch_vccnz .LBB126_2399
; %bb.2388:
	v_cmp_lt_i16_e32 vcc_lo, 24, v5
	s_cbranch_vccz .LBB126_2400
; %bb.2389:
	global_load_u8 v10, v[0:1], off
	s_mov_b32 s14, exec_lo
                                        ; implicit-def: $sgpr7
	s_waitcnt vmcnt(0)
	v_cmpx_lt_i16_e32 0x7f, v10
	s_xor_b32 s14, exec_lo, s14
	s_cbranch_execz .LBB126_2412
; %bb.2390:
	s_mov_b32 s6, -1
	s_mov_b32 s18, exec_lo
                                        ; implicit-def: $sgpr7
	v_cmpx_eq_u16_e32 0x80, v10
; %bb.2391:
	s_mov_b32 s7, 0x7f800001
	s_xor_b32 s6, exec_lo, -1
; %bb.2392:
	s_or_b32 exec_lo, exec_lo, s18
	s_delay_alu instid0(SALU_CYCLE_1)
	s_and_b32 s6, s6, exec_lo
	s_or_saveexec_b32 s14, s14
	v_mov_b32_e32 v8, s7
	s_xor_b32 exec_lo, exec_lo, s14
	s_cbranch_execnz .LBB126_2413
.LBB126_2393:
	s_or_b32 exec_lo, exec_lo, s14
	s_and_saveexec_b32 s7, s6
	s_cbranch_execz .LBB126_2395
.LBB126_2394:
	v_and_b32_e32 v8, 0xffff, v10
	v_lshlrev_b32_e32 v10, 24, v10
	s_delay_alu instid0(VALU_DEP_2) | instskip(NEXT) | instid1(VALU_DEP_2)
	v_and_b32_e32 v11, 3, v8
	v_and_b32_e32 v10, 0x80000000, v10
	s_delay_alu instid0(VALU_DEP_2) | instskip(NEXT) | instid1(VALU_DEP_1)
	v_clz_i32_u32_e32 v12, v11
	v_min_u32_e32 v12, 32, v12
	s_delay_alu instid0(VALU_DEP_1) | instskip(SKIP_1) | instid1(VALU_DEP_2)
	v_subrev_nc_u32_e32 v13, 29, v12
	v_sub_nc_u32_e32 v12, 30, v12
	v_lshlrev_b32_e32 v13, v13, v8
	v_bfe_u32 v8, v8, 2, 5
	s_delay_alu instid0(VALU_DEP_1) | instskip(NEXT) | instid1(VALU_DEP_3)
	v_cmp_eq_u32_e32 vcc_lo, 0, v8
	v_dual_cndmask_b32 v8, v8, v12 :: v_dual_and_b32 v13, 3, v13
	s_delay_alu instid0(VALU_DEP_1) | instskip(NEXT) | instid1(VALU_DEP_2)
	v_cndmask_b32_e32 v11, v11, v13, vcc_lo
	v_lshl_add_u32 v8, v8, 23, 0x37800000
	s_delay_alu instid0(VALU_DEP_2) | instskip(NEXT) | instid1(VALU_DEP_1)
	v_lshlrev_b32_e32 v11, 21, v11
	v_or3_b32 v8, v10, v8, v11
.LBB126_2395:
	s_or_b32 exec_lo, exec_lo, s7
	s_mov_b32 s6, 0
	s_branch .LBB126_2401
.LBB126_2396:
	s_mov_b32 s6, -1
                                        ; implicit-def: $vgpr8
	s_branch .LBB126_2407
.LBB126_2397:
	s_or_saveexec_b32 s18, s18
	v_mov_b32_e32 v8, s14
	s_xor_b32 exec_lo, exec_lo, s18
	s_cbranch_execz .LBB126_2380
.LBB126_2398:
	v_cmp_ne_u16_e32 vcc_lo, 0, v10
	v_mov_b32_e32 v8, 0
	s_and_not1_b32 s7, s7, exec_lo
	s_and_b32 s14, vcc_lo, exec_lo
	s_delay_alu instid0(SALU_CYCLE_1)
	s_or_b32 s7, s7, s14
	s_or_b32 exec_lo, exec_lo, s18
	s_and_saveexec_b32 s14, s7
	s_cbranch_execnz .LBB126_2381
	s_branch .LBB126_2382
.LBB126_2399:
	s_mov_b32 s6, -1
                                        ; implicit-def: $vgpr8
	s_branch .LBB126_2404
.LBB126_2400:
	s_mov_b32 s6, -1
                                        ; implicit-def: $vgpr8
.LBB126_2401:
	s_delay_alu instid0(SALU_CYCLE_1)
	s_and_b32 vcc_lo, exec_lo, s6
	s_cbranch_vccz .LBB126_2403
; %bb.2402:
	global_load_u8 v8, v[0:1], off
	s_waitcnt vmcnt(0)
	v_lshlrev_b32_e32 v8, 24, v8
	s_delay_alu instid0(VALU_DEP_1) | instskip(NEXT) | instid1(VALU_DEP_1)
	v_and_b32_e32 v10, 0x7f000000, v8
	v_clz_i32_u32_e32 v11, v10
	v_cmp_ne_u32_e32 vcc_lo, 0, v10
	v_add_nc_u32_e32 v13, 0x1000000, v10
	s_delay_alu instid0(VALU_DEP_3) | instskip(NEXT) | instid1(VALU_DEP_1)
	v_min_u32_e32 v11, 32, v11
	v_sub_nc_u32_e64 v11, v11, 4 clamp
	s_delay_alu instid0(VALU_DEP_1) | instskip(SKIP_1) | instid1(VALU_DEP_2)
	v_lshlrev_b32_e32 v12, v11, v10
	v_lshlrev_b32_e32 v11, 23, v11
	v_lshrrev_b32_e32 v12, 4, v12
	s_delay_alu instid0(VALU_DEP_1) | instskip(SKIP_1) | instid1(VALU_DEP_2)
	v_sub_nc_u32_e32 v11, v12, v11
	v_ashrrev_i32_e32 v12, 8, v13
	v_add_nc_u32_e32 v11, 0x3c000000, v11
	s_delay_alu instid0(VALU_DEP_1) | instskip(NEXT) | instid1(VALU_DEP_1)
	v_and_or_b32 v11, 0x7f800000, v12, v11
	v_cndmask_b32_e32 v10, 0, v11, vcc_lo
	s_delay_alu instid0(VALU_DEP_1)
	v_and_or_b32 v8, 0x80000000, v8, v10
.LBB126_2403:
	s_mov_b32 s6, 0
.LBB126_2404:
	s_delay_alu instid0(SALU_CYCLE_1)
	s_and_not1_b32 vcc_lo, exec_lo, s6
	s_cbranch_vccnz .LBB126_2406
; %bb.2405:
	global_load_u8 v8, v[0:1], off
	s_waitcnt vmcnt(0)
	v_lshlrev_b32_e32 v10, 25, v8
	v_lshlrev_b16 v8, 8, v8
	s_delay_alu instid0(VALU_DEP_2) | instskip(NEXT) | instid1(VALU_DEP_2)
	v_lshrrev_b32_e32 v11, 4, v10
	v_and_or_b32 v12, 0x7f00, v8, 0.5
	v_bfe_i32 v8, v8, 0, 16
	s_delay_alu instid0(VALU_DEP_3) | instskip(NEXT) | instid1(VALU_DEP_1)
	v_or_b32_e32 v11, 0x70000000, v11
	v_dual_add_f32 v12, -0.5, v12 :: v_dual_mul_f32 v11, 0x7800000, v11
	v_cmp_gt_u32_e32 vcc_lo, 0x8000000, v10
	s_delay_alu instid0(VALU_DEP_2) | instskip(NEXT) | instid1(VALU_DEP_1)
	v_cndmask_b32_e32 v10, v11, v12, vcc_lo
	v_and_or_b32 v8, 0x80000000, v8, v10
.LBB126_2406:
	s_mov_b32 s6, 0
	s_mov_b32 s7, -1
.LBB126_2407:
	s_and_not1_b32 vcc_lo, exec_lo, s6
	s_mov_b32 s6, 0
	s_cbranch_vccnz .LBB126_2418
; %bb.2408:
	v_cmp_lt_i16_e32 vcc_lo, 14, v5
	s_cbranch_vccz .LBB126_2411
; %bb.2409:
	v_cmp_eq_u16_e32 vcc_lo, 15, v5
	s_cbranch_vccz .LBB126_2414
; %bb.2410:
	global_load_u16 v8, v[0:1], off
	s_mov_b32 s0, 0
	s_mov_b32 s7, -1
	s_waitcnt vmcnt(0)
	v_lshlrev_b32_e32 v8, 16, v8
	s_branch .LBB126_2416
.LBB126_2411:
	s_mov_b32 s6, -1
	s_branch .LBB126_2415
.LBB126_2412:
	s_or_saveexec_b32 s14, s14
	v_mov_b32_e32 v8, s7
	s_xor_b32 exec_lo, exec_lo, s14
	s_cbranch_execz .LBB126_2393
.LBB126_2413:
	v_cmp_ne_u16_e32 vcc_lo, 0, v10
	v_mov_b32_e32 v8, 0
	s_and_not1_b32 s6, s6, exec_lo
	s_and_b32 s7, vcc_lo, exec_lo
	s_delay_alu instid0(SALU_CYCLE_1)
	s_or_b32 s6, s6, s7
	s_or_b32 exec_lo, exec_lo, s14
	s_and_saveexec_b32 s7, s6
	s_cbranch_execnz .LBB126_2394
	s_branch .LBB126_2395
.LBB126_2414:
	s_mov_b32 s0, -1
.LBB126_2415:
                                        ; implicit-def: $vgpr8
.LBB126_2416:
	s_and_b32 vcc_lo, exec_lo, s6
	s_mov_b32 s6, 0
	s_cbranch_vccz .LBB126_2418
; %bb.2417:
	v_cmp_ne_u16_e64 s0, 11, v5
	s_mov_b32 s6, -1
                                        ; implicit-def: $vgpr8
.LBB126_2418:
	s_delay_alu instid0(VALU_DEP_1)
	s_and_b32 vcc_lo, exec_lo, s0
	s_cbranch_vccnz .LBB126_2483
; %bb.2419:
	s_and_not1_b32 vcc_lo, exec_lo, s6
	s_cbranch_vccnz .LBB126_2421
.LBB126_2420:
	global_load_u8 v8, v[0:1], off
	s_mov_b32 s7, -1
	s_waitcnt vmcnt(0)
	v_cmp_ne_u16_e32 vcc_lo, 0, v8
	v_cndmask_b32_e64 v8, 0, 1.0, vcc_lo
.LBB126_2421:
	s_mov_b32 s0, 0
.LBB126_2422:
	s_delay_alu instid0(SALU_CYCLE_1)
	s_and_b32 vcc_lo, exec_lo, s0
	s_cbranch_vccz .LBB126_2471
; %bb.2423:
	v_cmp_gt_i16_e32 vcc_lo, 5, v5
	s_cbranch_vccnz .LBB126_2428
; %bb.2424:
	v_cmp_gt_i16_e32 vcc_lo, 8, v5
	s_cbranch_vccnz .LBB126_2429
	;; [unrolled: 3-line block ×3, first 2 shown]
; %bb.2426:
	v_cmp_lt_i16_e32 vcc_lo, 9, v5
	s_cbranch_vccz .LBB126_2431
; %bb.2427:
	global_load_b64 v[10:11], v[0:1], off
	s_mov_b32 s0, 0
	s_waitcnt vmcnt(0)
	v_cvt_f32_f64_e32 v8, v[10:11]
	s_branch .LBB126_2432
.LBB126_2428:
	s_mov_b32 s0, -1
                                        ; implicit-def: $vgpr8
	s_branch .LBB126_2450
.LBB126_2429:
	s_mov_b32 s0, -1
                                        ; implicit-def: $vgpr8
	s_branch .LBB126_2438
.LBB126_2430:
	s_mov_b32 s0, -1
                                        ; implicit-def: $vgpr8
	s_branch .LBB126_2435
.LBB126_2431:
	s_mov_b32 s0, -1
                                        ; implicit-def: $vgpr8
.LBB126_2432:
	s_delay_alu instid0(SALU_CYCLE_1)
	s_and_not1_b32 vcc_lo, exec_lo, s0
	s_cbranch_vccnz .LBB126_2434
; %bb.2433:
	global_load_b32 v8, v[0:1], off
.LBB126_2434:
	s_mov_b32 s0, 0
.LBB126_2435:
	s_delay_alu instid0(SALU_CYCLE_1)
	s_and_not1_b32 vcc_lo, exec_lo, s0
	s_cbranch_vccnz .LBB126_2437
; %bb.2436:
	global_load_b32 v8, v[0:1], off
	s_waitcnt vmcnt(0)
	v_cvt_f32_f16_e32 v8, v8
.LBB126_2437:
	s_mov_b32 s0, 0
.LBB126_2438:
	s_delay_alu instid0(SALU_CYCLE_1)
	s_and_not1_b32 vcc_lo, exec_lo, s0
	s_cbranch_vccnz .LBB126_2449
; %bb.2439:
	v_cmp_gt_i16_e32 vcc_lo, 6, v5
	s_cbranch_vccnz .LBB126_2442
; %bb.2440:
	v_cmp_lt_i16_e32 vcc_lo, 6, v5
	s_cbranch_vccz .LBB126_2443
; %bb.2441:
	global_load_b64 v[10:11], v[0:1], off
	s_mov_b32 s0, 0
	s_waitcnt vmcnt(0)
	v_cvt_f32_f64_e32 v8, v[10:11]
	s_branch .LBB126_2444
.LBB126_2442:
	s_mov_b32 s0, -1
                                        ; implicit-def: $vgpr8
	s_branch .LBB126_2447
.LBB126_2443:
	s_mov_b32 s0, -1
                                        ; implicit-def: $vgpr8
.LBB126_2444:
	s_delay_alu instid0(SALU_CYCLE_1)
	s_and_not1_b32 vcc_lo, exec_lo, s0
	s_cbranch_vccnz .LBB126_2446
; %bb.2445:
	global_load_b32 v8, v[0:1], off
.LBB126_2446:
	s_mov_b32 s0, 0
.LBB126_2447:
	s_delay_alu instid0(SALU_CYCLE_1)
	s_and_not1_b32 vcc_lo, exec_lo, s0
	s_cbranch_vccnz .LBB126_2449
; %bb.2448:
	global_load_u16 v8, v[0:1], off
	s_waitcnt vmcnt(0)
	v_cvt_f32_f16_e32 v8, v8
.LBB126_2449:
	s_mov_b32 s0, 0
.LBB126_2450:
	s_delay_alu instid0(SALU_CYCLE_1)
	s_and_not1_b32 vcc_lo, exec_lo, s0
	s_cbranch_vccnz .LBB126_2470
; %bb.2451:
	v_cmp_gt_i16_e32 vcc_lo, 2, v5
	s_cbranch_vccnz .LBB126_2455
; %bb.2452:
	v_cmp_gt_i16_e32 vcc_lo, 3, v5
	s_cbranch_vccnz .LBB126_2456
; %bb.2453:
	v_cmp_lt_i16_e32 vcc_lo, 3, v5
	s_cbranch_vccz .LBB126_2457
; %bb.2454:
	global_load_b64 v[10:11], v[0:1], off
	s_mov_b32 s0, 0
	s_waitcnt vmcnt(0)
	v_xor_b32_e32 v8, v10, v11
	v_cls_i32_e32 v12, v11
	s_delay_alu instid0(VALU_DEP_2) | instskip(NEXT) | instid1(VALU_DEP_2)
	v_ashrrev_i32_e32 v8, 31, v8
	v_add_nc_u32_e32 v12, -1, v12
	s_delay_alu instid0(VALU_DEP_2) | instskip(NEXT) | instid1(VALU_DEP_1)
	v_add_nc_u32_e32 v8, 32, v8
	v_min_u32_e32 v8, v12, v8
	s_delay_alu instid0(VALU_DEP_1) | instskip(SKIP_1) | instid1(VALU_DEP_2)
	v_lshlrev_b64 v[10:11], v8, v[10:11]
	v_sub_nc_u32_e32 v8, 32, v8
	v_min_u32_e32 v10, 1, v10
	s_delay_alu instid0(VALU_DEP_1) | instskip(NEXT) | instid1(VALU_DEP_1)
	v_or_b32_e32 v10, v11, v10
	v_cvt_f32_i32_e32 v10, v10
	s_delay_alu instid0(VALU_DEP_1)
	v_ldexp_f32 v8, v10, v8
	s_branch .LBB126_2458
.LBB126_2455:
	s_mov_b32 s0, -1
                                        ; implicit-def: $vgpr8
	s_branch .LBB126_2464
.LBB126_2456:
	s_mov_b32 s0, -1
                                        ; implicit-def: $vgpr8
	s_branch .LBB126_2461
.LBB126_2457:
	s_mov_b32 s0, -1
                                        ; implicit-def: $vgpr8
.LBB126_2458:
	s_delay_alu instid0(SALU_CYCLE_1)
	s_and_not1_b32 vcc_lo, exec_lo, s0
	s_cbranch_vccnz .LBB126_2460
; %bb.2459:
	global_load_b32 v8, v[0:1], off
	s_waitcnt vmcnt(0)
	v_cvt_f32_i32_e32 v8, v8
.LBB126_2460:
	s_mov_b32 s0, 0
.LBB126_2461:
	s_delay_alu instid0(SALU_CYCLE_1)
	s_and_not1_b32 vcc_lo, exec_lo, s0
	s_cbranch_vccnz .LBB126_2463
; %bb.2462:
	global_load_i16 v8, v[0:1], off
	s_waitcnt vmcnt(0)
	v_cvt_f32_i32_e32 v8, v8
.LBB126_2463:
	s_mov_b32 s0, 0
.LBB126_2464:
	s_delay_alu instid0(SALU_CYCLE_1)
	s_and_not1_b32 vcc_lo, exec_lo, s0
	s_cbranch_vccnz .LBB126_2470
; %bb.2465:
	v_cmp_lt_i16_e32 vcc_lo, 0, v5
	s_mov_b32 s0, 0
	s_cbranch_vccz .LBB126_2467
; %bb.2466:
	global_load_i8 v5, v[0:1], off
	s_waitcnt vmcnt(0)
	v_cvt_f32_i32_e32 v8, v5
	s_branch .LBB126_2468
.LBB126_2467:
	s_mov_b32 s0, -1
                                        ; implicit-def: $vgpr8
.LBB126_2468:
	s_delay_alu instid0(SALU_CYCLE_1)
	s_and_not1_b32 vcc_lo, exec_lo, s0
	s_cbranch_vccnz .LBB126_2470
; %bb.2469:
	global_load_u8 v0, v[0:1], off
	s_waitcnt vmcnt(0)
	v_cvt_f32_ubyte0_e32 v8, v0
.LBB126_2470:
	s_mov_b32 s7, -1
.LBB126_2471:
	s_delay_alu instid0(SALU_CYCLE_1)
	s_and_not1_b32 vcc_lo, exec_lo, s7
	s_cbranch_vccnz .LBB126_3037
; %bb.2472:
	v_add_nc_u32_e32 v0, s17, v9
	v_cmp_gt_i16_e32 vcc_lo, 11, v3
	s_delay_alu instid0(VALU_DEP_2) | instskip(SKIP_1) | instid1(VALU_DEP_1)
	v_ashrrev_i32_e32 v1, 31, v0
	v_add_co_u32 v0, s0, s2, v0
	v_add_co_ci_u32_e64 v1, s0, s3, v1, s0
	s_cbranch_vccnz .LBB126_2479
; %bb.2473:
	v_cmp_lt_i16_e32 vcc_lo, 25, v3
	s_mov_b32 s0, 0
	s_cbranch_vccz .LBB126_2480
; %bb.2474:
	v_cmp_lt_i16_e32 vcc_lo, 28, v3
	s_cbranch_vccz .LBB126_2481
; %bb.2475:
	v_cmp_lt_i16_e32 vcc_lo, 43, v3
	;; [unrolled: 3-line block ×3, first 2 shown]
	s_cbranch_vccz .LBB126_2485
; %bb.2477:
	v_cmp_eq_u16_e32 vcc_lo, 46, v3
	s_mov_b32 s7, 0
	s_cbranch_vccz .LBB126_2488
; %bb.2478:
	global_load_b32 v5, v[0:1], off
	s_mov_b32 s3, 0
	s_mov_b32 s6, -1
	s_waitcnt vmcnt(0)
	v_and_b32_e32 v5, 0x7fff7fff, v5
	s_delay_alu instid0(VALU_DEP_1)
	v_cmp_ne_u32_e32 vcc_lo, 0, v5
	s_and_b32 s2, vcc_lo, exec_lo
	s_branch .LBB126_2490
.LBB126_2479:
	s_mov_b32 s0, -1
	s_mov_b32 s6, 0
                                        ; implicit-def: $sgpr2
	s_branch .LBB126_2554
.LBB126_2480:
	s_mov_b32 s7, -1
	s_mov_b32 s6, 0
	s_mov_b32 s3, 0
                                        ; implicit-def: $sgpr2
	s_branch .LBB126_2517
.LBB126_2481:
	s_mov_b32 s7, -1
	s_mov_b32 s6, 0
	s_mov_b32 s3, 0
                                        ; implicit-def: $sgpr2
	s_branch .LBB126_2498
.LBB126_2482:
	s_mov_b32 s7, -1
	s_mov_b32 s6, 0
	s_mov_b32 s3, 0
                                        ; implicit-def: $sgpr2
	s_branch .LBB126_2493
.LBB126_2483:
	s_cbranch_execnz .LBB126_2486
; %bb.2484:
	s_or_b32 s13, s13, exec_lo
                                        ; implicit-def: $vgpr8
	s_cbranch_execz .LBB126_2420
	s_branch .LBB126_2421
.LBB126_2485:
	s_mov_b32 s7, -1
	s_mov_b32 s6, 0
	s_mov_b32 s3, 0
	s_branch .LBB126_2489
.LBB126_2486:
	s_trap 2
	s_sendmsg_rtn_b32 s0, sendmsg(MSG_RTN_GET_DOORBELL)
	s_mov_b32 ttmp2, m0
	s_waitcnt lgkmcnt(0)
	s_and_b32 s0, s0, 0x3ff
	s_delay_alu instid0(SALU_CYCLE_1) | instskip(NEXT) | instid1(SALU_CYCLE_1)
	s_bitset1_b32 s0, 10
	s_mov_b32 m0, s0
	s_sendmsg sendmsg(MSG_INTERRUPT)
	s_mov_b32 m0, ttmp2
.LBB126_2487:                           ; =>This Inner Loop Header: Depth=1
	s_sethalt 5
	s_branch .LBB126_2487
.LBB126_2488:
	s_mov_b32 s3, -1
	s_mov_b32 s6, 0
.LBB126_2489:
                                        ; implicit-def: $sgpr2
.LBB126_2490:
	s_and_b32 vcc_lo, exec_lo, s7
	s_cbranch_vccz .LBB126_2492
; %bb.2491:
	v_cmp_ne_u16_e64 s3, 44, v3
	s_mov_b32 s6, -1
	s_or_b32 s2, s2, exec_lo
.LBB126_2492:
	s_mov_b32 s7, 0
.LBB126_2493:
	s_delay_alu instid0(SALU_CYCLE_1)
	s_and_b32 vcc_lo, exec_lo, s7
	s_cbranch_vccz .LBB126_2497
; %bb.2494:
	v_cmp_eq_u16_e32 vcc_lo, 29, v3
	s_cbranch_vccz .LBB126_2496
; %bb.2495:
	global_load_b64 v[9:10], v[0:1], off
	s_mov_b32 s3, 0
	s_mov_b32 s6, -1
	s_mov_b32 s7, 0
	s_waitcnt vmcnt(0)
	v_cmp_ne_u64_e32 vcc_lo, 0, v[9:10]
	s_and_b32 s2, vcc_lo, exec_lo
	s_branch .LBB126_2498
.LBB126_2496:
	s_mov_b32 s3, -1
                                        ; implicit-def: $sgpr2
.LBB126_2497:
	s_mov_b32 s7, 0
.LBB126_2498:
	s_delay_alu instid0(SALU_CYCLE_1)
	s_and_b32 vcc_lo, exec_lo, s7
	s_cbranch_vccz .LBB126_2516
; %bb.2499:
	v_cmp_gt_i16_e32 vcc_lo, 27, v3
	s_cbranch_vccnz .LBB126_2502
; %bb.2500:
	v_cmp_lt_i16_e32 vcc_lo, 27, v3
	s_cbranch_vccz .LBB126_2503
; %bb.2501:
	global_load_b32 v5, v[0:1], off
	s_mov_b32 s6, 0
	s_waitcnt vmcnt(0)
	v_cmp_ne_u32_e32 vcc_lo, 0, v5
	s_and_b32 s2, vcc_lo, exec_lo
	s_branch .LBB126_2504
.LBB126_2502:
	s_mov_b32 s6, -1
                                        ; implicit-def: $sgpr2
	s_branch .LBB126_2507
.LBB126_2503:
	s_mov_b32 s6, -1
                                        ; implicit-def: $sgpr2
.LBB126_2504:
	s_delay_alu instid0(SALU_CYCLE_1)
	s_and_not1_b32 vcc_lo, exec_lo, s6
	s_cbranch_vccnz .LBB126_2506
; %bb.2505:
	global_load_u16 v5, v[0:1], off
	s_and_not1_b32 s2, s2, exec_lo
	s_waitcnt vmcnt(0)
	v_cmp_ne_u16_e32 vcc_lo, 0, v5
	s_and_b32 s6, vcc_lo, exec_lo
	s_delay_alu instid0(SALU_CYCLE_1)
	s_or_b32 s2, s2, s6
.LBB126_2506:
	s_mov_b32 s6, 0
.LBB126_2507:
	s_delay_alu instid0(SALU_CYCLE_1)
	s_and_not1_b32 vcc_lo, exec_lo, s6
	s_cbranch_vccnz .LBB126_2515
; %bb.2508:
	global_load_u8 v5, v[0:1], off
	s_mov_b32 s6, 0
	s_mov_b32 s7, exec_lo
                                        ; implicit-def: $sgpr2
	s_waitcnt vmcnt(0)
	v_cmpx_lt_i16_e32 0x7f, v5
	s_xor_b32 s7, exec_lo, s7
	s_cbranch_execz .LBB126_2529
; %bb.2509:
	s_mov_b32 s6, -1
	s_mov_b32 s14, exec_lo
                                        ; implicit-def: $sgpr2
	v_cmpx_eq_u16_e32 0x80, v5
; %bb.2510:
	s_mov_b32 s2, -1
	s_xor_b32 s6, exec_lo, -1
; %bb.2511:
	s_or_b32 exec_lo, exec_lo, s14
	s_delay_alu instid0(SALU_CYCLE_1)
	s_and_b32 s6, s6, exec_lo
	s_and_not1_saveexec_b32 s7, s7
	s_cbranch_execnz .LBB126_2530
.LBB126_2512:
	s_or_b32 exec_lo, exec_lo, s7
	s_and_saveexec_b32 s7, s6
	s_cbranch_execz .LBB126_2514
.LBB126_2513:
	v_and_b32_e32 v5, 0xffff, v5
	s_and_not1_b32 s2, s2, exec_lo
	s_delay_alu instid0(VALU_DEP_1) | instskip(NEXT) | instid1(VALU_DEP_1)
	v_and_b32_e32 v9, 7, v5
	v_clz_i32_u32_e32 v10, v9
	s_delay_alu instid0(VALU_DEP_1) | instskip(NEXT) | instid1(VALU_DEP_1)
	v_min_u32_e32 v10, 32, v10
	v_subrev_nc_u32_e32 v11, 28, v10
	v_sub_nc_u32_e32 v10, 29, v10
	s_delay_alu instid0(VALU_DEP_2) | instskip(SKIP_1) | instid1(VALU_DEP_2)
	v_lshlrev_b32_e32 v11, v11, v5
	v_bfe_u32 v5, v5, 3, 4
	v_and_b32_e32 v11, 7, v11
	s_delay_alu instid0(VALU_DEP_2) | instskip(SKIP_1) | instid1(VALU_DEP_3)
	v_cmp_eq_u32_e32 vcc_lo, 0, v5
	v_cndmask_b32_e32 v5, v5, v10, vcc_lo
	v_cndmask_b32_e32 v9, v9, v11, vcc_lo
	s_delay_alu instid0(VALU_DEP_2) | instskip(NEXT) | instid1(VALU_DEP_2)
	v_lshl_add_u32 v5, v5, 23, 0x3b800000
	v_lshlrev_b32_e32 v9, 20, v9
	s_delay_alu instid0(VALU_DEP_1) | instskip(NEXT) | instid1(VALU_DEP_1)
	v_and_or_b32 v5, 0x7f800000, v5, v9
	v_cmp_ne_u32_e32 vcc_lo, 0, v5
	s_and_b32 s6, vcc_lo, exec_lo
	s_delay_alu instid0(SALU_CYCLE_1)
	s_or_b32 s2, s2, s6
.LBB126_2514:
	s_or_b32 exec_lo, exec_lo, s7
.LBB126_2515:
	s_mov_b32 s6, -1
.LBB126_2516:
	s_mov_b32 s7, 0
.LBB126_2517:
	s_delay_alu instid0(SALU_CYCLE_1)
	s_and_b32 vcc_lo, exec_lo, s7
	s_cbranch_vccz .LBB126_2550
; %bb.2518:
	v_cmp_lt_i16_e32 vcc_lo, 22, v3
	s_cbranch_vccz .LBB126_2528
; %bb.2519:
	v_cmp_gt_i16_e32 vcc_lo, 24, v3
	s_cbranch_vccnz .LBB126_2531
; %bb.2520:
	v_cmp_lt_i16_e32 vcc_lo, 24, v3
	s_cbranch_vccz .LBB126_2532
; %bb.2521:
	global_load_u8 v5, v[0:1], off
	s_mov_b32 s6, exec_lo
                                        ; implicit-def: $sgpr2
	s_waitcnt vmcnt(0)
	v_cmpx_lt_i16_e32 0x7f, v5
	s_xor_b32 s6, exec_lo, s6
	s_cbranch_execz .LBB126_2544
; %bb.2522:
	s_mov_b32 s0, -1
	s_mov_b32 s7, exec_lo
                                        ; implicit-def: $sgpr2
	v_cmpx_eq_u16_e32 0x80, v5
; %bb.2523:
	s_mov_b32 s2, -1
	s_xor_b32 s0, exec_lo, -1
; %bb.2524:
	s_or_b32 exec_lo, exec_lo, s7
	s_delay_alu instid0(SALU_CYCLE_1)
	s_and_b32 s0, s0, exec_lo
	s_and_not1_saveexec_b32 s6, s6
	s_cbranch_execnz .LBB126_2545
.LBB126_2525:
	s_or_b32 exec_lo, exec_lo, s6
	s_and_saveexec_b32 s6, s0
	s_cbranch_execz .LBB126_2527
.LBB126_2526:
	v_and_b32_e32 v5, 0xffff, v5
	s_and_not1_b32 s0, s2, exec_lo
	s_delay_alu instid0(VALU_DEP_1) | instskip(NEXT) | instid1(VALU_DEP_1)
	v_and_b32_e32 v9, 3, v5
	v_clz_i32_u32_e32 v10, v9
	s_delay_alu instid0(VALU_DEP_1) | instskip(NEXT) | instid1(VALU_DEP_1)
	v_min_u32_e32 v10, 32, v10
	v_subrev_nc_u32_e32 v11, 29, v10
	v_sub_nc_u32_e32 v10, 30, v10
	s_delay_alu instid0(VALU_DEP_2) | instskip(SKIP_1) | instid1(VALU_DEP_2)
	v_lshlrev_b32_e32 v11, v11, v5
	v_bfe_u32 v5, v5, 2, 5
	v_and_b32_e32 v11, 3, v11
	s_delay_alu instid0(VALU_DEP_2) | instskip(SKIP_1) | instid1(VALU_DEP_3)
	v_cmp_eq_u32_e32 vcc_lo, 0, v5
	v_cndmask_b32_e32 v5, v5, v10, vcc_lo
	v_cndmask_b32_e32 v9, v9, v11, vcc_lo
	s_delay_alu instid0(VALU_DEP_2) | instskip(NEXT) | instid1(VALU_DEP_2)
	v_lshl_add_u32 v5, v5, 23, 0x37800000
	v_lshlrev_b32_e32 v9, 21, v9
	s_delay_alu instid0(VALU_DEP_1) | instskip(NEXT) | instid1(VALU_DEP_1)
	v_and_or_b32 v5, 0x7f800000, v5, v9
	v_cmp_ne_u32_e32 vcc_lo, 0, v5
	s_and_b32 s2, vcc_lo, exec_lo
	s_delay_alu instid0(SALU_CYCLE_1)
	s_or_b32 s2, s0, s2
.LBB126_2527:
	s_or_b32 exec_lo, exec_lo, s6
	s_mov_b32 s0, 0
	s_branch .LBB126_2533
.LBB126_2528:
	s_mov_b32 s0, -1
                                        ; implicit-def: $sgpr2
	s_branch .LBB126_2539
.LBB126_2529:
	s_and_not1_saveexec_b32 s7, s7
	s_cbranch_execz .LBB126_2512
.LBB126_2530:
	v_cmp_ne_u16_e32 vcc_lo, 0, v5
	s_and_not1_b32 s6, s6, exec_lo
	s_and_not1_b32 s2, s2, exec_lo
	s_and_b32 s14, vcc_lo, exec_lo
	s_delay_alu instid0(SALU_CYCLE_1)
	s_or_b32 s6, s6, s14
	s_or_b32 exec_lo, exec_lo, s7
	s_and_saveexec_b32 s7, s6
	s_cbranch_execnz .LBB126_2513
	s_branch .LBB126_2514
.LBB126_2531:
	s_mov_b32 s0, -1
                                        ; implicit-def: $sgpr2
	s_branch .LBB126_2536
.LBB126_2532:
	s_mov_b32 s0, -1
                                        ; implicit-def: $sgpr2
.LBB126_2533:
	s_delay_alu instid0(SALU_CYCLE_1)
	s_and_b32 vcc_lo, exec_lo, s0
	s_cbranch_vccz .LBB126_2535
; %bb.2534:
	global_load_u8 v5, v[0:1], off
	s_and_not1_b32 s2, s2, exec_lo
	s_waitcnt vmcnt(0)
	v_lshlrev_b32_e32 v5, 24, v5
	s_delay_alu instid0(VALU_DEP_1) | instskip(NEXT) | instid1(VALU_DEP_1)
	v_and_b32_e32 v5, 0x7f000000, v5
	v_clz_i32_u32_e32 v9, v5
	v_add_nc_u32_e32 v11, 0x1000000, v5
	v_cmp_ne_u32_e32 vcc_lo, 0, v5
	s_delay_alu instid0(VALU_DEP_3) | instskip(NEXT) | instid1(VALU_DEP_3)
	v_min_u32_e32 v9, 32, v9
	v_ashrrev_i32_e32 v11, 8, v11
	s_delay_alu instid0(VALU_DEP_2) | instskip(NEXT) | instid1(VALU_DEP_1)
	v_sub_nc_u32_e64 v9, v9, 4 clamp
	v_lshlrev_b32_e32 v10, v9, v5
	v_lshlrev_b32_e32 v9, 23, v9
	s_delay_alu instid0(VALU_DEP_2) | instskip(NEXT) | instid1(VALU_DEP_1)
	v_lshrrev_b32_e32 v10, 4, v10
	v_sub_nc_u32_e32 v9, v10, v9
	v_and_b32_e32 v10, 0x7f800000, v11
	s_delay_alu instid0(VALU_DEP_2) | instskip(NEXT) | instid1(VALU_DEP_1)
	v_add_nc_u32_e32 v9, 0x3c000000, v9
	v_and_or_b32 v9, 0x7ff00000, v9, v10
	s_delay_alu instid0(VALU_DEP_1) | instskip(NEXT) | instid1(VALU_DEP_1)
	v_cmp_ne_u32_e64 s0, 0, v9
	s_and_b32 s0, vcc_lo, s0
	s_delay_alu instid0(SALU_CYCLE_1) | instskip(NEXT) | instid1(SALU_CYCLE_1)
	s_and_b32 s0, s0, exec_lo
	s_or_b32 s2, s2, s0
.LBB126_2535:
	s_mov_b32 s0, 0
.LBB126_2536:
	s_delay_alu instid0(SALU_CYCLE_1)
	s_and_not1_b32 vcc_lo, exec_lo, s0
	s_cbranch_vccnz .LBB126_2538
; %bb.2537:
	global_load_u8 v5, v[0:1], off
	s_and_not1_b32 s0, s2, exec_lo
	s_waitcnt vmcnt(0)
	v_lshlrev_b32_e32 v9, 25, v5
	v_lshlrev_b32_e32 v5, 8, v5
	s_delay_alu instid0(VALU_DEP_2) | instskip(NEXT) | instid1(VALU_DEP_2)
	v_lshrrev_b32_e32 v10, 4, v9
	v_and_or_b32 v5, 0x7f00, v5, 0.5
	s_delay_alu instid0(VALU_DEP_2) | instskip(NEXT) | instid1(VALU_DEP_1)
	v_or_b32_e32 v10, 0x70000000, v10
	v_dual_add_f32 v5, -0.5, v5 :: v_dual_mul_f32 v10, 0x7800000, v10
	v_cmp_gt_u32_e32 vcc_lo, 0x8000000, v9
	s_delay_alu instid0(VALU_DEP_2) | instskip(NEXT) | instid1(VALU_DEP_1)
	v_cndmask_b32_e32 v5, v10, v5, vcc_lo
	v_cmp_neq_f32_e32 vcc_lo, 0, v5
	s_and_b32 s2, vcc_lo, exec_lo
	s_delay_alu instid0(SALU_CYCLE_1)
	s_or_b32 s2, s0, s2
.LBB126_2538:
	s_mov_b32 s0, 0
	s_mov_b32 s6, -1
.LBB126_2539:
	s_and_not1_b32 vcc_lo, exec_lo, s0
	s_mov_b32 s0, 0
	s_cbranch_vccnz .LBB126_2550
; %bb.2540:
	v_cmp_lt_i16_e32 vcc_lo, 14, v3
	s_cbranch_vccz .LBB126_2543
; %bb.2541:
	v_cmp_eq_u16_e32 vcc_lo, 15, v3
	s_cbranch_vccz .LBB126_2546
; %bb.2542:
	global_load_u16 v5, v[0:1], off
	s_mov_b32 s3, 0
	s_mov_b32 s6, -1
	s_waitcnt vmcnt(0)
	v_and_b32_e32 v5, 0x7fff, v5
	s_delay_alu instid0(VALU_DEP_1)
	v_cmp_ne_u16_e32 vcc_lo, 0, v5
	s_and_b32 s2, vcc_lo, exec_lo
	s_branch .LBB126_2548
.LBB126_2543:
	s_mov_b32 s0, -1
	s_branch .LBB126_2547
.LBB126_2544:
	s_and_not1_saveexec_b32 s6, s6
	s_cbranch_execz .LBB126_2525
.LBB126_2545:
	v_cmp_ne_u16_e32 vcc_lo, 0, v5
	s_and_not1_b32 s0, s0, exec_lo
	s_and_not1_b32 s2, s2, exec_lo
	s_and_b32 s7, vcc_lo, exec_lo
	s_delay_alu instid0(SALU_CYCLE_1)
	s_or_b32 s0, s0, s7
	s_or_b32 exec_lo, exec_lo, s6
	s_and_saveexec_b32 s6, s0
	s_cbranch_execnz .LBB126_2526
	s_branch .LBB126_2527
.LBB126_2546:
	s_mov_b32 s3, -1
.LBB126_2547:
                                        ; implicit-def: $sgpr2
.LBB126_2548:
	s_and_b32 vcc_lo, exec_lo, s0
	s_mov_b32 s0, 0
	s_cbranch_vccz .LBB126_2550
; %bb.2549:
	v_cmp_ne_u16_e64 s3, 11, v3
	s_mov_b32 s0, -1
	s_and_not1_b32 s2, s2, exec_lo
.LBB126_2550:
	s_delay_alu instid0(VALU_DEP_1)
	s_and_b32 vcc_lo, exec_lo, s3
	s_cbranch_vccnz .LBB126_3083
; %bb.2551:
	s_and_not1_b32 vcc_lo, exec_lo, s0
	s_cbranch_vccnz .LBB126_2553
.LBB126_2552:
	global_load_u8 v5, v[0:1], off
	s_and_not1_b32 s0, s2, exec_lo
	s_mov_b32 s6, -1
	s_waitcnt vmcnt(0)
	v_cmp_ne_u16_e32 vcc_lo, 0, v5
	s_and_b32 s2, vcc_lo, exec_lo
	s_delay_alu instid0(SALU_CYCLE_1)
	s_or_b32 s2, s0, s2
.LBB126_2553:
	s_mov_b32 s0, 0
.LBB126_2554:
	s_delay_alu instid0(SALU_CYCLE_1)
	s_and_b32 vcc_lo, exec_lo, s0
	s_cbranch_vccz .LBB126_2603
; %bb.2555:
	v_cmp_gt_i16_e32 vcc_lo, 5, v3
	s_cbranch_vccnz .LBB126_2560
; %bb.2556:
	v_cmp_gt_i16_e32 vcc_lo, 8, v3
	s_cbranch_vccnz .LBB126_2561
	;; [unrolled: 3-line block ×3, first 2 shown]
; %bb.2558:
	v_cmp_lt_i16_e32 vcc_lo, 9, v3
	s_cbranch_vccz .LBB126_2563
; %bb.2559:
	global_load_b128 v[9:12], v[0:1], off
	s_waitcnt vmcnt(0)
	v_cmp_neq_f64_e32 vcc_lo, 0, v[9:10]
	v_cmp_neq_f64_e64 s0, 0, v[11:12]
	s_delay_alu instid0(VALU_DEP_1)
	s_or_b32 s2, vcc_lo, s0
	s_mov_b32 s0, 0
	s_and_b32 s2, s2, exec_lo
	s_branch .LBB126_2564
.LBB126_2560:
	s_mov_b32 s0, -1
                                        ; implicit-def: $sgpr2
	s_branch .LBB126_2582
.LBB126_2561:
	s_mov_b32 s0, -1
                                        ; implicit-def: $sgpr2
	s_branch .LBB126_2570
.LBB126_2562:
	s_mov_b32 s0, -1
                                        ; implicit-def: $sgpr2
	s_branch .LBB126_2567
.LBB126_2563:
	s_mov_b32 s0, -1
                                        ; implicit-def: $sgpr2
.LBB126_2564:
	s_delay_alu instid0(SALU_CYCLE_1)
	s_and_not1_b32 vcc_lo, exec_lo, s0
	s_cbranch_vccnz .LBB126_2566
; %bb.2565:
	global_load_b64 v[9:10], v[0:1], off
	s_and_not1_b32 s0, s2, exec_lo
	s_waitcnt vmcnt(0)
	v_or_b32_e32 v5, v9, v10
	s_delay_alu instid0(VALU_DEP_1) | instskip(NEXT) | instid1(VALU_DEP_1)
	v_and_b32_e32 v5, 0x7fffffff, v5
	v_cmp_ne_u32_e32 vcc_lo, 0, v5
	s_and_b32 s2, vcc_lo, exec_lo
	s_delay_alu instid0(SALU_CYCLE_1)
	s_or_b32 s2, s0, s2
.LBB126_2566:
	s_mov_b32 s0, 0
.LBB126_2567:
	s_delay_alu instid0(SALU_CYCLE_1)
	s_and_not1_b32 vcc_lo, exec_lo, s0
	s_cbranch_vccnz .LBB126_2569
; %bb.2568:
	global_load_b32 v5, v[0:1], off
	s_and_not1_b32 s0, s2, exec_lo
	s_waitcnt vmcnt(0)
	v_and_b32_e32 v5, 0x7fff7fff, v5
	s_delay_alu instid0(VALU_DEP_1) | instskip(SKIP_1) | instid1(SALU_CYCLE_1)
	v_cmp_ne_u32_e32 vcc_lo, 0, v5
	s_and_b32 s2, vcc_lo, exec_lo
	s_or_b32 s2, s0, s2
.LBB126_2569:
	s_mov_b32 s0, 0
.LBB126_2570:
	s_delay_alu instid0(SALU_CYCLE_1)
	s_and_not1_b32 vcc_lo, exec_lo, s0
	s_cbranch_vccnz .LBB126_2581
; %bb.2571:
	v_cmp_gt_i16_e32 vcc_lo, 6, v3
	s_cbranch_vccnz .LBB126_2574
; %bb.2572:
	v_cmp_lt_i16_e32 vcc_lo, 6, v3
	s_cbranch_vccz .LBB126_2575
; %bb.2573:
	global_load_b64 v[9:10], v[0:1], off
	s_mov_b32 s0, 0
	s_waitcnt vmcnt(0)
	v_cmp_neq_f64_e32 vcc_lo, 0, v[9:10]
	s_and_b32 s2, vcc_lo, exec_lo
	s_branch .LBB126_2576
.LBB126_2574:
	s_mov_b32 s0, -1
                                        ; implicit-def: $sgpr2
	s_branch .LBB126_2579
.LBB126_2575:
	s_mov_b32 s0, -1
                                        ; implicit-def: $sgpr2
.LBB126_2576:
	s_delay_alu instid0(SALU_CYCLE_1)
	s_and_not1_b32 vcc_lo, exec_lo, s0
	s_cbranch_vccnz .LBB126_2578
; %bb.2577:
	global_load_b32 v5, v[0:1], off
	s_and_not1_b32 s0, s2, exec_lo
	s_waitcnt vmcnt(0)
	v_cmp_neq_f32_e32 vcc_lo, 0, v5
	s_and_b32 s2, vcc_lo, exec_lo
	s_delay_alu instid0(SALU_CYCLE_1)
	s_or_b32 s2, s0, s2
.LBB126_2578:
	s_mov_b32 s0, 0
.LBB126_2579:
	s_delay_alu instid0(SALU_CYCLE_1)
	s_and_not1_b32 vcc_lo, exec_lo, s0
	s_cbranch_vccnz .LBB126_2581
; %bb.2580:
	global_load_u16 v5, v[0:1], off
	s_and_not1_b32 s0, s2, exec_lo
	s_waitcnt vmcnt(0)
	v_and_b32_e32 v5, 0x7fff, v5
	s_delay_alu instid0(VALU_DEP_1) | instskip(SKIP_1) | instid1(SALU_CYCLE_1)
	v_cmp_ne_u16_e32 vcc_lo, 0, v5
	s_and_b32 s2, vcc_lo, exec_lo
	s_or_b32 s2, s0, s2
.LBB126_2581:
	s_mov_b32 s0, 0
.LBB126_2582:
	s_delay_alu instid0(SALU_CYCLE_1)
	s_and_not1_b32 vcc_lo, exec_lo, s0
	s_cbranch_vccnz .LBB126_2602
; %bb.2583:
	v_cmp_gt_i16_e32 vcc_lo, 2, v3
	s_cbranch_vccnz .LBB126_2587
; %bb.2584:
	v_cmp_gt_i16_e32 vcc_lo, 3, v3
	s_cbranch_vccnz .LBB126_2588
; %bb.2585:
	v_cmp_lt_i16_e32 vcc_lo, 3, v3
	s_cbranch_vccz .LBB126_2589
; %bb.2586:
	global_load_b64 v[9:10], v[0:1], off
	s_mov_b32 s0, 0
	s_waitcnt vmcnt(0)
	v_cmp_ne_u64_e32 vcc_lo, 0, v[9:10]
	s_and_b32 s2, vcc_lo, exec_lo
	s_branch .LBB126_2590
.LBB126_2587:
	s_mov_b32 s0, -1
                                        ; implicit-def: $sgpr2
	s_branch .LBB126_2596
.LBB126_2588:
	s_mov_b32 s0, -1
                                        ; implicit-def: $sgpr2
	s_branch .LBB126_2593
.LBB126_2589:
	s_mov_b32 s0, -1
                                        ; implicit-def: $sgpr2
.LBB126_2590:
	s_delay_alu instid0(SALU_CYCLE_1)
	s_and_not1_b32 vcc_lo, exec_lo, s0
	s_cbranch_vccnz .LBB126_2592
; %bb.2591:
	global_load_b32 v5, v[0:1], off
	s_and_not1_b32 s0, s2, exec_lo
	s_waitcnt vmcnt(0)
	v_cmp_ne_u32_e32 vcc_lo, 0, v5
	s_and_b32 s2, vcc_lo, exec_lo
	s_delay_alu instid0(SALU_CYCLE_1)
	s_or_b32 s2, s0, s2
.LBB126_2592:
	s_mov_b32 s0, 0
.LBB126_2593:
	s_delay_alu instid0(SALU_CYCLE_1)
	s_and_not1_b32 vcc_lo, exec_lo, s0
	s_cbranch_vccnz .LBB126_2595
; %bb.2594:
	global_load_u16 v5, v[0:1], off
	s_and_not1_b32 s0, s2, exec_lo
	s_waitcnt vmcnt(0)
	v_cmp_ne_u16_e32 vcc_lo, 0, v5
	s_and_b32 s2, vcc_lo, exec_lo
	s_delay_alu instid0(SALU_CYCLE_1)
	s_or_b32 s2, s0, s2
.LBB126_2595:
	s_mov_b32 s0, 0
.LBB126_2596:
	s_delay_alu instid0(SALU_CYCLE_1)
	s_and_not1_b32 vcc_lo, exec_lo, s0
	s_cbranch_vccnz .LBB126_2602
; %bb.2597:
	v_cmp_lt_i16_e32 vcc_lo, 0, v3
	s_mov_b32 s0, 0
	s_cbranch_vccz .LBB126_2599
; %bb.2598:
	global_load_u8 v3, v[0:1], off
	s_waitcnt vmcnt(0)
	v_cmp_ne_u16_e32 vcc_lo, 0, v3
	s_and_b32 s2, vcc_lo, exec_lo
	s_branch .LBB126_2600
.LBB126_2599:
	s_mov_b32 s0, -1
                                        ; implicit-def: $sgpr2
.LBB126_2600:
	s_delay_alu instid0(SALU_CYCLE_1)
	s_and_not1_b32 vcc_lo, exec_lo, s0
	s_cbranch_vccnz .LBB126_2602
; %bb.2601:
	global_load_u8 v0, v[0:1], off
	s_and_not1_b32 s0, s2, exec_lo
	s_waitcnt vmcnt(0)
	v_cmp_ne_u16_e32 vcc_lo, 0, v0
	s_and_b32 s2, vcc_lo, exec_lo
	s_delay_alu instid0(SALU_CYCLE_1)
	s_or_b32 s2, s0, s2
.LBB126_2602:
	s_mov_b32 s6, -1
.LBB126_2603:
	s_delay_alu instid0(SALU_CYCLE_1)
	s_and_not1_b32 vcc_lo, exec_lo, s6
	s_cbranch_vccnz .LBB126_3037
; %bb.2604:
	v_mul_lo_u32 v4, s8, v4
	v_cndmask_b32_e64 v0, 0, 1.0, s1
	v_and_b32_e64 v5, 0xff, s12
	s_delay_alu instid0(VALU_DEP_2) | instskip(NEXT) | instid1(VALU_DEP_2)
	v_mul_f32_e32 v0, v2, v0
	v_cmp_gt_i16_e32 vcc_lo, 11, v5
	v_ashrrev_i32_e32 v1, 31, v4
	s_delay_alu instid0(VALU_DEP_3) | instskip(SKIP_1) | instid1(VALU_DEP_1)
	v_mul_f32_e32 v2, s11, v0
	v_add_co_u32 v0, s0, s4, v4
	v_add_co_ci_u32_e64 v1, s0, s5, v1, s0
	s_cbranch_vccnz .LBB126_2682
; %bb.2605:
	v_cmp_lt_i16_e32 vcc_lo, 25, v5
	s_mov_b32 s6, -1
	s_mov_b32 s1, 0
	s_mov_b32 s3, 0
	;; [unrolled: 1-line block ×3, first 2 shown]
	s_cbranch_vccz .LBB126_2638
; %bb.2606:
	v_cmp_lt_i16_e32 vcc_lo, 28, v5
	s_cbranch_vccz .LBB126_2621
; %bb.2607:
	v_cmp_lt_i16_e32 vcc_lo, 43, v5
	;; [unrolled: 3-line block ×3, first 2 shown]
	s_cbranch_vccz .LBB126_2611
; %bb.2609:
	v_cmp_eq_u16_e32 vcc_lo, 46, v5
	s_mov_b32 s0, -1
	s_mov_b32 s6, 0
	s_cbranch_vccz .LBB126_2611
; %bb.2610:
	v_bfe_u32 v3, v2, 16, 1
	v_cmp_o_f32_e32 vcc_lo, v2, v2
	s_mov_b32 s0, 0
	s_mov_b32 s3, -1
	s_delay_alu instid0(VALU_DEP_2) | instskip(NEXT) | instid1(VALU_DEP_1)
	v_add3_u32 v3, v2, v3, 0x7fff
	v_lshrrev_b32_e32 v3, 16, v3
	s_delay_alu instid0(VALU_DEP_1)
	v_cndmask_b32_e32 v3, 0x7fc0, v3, vcc_lo
	global_store_b32 v[0:1], v3, off
.LBB126_2611:
	s_and_b32 vcc_lo, exec_lo, s6
	s_cbranch_vccz .LBB126_2616
; %bb.2612:
	v_cmp_eq_u16_e32 vcc_lo, 44, v5
	s_mov_b32 s0, -1
	s_cbranch_vccz .LBB126_2616
; %bb.2613:
	v_bfe_u32 v9, v2, 23, 8
	v_mov_b32_e32 v3, 0xff
	s_mov_b32 s3, exec_lo
	s_delay_alu instid0(VALU_DEP_2)
	v_cmpx_ne_u32_e32 0xff, v9
; %bb.2614:
	v_and_b32_e32 v3, 0x400000, v2
	v_and_or_b32 v9, 0x3fffff, v2, v9
	s_delay_alu instid0(VALU_DEP_2) | instskip(NEXT) | instid1(VALU_DEP_2)
	v_cmp_ne_u32_e32 vcc_lo, 0, v3
	v_cmp_ne_u32_e64 s0, 0, v9
	v_lshrrev_b32_e32 v3, 23, v2
	s_delay_alu instid0(VALU_DEP_2) | instskip(NEXT) | instid1(SALU_CYCLE_1)
	s_and_b32 s0, vcc_lo, s0
	v_cndmask_b32_e64 v9, 0, 1, s0
	s_delay_alu instid0(VALU_DEP_1)
	v_add_nc_u32_e32 v3, v3, v9
; %bb.2615:
	s_or_b32 exec_lo, exec_lo, s3
	s_mov_b32 s0, 0
	s_mov_b32 s3, -1
	global_store_b8 v[0:1], v3, off
.LBB126_2616:
	s_mov_b32 s6, 0
.LBB126_2617:
	s_delay_alu instid0(SALU_CYCLE_1)
	s_and_b32 vcc_lo, exec_lo, s6
	s_cbranch_vccz .LBB126_2620
; %bb.2618:
	v_cmp_eq_u16_e32 vcc_lo, 29, v5
	s_mov_b32 s0, -1
	s_cbranch_vccz .LBB126_2620
; %bb.2619:
	v_trunc_f32_e32 v3, v2
	s_mov_b32 s0, 0
	s_mov_b32 s3, -1
	s_delay_alu instid0(VALU_DEP_1) | instskip(NEXT) | instid1(VALU_DEP_1)
	v_mul_f32_e32 v9, 0x2f800000, v3
	v_floor_f32_e32 v9, v9
	s_delay_alu instid0(VALU_DEP_1) | instskip(SKIP_1) | instid1(VALU_DEP_2)
	v_fmamk_f32 v3, v9, 0xcf800000, v3
	v_cvt_u32_f32_e32 v10, v9
	v_cvt_u32_f32_e32 v9, v3
	global_store_b64 v[0:1], v[9:10], off
.LBB126_2620:
	s_mov_b32 s6, 0
.LBB126_2621:
	s_delay_alu instid0(SALU_CYCLE_1)
	s_and_b32 vcc_lo, exec_lo, s6
	s_cbranch_vccz .LBB126_2637
; %bb.2622:
	v_cmp_gt_i16_e32 vcc_lo, 27, v5
	s_mov_b32 s3, -1
	s_cbranch_vccnz .LBB126_2628
; %bb.2623:
	v_cmp_lt_i16_e32 vcc_lo, 27, v5
	v_cvt_u32_f32_e32 v3, v2
	s_cbranch_vccz .LBB126_2625
; %bb.2624:
	s_mov_b32 s3, 0
	global_store_b32 v[0:1], v3, off
.LBB126_2625:
	s_and_not1_b32 vcc_lo, exec_lo, s3
	s_cbranch_vccnz .LBB126_2627
; %bb.2626:
	global_store_b16 v[0:1], v3, off
.LBB126_2627:
	s_mov_b32 s3, 0
.LBB126_2628:
	s_delay_alu instid0(SALU_CYCLE_1)
	s_and_not1_b32 vcc_lo, exec_lo, s3
	s_cbranch_vccnz .LBB126_2636
; %bb.2629:
	v_and_b32_e32 v3, 0x7fffffff, v2
	v_mov_b32_e32 v9, 0x80
	s_mov_b32 s3, exec_lo
	s_delay_alu instid0(VALU_DEP_2)
	v_cmpx_gt_u32_e32 0x43800000, v3
	s_cbranch_execz .LBB126_2635
; %bb.2630:
	v_cmp_lt_u32_e32 vcc_lo, 0x3bffffff, v3
	s_mov_b32 s6, 0
                                        ; implicit-def: $vgpr3
	s_and_saveexec_b32 s7, vcc_lo
	s_delay_alu instid0(SALU_CYCLE_1)
	s_xor_b32 s7, exec_lo, s7
	s_cbranch_execz .LBB126_3085
; %bb.2631:
	v_bfe_u32 v3, v2, 20, 1
	s_mov_b32 s6, exec_lo
	s_delay_alu instid0(VALU_DEP_1) | instskip(NEXT) | instid1(VALU_DEP_1)
	v_add3_u32 v3, v2, v3, 0x487ffff
	v_lshrrev_b32_e32 v3, 20, v3
	s_or_saveexec_b32 s7, s7
                                        ; implicit-def: $sgpr12
	s_delay_alu instid0(SALU_CYCLE_1)
	s_xor_b32 exec_lo, exec_lo, s7
	s_cbranch_execnz .LBB126_3086
.LBB126_2632:
	s_or_b32 exec_lo, exec_lo, s7
	v_mov_b32_e32 v9, s12
	s_and_saveexec_b32 s7, s6
.LBB126_2633:
	v_lshrrev_b32_e32 v9, 24, v2
	s_delay_alu instid0(VALU_DEP_1)
	v_and_or_b32 v9, 0x80, v9, v3
.LBB126_2634:
	s_or_b32 exec_lo, exec_lo, s7
.LBB126_2635:
	s_delay_alu instid0(SALU_CYCLE_1)
	s_or_b32 exec_lo, exec_lo, s3
	global_store_b8 v[0:1], v9, off
.LBB126_2636:
	s_mov_b32 s3, -1
.LBB126_2637:
	s_mov_b32 s6, 0
.LBB126_2638:
	s_delay_alu instid0(SALU_CYCLE_1)
	s_and_b32 vcc_lo, exec_lo, s6
	s_cbranch_vccz .LBB126_2678
; %bb.2639:
	v_cmp_lt_i16_e32 vcc_lo, 22, v5
	s_mov_b32 s1, -1
	s_cbranch_vccz .LBB126_2671
; %bb.2640:
	v_cmp_gt_i16_e32 vcc_lo, 24, v5
	s_cbranch_vccnz .LBB126_2660
; %bb.2641:
	v_cmp_lt_i16_e32 vcc_lo, 24, v5
	s_cbranch_vccz .LBB126_2649
; %bb.2642:
	v_and_b32_e32 v3, 0x7fffffff, v2
	v_mov_b32_e32 v9, 0x80
	s_mov_b32 s1, exec_lo
	s_delay_alu instid0(VALU_DEP_2)
	v_cmpx_gt_u32_e32 0x47800000, v3
	s_cbranch_execz .LBB126_2648
; %bb.2643:
	v_cmp_lt_u32_e32 vcc_lo, 0x37ffffff, v3
	s_mov_b32 s3, 0
                                        ; implicit-def: $vgpr3
	s_and_saveexec_b32 s6, vcc_lo
	s_delay_alu instid0(SALU_CYCLE_1)
	s_xor_b32 s6, exec_lo, s6
	s_cbranch_execz .LBB126_3091
; %bb.2644:
	v_bfe_u32 v3, v2, 21, 1
	s_mov_b32 s3, exec_lo
	s_delay_alu instid0(VALU_DEP_1) | instskip(NEXT) | instid1(VALU_DEP_1)
	v_add3_u32 v3, v2, v3, 0x88fffff
	v_lshrrev_b32_e32 v3, 21, v3
	s_or_saveexec_b32 s6, s6
                                        ; implicit-def: $sgpr7
	s_delay_alu instid0(SALU_CYCLE_1)
	s_xor_b32 exec_lo, exec_lo, s6
	s_cbranch_execnz .LBB126_3092
.LBB126_2645:
	s_or_b32 exec_lo, exec_lo, s6
	v_mov_b32_e32 v9, s7
	s_and_saveexec_b32 s6, s3
.LBB126_2646:
	v_lshrrev_b32_e32 v9, 24, v2
	s_delay_alu instid0(VALU_DEP_1)
	v_and_or_b32 v9, 0x80, v9, v3
.LBB126_2647:
	s_or_b32 exec_lo, exec_lo, s6
.LBB126_2648:
	s_delay_alu instid0(SALU_CYCLE_1)
	s_or_b32 exec_lo, exec_lo, s1
	s_mov_b32 s1, 0
	global_store_b8 v[0:1], v9, off
.LBB126_2649:
	s_and_b32 vcc_lo, exec_lo, s1
	s_cbranch_vccz .LBB126_2659
; %bb.2650:
	v_and_b32_e32 v9, 0x7fffffff, v2
	s_mov_b32 s1, exec_lo
                                        ; implicit-def: $vgpr3
	s_delay_alu instid0(VALU_DEP_1)
	v_cmpx_gt_u32_e32 0x43f00000, v9
	s_xor_b32 s1, exec_lo, s1
	s_cbranch_execz .LBB126_2656
; %bb.2651:
	s_mov_b32 s3, exec_lo
                                        ; implicit-def: $vgpr3
	v_cmpx_lt_u32_e32 0x3c7fffff, v9
	s_xor_b32 s3, exec_lo, s3
; %bb.2652:
	v_bfe_u32 v3, v2, 20, 1
	s_delay_alu instid0(VALU_DEP_1) | instskip(NEXT) | instid1(VALU_DEP_1)
	v_add3_u32 v3, v2, v3, 0x407ffff
	v_and_b32_e32 v9, 0xff00000, v3
	v_lshrrev_b32_e32 v3, 20, v3
	s_delay_alu instid0(VALU_DEP_2) | instskip(NEXT) | instid1(VALU_DEP_2)
	v_cmp_ne_u32_e32 vcc_lo, 0x7f00000, v9
	v_cndmask_b32_e32 v3, 0x7e, v3, vcc_lo
; %bb.2653:
	s_and_not1_saveexec_b32 s3, s3
; %bb.2654:
	v_add_f32_e64 v3, 0x46800000, |v2|
; %bb.2655:
	s_or_b32 exec_lo, exec_lo, s3
                                        ; implicit-def: $vgpr9
.LBB126_2656:
	s_and_not1_saveexec_b32 s1, s1
; %bb.2657:
	v_mov_b32_e32 v3, 0x7f
	v_cmp_lt_u32_e32 vcc_lo, 0x7f800000, v9
	s_delay_alu instid0(VALU_DEP_2)
	v_cndmask_b32_e32 v3, 0x7e, v3, vcc_lo
; %bb.2658:
	s_or_b32 exec_lo, exec_lo, s1
	v_lshrrev_b32_e32 v9, 24, v2
	s_delay_alu instid0(VALU_DEP_1)
	v_and_or_b32 v3, 0x80, v9, v3
	global_store_b8 v[0:1], v3, off
.LBB126_2659:
	s_mov_b32 s1, 0
.LBB126_2660:
	s_delay_alu instid0(SALU_CYCLE_1)
	s_and_not1_b32 vcc_lo, exec_lo, s1
	s_cbranch_vccnz .LBB126_2670
; %bb.2661:
	v_and_b32_e32 v9, 0x7fffffff, v2
	s_mov_b32 s1, exec_lo
                                        ; implicit-def: $vgpr3
	s_delay_alu instid0(VALU_DEP_1)
	v_cmpx_gt_u32_e32 0x47800000, v9
	s_xor_b32 s1, exec_lo, s1
	s_cbranch_execz .LBB126_2667
; %bb.2662:
	s_mov_b32 s3, exec_lo
                                        ; implicit-def: $vgpr3
	v_cmpx_lt_u32_e32 0x387fffff, v9
	s_xor_b32 s3, exec_lo, s3
; %bb.2663:
	v_bfe_u32 v3, v2, 21, 1
	s_delay_alu instid0(VALU_DEP_1) | instskip(NEXT) | instid1(VALU_DEP_1)
	v_add3_u32 v3, v2, v3, 0x80fffff
	v_lshrrev_b32_e32 v3, 21, v3
; %bb.2664:
	s_and_not1_saveexec_b32 s3, s3
; %bb.2665:
	v_add_f32_e64 v3, 0x43000000, |v2|
; %bb.2666:
	s_or_b32 exec_lo, exec_lo, s3
                                        ; implicit-def: $vgpr9
.LBB126_2667:
	s_and_not1_saveexec_b32 s1, s1
; %bb.2668:
	v_mov_b32_e32 v3, 0x7f
	v_cmp_lt_u32_e32 vcc_lo, 0x7f800000, v9
	s_delay_alu instid0(VALU_DEP_2)
	v_cndmask_b32_e32 v3, 0x7c, v3, vcc_lo
; %bb.2669:
	s_or_b32 exec_lo, exec_lo, s1
	v_lshrrev_b32_e32 v9, 24, v2
	s_delay_alu instid0(VALU_DEP_1)
	v_and_or_b32 v3, 0x80, v9, v3
	global_store_b8 v[0:1], v3, off
.LBB126_2670:
	s_mov_b32 s1, 0
	s_mov_b32 s3, -1
.LBB126_2671:
	s_and_not1_b32 vcc_lo, exec_lo, s1
	s_mov_b32 s1, 0
	s_cbranch_vccnz .LBB126_2678
; %bb.2672:
	v_cmp_lt_i16_e32 vcc_lo, 14, v5
	s_mov_b32 s1, -1
	s_cbranch_vccz .LBB126_2676
; %bb.2673:
	v_cmp_eq_u16_e32 vcc_lo, 15, v5
	s_mov_b32 s0, -1
	s_cbranch_vccz .LBB126_2675
; %bb.2674:
	v_bfe_u32 v3, v2, 16, 1
	v_cmp_o_f32_e32 vcc_lo, v2, v2
	s_mov_b32 s0, 0
	s_mov_b32 s3, -1
	s_delay_alu instid0(VALU_DEP_2) | instskip(NEXT) | instid1(VALU_DEP_1)
	v_add3_u32 v3, v2, v3, 0x7fff
	v_lshrrev_b32_e32 v3, 16, v3
	s_delay_alu instid0(VALU_DEP_1)
	v_cndmask_b32_e32 v3, 0x7fc0, v3, vcc_lo
	global_store_b16 v[0:1], v3, off
.LBB126_2675:
	s_mov_b32 s1, 0
.LBB126_2676:
	s_delay_alu instid0(SALU_CYCLE_1)
	s_and_b32 vcc_lo, exec_lo, s1
	s_mov_b32 s1, 0
	s_cbranch_vccz .LBB126_2678
; %bb.2677:
	v_cmp_ne_u16_e64 s0, 11, v5
	s_mov_b32 s1, -1
.LBB126_2678:
	s_delay_alu instid0(VALU_DEP_1)
	s_and_b32 vcc_lo, exec_lo, s0
	s_cbranch_vccnz .LBB126_3089
; %bb.2679:
	s_and_not1_b32 vcc_lo, exec_lo, s1
	s_cbranch_vccnz .LBB126_2681
.LBB126_2680:
	v_cmp_neq_f32_e32 vcc_lo, 0, v2
	s_mov_b32 s3, -1
	v_cndmask_b32_e64 v3, 0, 1, vcc_lo
	global_store_b8 v[0:1], v3, off
.LBB126_2681:
	s_mov_b32 s0, 0
	s_branch .LBB126_2683
.LBB126_2682:
	s_mov_b32 s0, -1
	s_mov_b32 s3, 0
.LBB126_2683:
	s_and_b32 vcc_lo, exec_lo, s0
	s_cbranch_vccz .LBB126_2722
; %bb.2684:
	v_cmp_gt_i16_e32 vcc_lo, 5, v5
	s_mov_b32 s0, -1
	s_cbranch_vccnz .LBB126_2705
; %bb.2685:
	v_cmp_gt_i16_e32 vcc_lo, 8, v5
	s_cbranch_vccnz .LBB126_2695
; %bb.2686:
	v_cmp_gt_i16_e32 vcc_lo, 9, v5
	s_cbranch_vccnz .LBB126_2692
; %bb.2687:
	v_cmp_lt_i16_e32 vcc_lo, 9, v5
	s_cbranch_vccz .LBB126_2689
; %bb.2688:
	v_cvt_f64_f32_e32 v[9:10], v2
	v_mov_b32_e32 v11, 0
	s_mov_b32 s0, 0
	s_delay_alu instid0(VALU_DEP_1)
	v_mov_b32_e32 v12, v11
	global_store_b128 v[0:1], v[9:12], off
.LBB126_2689:
	s_and_not1_b32 vcc_lo, exec_lo, s0
	s_cbranch_vccnz .LBB126_2691
; %bb.2690:
	v_mov_b32_e32 v3, 0
	global_store_b64 v[0:1], v[2:3], off
.LBB126_2691:
	s_mov_b32 s0, 0
.LBB126_2692:
	s_delay_alu instid0(SALU_CYCLE_1)
	s_and_not1_b32 vcc_lo, exec_lo, s0
	s_cbranch_vccnz .LBB126_2694
; %bb.2693:
	v_cvt_f16_f32_e32 v3, v2
	s_delay_alu instid0(VALU_DEP_1)
	v_and_b32_e32 v3, 0xffff, v3
	global_store_b32 v[0:1], v3, off
.LBB126_2694:
	s_mov_b32 s0, 0
.LBB126_2695:
	s_delay_alu instid0(SALU_CYCLE_1)
	s_and_not1_b32 vcc_lo, exec_lo, s0
	s_cbranch_vccnz .LBB126_2704
; %bb.2696:
	v_cmp_gt_i16_e32 vcc_lo, 6, v5
	s_mov_b32 s0, -1
	s_cbranch_vccnz .LBB126_2702
; %bb.2697:
	v_cmp_lt_i16_e32 vcc_lo, 6, v5
	s_cbranch_vccz .LBB126_2699
; %bb.2698:
	v_cvt_f64_f32_e32 v[9:10], v2
	s_mov_b32 s0, 0
	global_store_b64 v[0:1], v[9:10], off
.LBB126_2699:
	s_and_not1_b32 vcc_lo, exec_lo, s0
	s_cbranch_vccnz .LBB126_2701
; %bb.2700:
	global_store_b32 v[0:1], v2, off
.LBB126_2701:
	s_mov_b32 s0, 0
.LBB126_2702:
	s_delay_alu instid0(SALU_CYCLE_1)
	s_and_not1_b32 vcc_lo, exec_lo, s0
	s_cbranch_vccnz .LBB126_2704
; %bb.2703:
	v_cvt_f16_f32_e32 v3, v2
	global_store_b16 v[0:1], v3, off
.LBB126_2704:
	s_mov_b32 s0, 0
.LBB126_2705:
	s_delay_alu instid0(SALU_CYCLE_1)
	s_and_not1_b32 vcc_lo, exec_lo, s0
	s_cbranch_vccnz .LBB126_2721
; %bb.2706:
	v_cmp_gt_i16_e32 vcc_lo, 2, v5
	s_mov_b32 s0, -1
	s_cbranch_vccnz .LBB126_2716
; %bb.2707:
	v_cmp_gt_i16_e32 vcc_lo, 3, v5
	s_cbranch_vccnz .LBB126_2713
; %bb.2708:
	v_cmp_lt_i16_e32 vcc_lo, 3, v5
	s_cbranch_vccz .LBB126_2710
; %bb.2709:
	v_trunc_f32_e32 v3, v2
	s_mov_b32 s0, 0
	s_delay_alu instid0(VALU_DEP_1) | instskip(NEXT) | instid1(VALU_DEP_1)
	v_mul_f32_e64 v9, 0x2f800000, |v3|
	v_floor_f32_e32 v9, v9
	s_delay_alu instid0(VALU_DEP_1) | instskip(SKIP_2) | instid1(VALU_DEP_3)
	v_fma_f32 v10, 0xcf800000, v9, |v3|
	v_ashrrev_i32_e32 v3, 31, v3
	v_cvt_u32_f32_e32 v9, v9
	v_cvt_u32_f32_e32 v10, v10
	s_delay_alu instid0(VALU_DEP_2) | instskip(NEXT) | instid1(VALU_DEP_2)
	v_xor_b32_e32 v11, v9, v3
	v_xor_b32_e32 v10, v10, v3
	s_delay_alu instid0(VALU_DEP_1) | instskip(NEXT) | instid1(VALU_DEP_3)
	v_sub_co_u32 v9, vcc_lo, v10, v3
	v_sub_co_ci_u32_e32 v10, vcc_lo, v11, v3, vcc_lo
	global_store_b64 v[0:1], v[9:10], off
.LBB126_2710:
	s_and_not1_b32 vcc_lo, exec_lo, s0
	s_cbranch_vccnz .LBB126_2712
; %bb.2711:
	v_cvt_i32_f32_e32 v3, v2
	global_store_b32 v[0:1], v3, off
.LBB126_2712:
	s_mov_b32 s0, 0
.LBB126_2713:
	s_delay_alu instid0(SALU_CYCLE_1)
	s_and_not1_b32 vcc_lo, exec_lo, s0
	s_cbranch_vccnz .LBB126_2715
; %bb.2714:
	v_cvt_i32_f32_e32 v3, v2
	global_store_b16 v[0:1], v3, off
.LBB126_2715:
	s_mov_b32 s0, 0
.LBB126_2716:
	s_delay_alu instid0(SALU_CYCLE_1)
	s_and_not1_b32 vcc_lo, exec_lo, s0
	s_cbranch_vccnz .LBB126_2721
; %bb.2717:
	v_cmp_lt_i16_e32 vcc_lo, 0, v5
	s_mov_b32 s0, -1
	s_cbranch_vccz .LBB126_2719
; %bb.2718:
	v_cvt_i32_f32_e32 v3, v2
	s_mov_b32 s0, 0
	global_store_b8 v[0:1], v3, off
.LBB126_2719:
	s_and_not1_b32 vcc_lo, exec_lo, s0
	s_cbranch_vccnz .LBB126_2721
; %bb.2720:
	v_trunc_f32_e32 v2, v2
	s_delay_alu instid0(VALU_DEP_1) | instskip(NEXT) | instid1(VALU_DEP_1)
	v_mul_f32_e64 v3, 0x2f800000, |v2|
	v_floor_f32_e32 v3, v3
	s_delay_alu instid0(VALU_DEP_1) | instskip(SKIP_1) | instid1(VALU_DEP_2)
	v_fma_f32 v3, 0xcf800000, v3, |v2|
	v_ashrrev_i32_e32 v2, 31, v2
	v_cvt_u32_f32_e32 v3, v3
	s_delay_alu instid0(VALU_DEP_1) | instskip(NEXT) | instid1(VALU_DEP_1)
	v_xor_b32_e32 v3, v3, v2
	v_sub_nc_u32_e32 v2, v3, v2
	global_store_b8 v[0:1], v2, off
.LBB126_2721:
	s_mov_b32 s3, -1
.LBB126_2722:
	s_delay_alu instid0(SALU_CYCLE_1)
	s_and_not1_b32 vcc_lo, exec_lo, s3
	s_cbranch_vccnz .LBB126_3037
; %bb.2723:
	v_cndmask_b32_e64 v0, 0, 1.0, s9
	s_lshl_b32 s1, s8, 7
	v_cmp_gt_i16_e32 vcc_lo, 11, v5
	v_add_nc_u32_e32 v4, s1, v4
	s_waitcnt vmcnt(0)
	v_mul_f32_e32 v0, v6, v0
	s_and_b32 vcc_lo, exec_lo, vcc_lo
	s_delay_alu instid0(VALU_DEP_2) | instskip(NEXT) | instid1(VALU_DEP_2)
	v_ashrrev_i32_e32 v1, 31, v4
	v_mul_f32_e32 v2, s11, v0
	v_add_co_u32 v0, s0, s4, v4
	s_delay_alu instid0(VALU_DEP_1)
	v_add_co_ci_u32_e64 v1, s0, s5, v1, s0
	s_cbranch_vccnz .LBB126_2801
; %bb.2724:
	v_cmp_lt_i16_e32 vcc_lo, 25, v5
	s_mov_b32 s7, -1
	s_mov_b32 s3, 0
	s_mov_b32 s6, 0
	;; [unrolled: 1-line block ×3, first 2 shown]
	s_cbranch_vccz .LBB126_2757
; %bb.2725:
	v_cmp_lt_i16_e32 vcc_lo, 28, v5
	s_cbranch_vccz .LBB126_2740
; %bb.2726:
	v_cmp_lt_i16_e32 vcc_lo, 43, v5
	;; [unrolled: 3-line block ×3, first 2 shown]
	s_cbranch_vccz .LBB126_2730
; %bb.2728:
	v_cmp_eq_u16_e32 vcc_lo, 46, v5
	s_mov_b32 s0, -1
	s_mov_b32 s7, 0
	s_cbranch_vccz .LBB126_2730
; %bb.2729:
	v_bfe_u32 v3, v2, 16, 1
	v_cmp_o_f32_e32 vcc_lo, v2, v2
	s_mov_b32 s0, 0
	s_mov_b32 s6, -1
	s_delay_alu instid0(VALU_DEP_2) | instskip(NEXT) | instid1(VALU_DEP_1)
	v_add3_u32 v3, v2, v3, 0x7fff
	v_lshrrev_b32_e32 v3, 16, v3
	s_delay_alu instid0(VALU_DEP_1)
	v_cndmask_b32_e32 v3, 0x7fc0, v3, vcc_lo
	global_store_b32 v[0:1], v3, off
.LBB126_2730:
	s_and_b32 vcc_lo, exec_lo, s7
	s_cbranch_vccz .LBB126_2735
; %bb.2731:
	v_cmp_eq_u16_e32 vcc_lo, 44, v5
	s_mov_b32 s0, -1
	s_cbranch_vccz .LBB126_2735
; %bb.2732:
	v_bfe_u32 v6, v2, 23, 8
	v_mov_b32_e32 v3, 0xff
	s_mov_b32 s6, exec_lo
	s_delay_alu instid0(VALU_DEP_2)
	v_cmpx_ne_u32_e32 0xff, v6
; %bb.2733:
	v_and_b32_e32 v3, 0x400000, v2
	v_and_or_b32 v6, 0x3fffff, v2, v6
	s_delay_alu instid0(VALU_DEP_2) | instskip(NEXT) | instid1(VALU_DEP_2)
	v_cmp_ne_u32_e32 vcc_lo, 0, v3
	v_cmp_ne_u32_e64 s0, 0, v6
	v_lshrrev_b32_e32 v3, 23, v2
	s_delay_alu instid0(VALU_DEP_2) | instskip(NEXT) | instid1(SALU_CYCLE_1)
	s_and_b32 s0, vcc_lo, s0
	v_cndmask_b32_e64 v6, 0, 1, s0
	s_delay_alu instid0(VALU_DEP_1)
	v_add_nc_u32_e32 v3, v3, v6
; %bb.2734:
	s_or_b32 exec_lo, exec_lo, s6
	s_mov_b32 s0, 0
	s_mov_b32 s6, -1
	global_store_b8 v[0:1], v3, off
.LBB126_2735:
	s_mov_b32 s7, 0
.LBB126_2736:
	s_delay_alu instid0(SALU_CYCLE_1)
	s_and_b32 vcc_lo, exec_lo, s7
	s_cbranch_vccz .LBB126_2739
; %bb.2737:
	v_cmp_eq_u16_e32 vcc_lo, 29, v5
	s_mov_b32 s0, -1
	s_cbranch_vccz .LBB126_2739
; %bb.2738:
	v_trunc_f32_e32 v3, v2
	s_mov_b32 s0, 0
	s_mov_b32 s6, -1
	s_delay_alu instid0(VALU_DEP_1) | instskip(NEXT) | instid1(VALU_DEP_1)
	v_mul_f32_e32 v6, 0x2f800000, v3
	v_floor_f32_e32 v6, v6
	s_delay_alu instid0(VALU_DEP_1) | instskip(SKIP_1) | instid1(VALU_DEP_2)
	v_fmamk_f32 v3, v6, 0xcf800000, v3
	v_cvt_u32_f32_e32 v10, v6
	v_cvt_u32_f32_e32 v9, v3
	global_store_b64 v[0:1], v[9:10], off
.LBB126_2739:
	s_mov_b32 s7, 0
.LBB126_2740:
	s_delay_alu instid0(SALU_CYCLE_1)
	s_and_b32 vcc_lo, exec_lo, s7
	s_cbranch_vccz .LBB126_2756
; %bb.2741:
	v_cmp_gt_i16_e32 vcc_lo, 27, v5
	s_mov_b32 s6, -1
	s_cbranch_vccnz .LBB126_2747
; %bb.2742:
	v_cmp_lt_i16_e32 vcc_lo, 27, v5
	v_cvt_u32_f32_e32 v3, v2
	s_cbranch_vccz .LBB126_2744
; %bb.2743:
	s_mov_b32 s6, 0
	global_store_b32 v[0:1], v3, off
.LBB126_2744:
	s_and_not1_b32 vcc_lo, exec_lo, s6
	s_cbranch_vccnz .LBB126_2746
; %bb.2745:
	global_store_b16 v[0:1], v3, off
.LBB126_2746:
	s_mov_b32 s6, 0
.LBB126_2747:
	s_delay_alu instid0(SALU_CYCLE_1)
	s_and_not1_b32 vcc_lo, exec_lo, s6
	s_cbranch_vccnz .LBB126_2755
; %bb.2748:
	v_and_b32_e32 v3, 0x7fffffff, v2
	v_mov_b32_e32 v6, 0x80
	s_mov_b32 s6, exec_lo
	s_delay_alu instid0(VALU_DEP_2)
	v_cmpx_gt_u32_e32 0x43800000, v3
	s_cbranch_execz .LBB126_2754
; %bb.2749:
	v_cmp_lt_u32_e32 vcc_lo, 0x3bffffff, v3
	s_mov_b32 s7, 0
                                        ; implicit-def: $vgpr3
	s_and_saveexec_b32 s8, vcc_lo
	s_delay_alu instid0(SALU_CYCLE_1)
	s_xor_b32 s8, exec_lo, s8
	s_cbranch_execz .LBB126_3093
; %bb.2750:
	v_bfe_u32 v3, v2, 20, 1
	s_mov_b32 s7, exec_lo
	s_delay_alu instid0(VALU_DEP_1) | instskip(NEXT) | instid1(VALU_DEP_1)
	v_add3_u32 v3, v2, v3, 0x487ffff
	v_lshrrev_b32_e32 v3, 20, v3
	s_or_saveexec_b32 s8, s8
                                        ; implicit-def: $sgpr9
	s_delay_alu instid0(SALU_CYCLE_1)
	s_xor_b32 exec_lo, exec_lo, s8
	s_cbranch_execnz .LBB126_3094
.LBB126_2751:
	s_or_b32 exec_lo, exec_lo, s8
	v_mov_b32_e32 v6, s9
	s_and_saveexec_b32 s8, s7
.LBB126_2752:
	v_lshrrev_b32_e32 v6, 24, v2
	s_delay_alu instid0(VALU_DEP_1)
	v_and_or_b32 v6, 0x80, v6, v3
.LBB126_2753:
	s_or_b32 exec_lo, exec_lo, s8
.LBB126_2754:
	s_delay_alu instid0(SALU_CYCLE_1)
	s_or_b32 exec_lo, exec_lo, s6
	global_store_b8 v[0:1], v6, off
.LBB126_2755:
	s_mov_b32 s6, -1
.LBB126_2756:
	s_mov_b32 s7, 0
.LBB126_2757:
	s_delay_alu instid0(SALU_CYCLE_1)
	s_and_b32 vcc_lo, exec_lo, s7
	s_cbranch_vccz .LBB126_2797
; %bb.2758:
	v_cmp_lt_i16_e32 vcc_lo, 22, v5
	s_mov_b32 s3, -1
	s_cbranch_vccz .LBB126_2790
; %bb.2759:
	v_cmp_gt_i16_e32 vcc_lo, 24, v5
	s_cbranch_vccnz .LBB126_2779
; %bb.2760:
	v_cmp_lt_i16_e32 vcc_lo, 24, v5
	s_cbranch_vccz .LBB126_2768
; %bb.2761:
	v_and_b32_e32 v3, 0x7fffffff, v2
	v_mov_b32_e32 v6, 0x80
	s_mov_b32 s3, exec_lo
	s_delay_alu instid0(VALU_DEP_2)
	v_cmpx_gt_u32_e32 0x47800000, v3
	s_cbranch_execz .LBB126_2767
; %bb.2762:
	v_cmp_lt_u32_e32 vcc_lo, 0x37ffffff, v3
	s_mov_b32 s6, 0
                                        ; implicit-def: $vgpr3
	s_and_saveexec_b32 s7, vcc_lo
	s_delay_alu instid0(SALU_CYCLE_1)
	s_xor_b32 s7, exec_lo, s7
	s_cbranch_execz .LBB126_3099
; %bb.2763:
	v_bfe_u32 v3, v2, 21, 1
	s_mov_b32 s6, exec_lo
	s_delay_alu instid0(VALU_DEP_1) | instskip(NEXT) | instid1(VALU_DEP_1)
	v_add3_u32 v3, v2, v3, 0x88fffff
	v_lshrrev_b32_e32 v3, 21, v3
	s_or_saveexec_b32 s7, s7
                                        ; implicit-def: $sgpr8
	s_delay_alu instid0(SALU_CYCLE_1)
	s_xor_b32 exec_lo, exec_lo, s7
	s_cbranch_execnz .LBB126_3100
.LBB126_2764:
	s_or_b32 exec_lo, exec_lo, s7
	v_mov_b32_e32 v6, s8
	s_and_saveexec_b32 s7, s6
.LBB126_2765:
	v_lshrrev_b32_e32 v6, 24, v2
	s_delay_alu instid0(VALU_DEP_1)
	v_and_or_b32 v6, 0x80, v6, v3
.LBB126_2766:
	s_or_b32 exec_lo, exec_lo, s7
.LBB126_2767:
	s_delay_alu instid0(SALU_CYCLE_1)
	s_or_b32 exec_lo, exec_lo, s3
	s_mov_b32 s3, 0
	global_store_b8 v[0:1], v6, off
.LBB126_2768:
	s_and_b32 vcc_lo, exec_lo, s3
	s_cbranch_vccz .LBB126_2778
; %bb.2769:
	v_and_b32_e32 v6, 0x7fffffff, v2
	s_mov_b32 s3, exec_lo
                                        ; implicit-def: $vgpr3
	s_delay_alu instid0(VALU_DEP_1)
	v_cmpx_gt_u32_e32 0x43f00000, v6
	s_xor_b32 s3, exec_lo, s3
	s_cbranch_execz .LBB126_2775
; %bb.2770:
	s_mov_b32 s6, exec_lo
                                        ; implicit-def: $vgpr3
	v_cmpx_lt_u32_e32 0x3c7fffff, v6
	s_xor_b32 s6, exec_lo, s6
; %bb.2771:
	v_bfe_u32 v3, v2, 20, 1
	s_delay_alu instid0(VALU_DEP_1) | instskip(NEXT) | instid1(VALU_DEP_1)
	v_add3_u32 v3, v2, v3, 0x407ffff
	v_and_b32_e32 v6, 0xff00000, v3
	v_lshrrev_b32_e32 v3, 20, v3
	s_delay_alu instid0(VALU_DEP_2) | instskip(NEXT) | instid1(VALU_DEP_2)
	v_cmp_ne_u32_e32 vcc_lo, 0x7f00000, v6
	v_cndmask_b32_e32 v3, 0x7e, v3, vcc_lo
; %bb.2772:
	s_and_not1_saveexec_b32 s6, s6
; %bb.2773:
	v_add_f32_e64 v3, 0x46800000, |v2|
; %bb.2774:
	s_or_b32 exec_lo, exec_lo, s6
                                        ; implicit-def: $vgpr6
.LBB126_2775:
	s_and_not1_saveexec_b32 s3, s3
; %bb.2776:
	v_mov_b32_e32 v3, 0x7f
	v_cmp_lt_u32_e32 vcc_lo, 0x7f800000, v6
	s_delay_alu instid0(VALU_DEP_2)
	v_cndmask_b32_e32 v3, 0x7e, v3, vcc_lo
; %bb.2777:
	s_or_b32 exec_lo, exec_lo, s3
	v_lshrrev_b32_e32 v6, 24, v2
	s_delay_alu instid0(VALU_DEP_1)
	v_and_or_b32 v3, 0x80, v6, v3
	global_store_b8 v[0:1], v3, off
.LBB126_2778:
	s_mov_b32 s3, 0
.LBB126_2779:
	s_delay_alu instid0(SALU_CYCLE_1)
	s_and_not1_b32 vcc_lo, exec_lo, s3
	s_cbranch_vccnz .LBB126_2789
; %bb.2780:
	v_and_b32_e32 v6, 0x7fffffff, v2
	s_mov_b32 s3, exec_lo
                                        ; implicit-def: $vgpr3
	s_delay_alu instid0(VALU_DEP_1)
	v_cmpx_gt_u32_e32 0x47800000, v6
	s_xor_b32 s3, exec_lo, s3
	s_cbranch_execz .LBB126_2786
; %bb.2781:
	s_mov_b32 s6, exec_lo
                                        ; implicit-def: $vgpr3
	v_cmpx_lt_u32_e32 0x387fffff, v6
	s_xor_b32 s6, exec_lo, s6
; %bb.2782:
	v_bfe_u32 v3, v2, 21, 1
	s_delay_alu instid0(VALU_DEP_1) | instskip(NEXT) | instid1(VALU_DEP_1)
	v_add3_u32 v3, v2, v3, 0x80fffff
	v_lshrrev_b32_e32 v3, 21, v3
; %bb.2783:
	s_and_not1_saveexec_b32 s6, s6
; %bb.2784:
	v_add_f32_e64 v3, 0x43000000, |v2|
; %bb.2785:
	s_or_b32 exec_lo, exec_lo, s6
                                        ; implicit-def: $vgpr6
.LBB126_2786:
	s_and_not1_saveexec_b32 s3, s3
; %bb.2787:
	v_mov_b32_e32 v3, 0x7f
	v_cmp_lt_u32_e32 vcc_lo, 0x7f800000, v6
	s_delay_alu instid0(VALU_DEP_2)
	v_cndmask_b32_e32 v3, 0x7c, v3, vcc_lo
; %bb.2788:
	s_or_b32 exec_lo, exec_lo, s3
	v_lshrrev_b32_e32 v6, 24, v2
	s_delay_alu instid0(VALU_DEP_1)
	v_and_or_b32 v3, 0x80, v6, v3
	global_store_b8 v[0:1], v3, off
.LBB126_2789:
	s_mov_b32 s3, 0
	s_mov_b32 s6, -1
.LBB126_2790:
	s_and_not1_b32 vcc_lo, exec_lo, s3
	s_mov_b32 s3, 0
	s_cbranch_vccnz .LBB126_2797
; %bb.2791:
	v_cmp_lt_i16_e32 vcc_lo, 14, v5
	s_mov_b32 s3, -1
	s_cbranch_vccz .LBB126_2795
; %bb.2792:
	v_cmp_eq_u16_e32 vcc_lo, 15, v5
	s_mov_b32 s0, -1
	s_cbranch_vccz .LBB126_2794
; %bb.2793:
	v_bfe_u32 v3, v2, 16, 1
	v_cmp_o_f32_e32 vcc_lo, v2, v2
	s_mov_b32 s0, 0
	s_mov_b32 s6, -1
	s_delay_alu instid0(VALU_DEP_2) | instskip(NEXT) | instid1(VALU_DEP_1)
	v_add3_u32 v3, v2, v3, 0x7fff
	v_lshrrev_b32_e32 v3, 16, v3
	s_delay_alu instid0(VALU_DEP_1)
	v_cndmask_b32_e32 v3, 0x7fc0, v3, vcc_lo
	global_store_b16 v[0:1], v3, off
.LBB126_2794:
	s_mov_b32 s3, 0
.LBB126_2795:
	s_delay_alu instid0(SALU_CYCLE_1)
	s_and_b32 vcc_lo, exec_lo, s3
	s_mov_b32 s3, 0
	s_cbranch_vccz .LBB126_2797
; %bb.2796:
	v_cmp_ne_u16_e64 s0, 11, v5
	s_mov_b32 s3, -1
.LBB126_2797:
	s_delay_alu instid0(VALU_DEP_1)
	s_and_b32 vcc_lo, exec_lo, s0
	s_cbranch_vccnz .LBB126_3097
; %bb.2798:
	s_and_not1_b32 vcc_lo, exec_lo, s3
	s_cbranch_vccnz .LBB126_2800
.LBB126_2799:
	v_cmp_neq_f32_e32 vcc_lo, 0, v2
	s_mov_b32 s6, -1
	v_cndmask_b32_e64 v3, 0, 1, vcc_lo
	global_store_b8 v[0:1], v3, off
.LBB126_2800:
	s_mov_b32 s0, 0
	s_branch .LBB126_2802
.LBB126_2801:
	s_mov_b32 s0, -1
	s_mov_b32 s6, 0
.LBB126_2802:
	s_and_b32 vcc_lo, exec_lo, s0
	s_cbranch_vccz .LBB126_2841
; %bb.2803:
	v_cmp_gt_i16_e32 vcc_lo, 5, v5
	s_mov_b32 s0, -1
	s_cbranch_vccnz .LBB126_2824
; %bb.2804:
	v_cmp_gt_i16_e32 vcc_lo, 8, v5
	s_cbranch_vccnz .LBB126_2814
; %bb.2805:
	v_cmp_gt_i16_e32 vcc_lo, 9, v5
	s_cbranch_vccnz .LBB126_2811
; %bb.2806:
	v_cmp_lt_i16_e32 vcc_lo, 9, v5
	s_cbranch_vccz .LBB126_2808
; %bb.2807:
	v_cvt_f64_f32_e32 v[9:10], v2
	v_mov_b32_e32 v11, 0
	s_mov_b32 s0, 0
	s_delay_alu instid0(VALU_DEP_1)
	v_mov_b32_e32 v12, v11
	global_store_b128 v[0:1], v[9:12], off
.LBB126_2808:
	s_and_not1_b32 vcc_lo, exec_lo, s0
	s_cbranch_vccnz .LBB126_2810
; %bb.2809:
	v_mov_b32_e32 v3, 0
	global_store_b64 v[0:1], v[2:3], off
.LBB126_2810:
	s_mov_b32 s0, 0
.LBB126_2811:
	s_delay_alu instid0(SALU_CYCLE_1)
	s_and_not1_b32 vcc_lo, exec_lo, s0
	s_cbranch_vccnz .LBB126_2813
; %bb.2812:
	v_cvt_f16_f32_e32 v3, v2
	s_delay_alu instid0(VALU_DEP_1)
	v_and_b32_e32 v3, 0xffff, v3
	global_store_b32 v[0:1], v3, off
.LBB126_2813:
	s_mov_b32 s0, 0
.LBB126_2814:
	s_delay_alu instid0(SALU_CYCLE_1)
	s_and_not1_b32 vcc_lo, exec_lo, s0
	s_cbranch_vccnz .LBB126_2823
; %bb.2815:
	v_cmp_gt_i16_e32 vcc_lo, 6, v5
	s_mov_b32 s0, -1
	s_cbranch_vccnz .LBB126_2821
; %bb.2816:
	v_cmp_lt_i16_e32 vcc_lo, 6, v5
	s_cbranch_vccz .LBB126_2818
; %bb.2817:
	v_cvt_f64_f32_e32 v[9:10], v2
	s_mov_b32 s0, 0
	global_store_b64 v[0:1], v[9:10], off
.LBB126_2818:
	s_and_not1_b32 vcc_lo, exec_lo, s0
	s_cbranch_vccnz .LBB126_2820
; %bb.2819:
	global_store_b32 v[0:1], v2, off
.LBB126_2820:
	s_mov_b32 s0, 0
.LBB126_2821:
	s_delay_alu instid0(SALU_CYCLE_1)
	s_and_not1_b32 vcc_lo, exec_lo, s0
	s_cbranch_vccnz .LBB126_2823
; %bb.2822:
	v_cvt_f16_f32_e32 v3, v2
	global_store_b16 v[0:1], v3, off
.LBB126_2823:
	s_mov_b32 s0, 0
.LBB126_2824:
	s_delay_alu instid0(SALU_CYCLE_1)
	s_and_not1_b32 vcc_lo, exec_lo, s0
	s_cbranch_vccnz .LBB126_2840
; %bb.2825:
	v_cmp_gt_i16_e32 vcc_lo, 2, v5
	s_mov_b32 s0, -1
	s_cbranch_vccnz .LBB126_2835
; %bb.2826:
	v_cmp_gt_i16_e32 vcc_lo, 3, v5
	s_cbranch_vccnz .LBB126_2832
; %bb.2827:
	v_cmp_lt_i16_e32 vcc_lo, 3, v5
	s_cbranch_vccz .LBB126_2829
; %bb.2828:
	v_trunc_f32_e32 v3, v2
	s_mov_b32 s0, 0
	s_delay_alu instid0(VALU_DEP_1) | instskip(NEXT) | instid1(VALU_DEP_1)
	v_mul_f32_e64 v6, 0x2f800000, |v3|
	v_floor_f32_e32 v6, v6
	s_delay_alu instid0(VALU_DEP_1) | instskip(SKIP_2) | instid1(VALU_DEP_3)
	v_fma_f32 v9, 0xcf800000, v6, |v3|
	v_ashrrev_i32_e32 v3, 31, v3
	v_cvt_u32_f32_e32 v6, v6
	v_cvt_u32_f32_e32 v9, v9
	s_delay_alu instid0(VALU_DEP_2) | instskip(NEXT) | instid1(VALU_DEP_2)
	v_xor_b32_e32 v6, v6, v3
	v_xor_b32_e32 v9, v9, v3
	s_delay_alu instid0(VALU_DEP_1) | instskip(NEXT) | instid1(VALU_DEP_3)
	v_sub_co_u32 v9, vcc_lo, v9, v3
	v_sub_co_ci_u32_e32 v10, vcc_lo, v6, v3, vcc_lo
	global_store_b64 v[0:1], v[9:10], off
.LBB126_2829:
	s_and_not1_b32 vcc_lo, exec_lo, s0
	s_cbranch_vccnz .LBB126_2831
; %bb.2830:
	v_cvt_i32_f32_e32 v3, v2
	global_store_b32 v[0:1], v3, off
.LBB126_2831:
	s_mov_b32 s0, 0
.LBB126_2832:
	s_delay_alu instid0(SALU_CYCLE_1)
	s_and_not1_b32 vcc_lo, exec_lo, s0
	s_cbranch_vccnz .LBB126_2834
; %bb.2833:
	v_cvt_i32_f32_e32 v3, v2
	global_store_b16 v[0:1], v3, off
.LBB126_2834:
	s_mov_b32 s0, 0
.LBB126_2835:
	s_delay_alu instid0(SALU_CYCLE_1)
	s_and_not1_b32 vcc_lo, exec_lo, s0
	s_cbranch_vccnz .LBB126_2840
; %bb.2836:
	v_cmp_lt_i16_e32 vcc_lo, 0, v5
	s_mov_b32 s0, -1
	s_cbranch_vccz .LBB126_2838
; %bb.2837:
	v_cvt_i32_f32_e32 v3, v2
	s_mov_b32 s0, 0
	global_store_b8 v[0:1], v3, off
.LBB126_2838:
	s_and_not1_b32 vcc_lo, exec_lo, s0
	s_cbranch_vccnz .LBB126_2840
; %bb.2839:
	v_trunc_f32_e32 v2, v2
	s_delay_alu instid0(VALU_DEP_1) | instskip(NEXT) | instid1(VALU_DEP_1)
	v_mul_f32_e64 v3, 0x2f800000, |v2|
	v_floor_f32_e32 v3, v3
	s_delay_alu instid0(VALU_DEP_1) | instskip(SKIP_1) | instid1(VALU_DEP_2)
	v_fma_f32 v3, 0xcf800000, v3, |v2|
	v_ashrrev_i32_e32 v2, 31, v2
	v_cvt_u32_f32_e32 v3, v3
	s_delay_alu instid0(VALU_DEP_1) | instskip(NEXT) | instid1(VALU_DEP_1)
	v_xor_b32_e32 v3, v3, v2
	v_sub_nc_u32_e32 v2, v3, v2
	global_store_b8 v[0:1], v2, off
.LBB126_2840:
	s_mov_b32 s6, -1
.LBB126_2841:
	s_delay_alu instid0(SALU_CYCLE_1)
	s_and_not1_b32 vcc_lo, exec_lo, s6
	s_cbranch_vccnz .LBB126_3037
; %bb.2842:
	v_cndmask_b32_e64 v0, 0, 1.0, s10
	v_add_nc_u32_e32 v4, s1, v4
	v_cmp_gt_i16_e32 vcc_lo, 11, v5
	s_delay_alu instid0(VALU_DEP_3) | instskip(NEXT) | instid1(VALU_DEP_3)
	v_mul_f32_e32 v0, v7, v0
	v_ashrrev_i32_e32 v1, 31, v4
	s_delay_alu instid0(VALU_DEP_2) | instskip(SKIP_1) | instid1(VALU_DEP_1)
	v_mul_f32_e32 v2, s11, v0
	v_add_co_u32 v0, s0, s4, v4
	v_add_co_ci_u32_e64 v1, s0, s5, v1, s0
	s_cbranch_vccnz .LBB126_2920
; %bb.2843:
	v_cmp_lt_i16_e32 vcc_lo, 25, v5
	s_mov_b32 s7, -1
	s_mov_b32 s3, 0
	s_mov_b32 s6, 0
	;; [unrolled: 1-line block ×3, first 2 shown]
	s_cbranch_vccz .LBB126_2876
; %bb.2844:
	v_cmp_lt_i16_e32 vcc_lo, 28, v5
	s_cbranch_vccz .LBB126_2859
; %bb.2845:
	v_cmp_lt_i16_e32 vcc_lo, 43, v5
	;; [unrolled: 3-line block ×3, first 2 shown]
	s_cbranch_vccz .LBB126_2849
; %bb.2847:
	v_cmp_eq_u16_e32 vcc_lo, 46, v5
	s_mov_b32 s0, -1
	s_mov_b32 s7, 0
	s_cbranch_vccz .LBB126_2849
; %bb.2848:
	v_bfe_u32 v3, v2, 16, 1
	v_cmp_o_f32_e32 vcc_lo, v2, v2
	s_mov_b32 s0, 0
	s_mov_b32 s6, -1
	s_delay_alu instid0(VALU_DEP_2) | instskip(NEXT) | instid1(VALU_DEP_1)
	v_add3_u32 v3, v2, v3, 0x7fff
	v_lshrrev_b32_e32 v3, 16, v3
	s_delay_alu instid0(VALU_DEP_1)
	v_cndmask_b32_e32 v3, 0x7fc0, v3, vcc_lo
	global_store_b32 v[0:1], v3, off
.LBB126_2849:
	s_and_b32 vcc_lo, exec_lo, s7
	s_cbranch_vccz .LBB126_2854
; %bb.2850:
	v_cmp_eq_u16_e32 vcc_lo, 44, v5
	s_mov_b32 s0, -1
	s_cbranch_vccz .LBB126_2854
; %bb.2851:
	v_bfe_u32 v6, v2, 23, 8
	v_mov_b32_e32 v3, 0xff
	s_mov_b32 s6, exec_lo
	s_delay_alu instid0(VALU_DEP_2)
	v_cmpx_ne_u32_e32 0xff, v6
; %bb.2852:
	v_and_b32_e32 v3, 0x400000, v2
	v_and_or_b32 v6, 0x3fffff, v2, v6
	s_delay_alu instid0(VALU_DEP_2) | instskip(NEXT) | instid1(VALU_DEP_2)
	v_cmp_ne_u32_e32 vcc_lo, 0, v3
	v_cmp_ne_u32_e64 s0, 0, v6
	v_lshrrev_b32_e32 v3, 23, v2
	s_delay_alu instid0(VALU_DEP_2) | instskip(NEXT) | instid1(SALU_CYCLE_1)
	s_and_b32 s0, vcc_lo, s0
	v_cndmask_b32_e64 v6, 0, 1, s0
	s_delay_alu instid0(VALU_DEP_1)
	v_add_nc_u32_e32 v3, v3, v6
; %bb.2853:
	s_or_b32 exec_lo, exec_lo, s6
	s_mov_b32 s0, 0
	s_mov_b32 s6, -1
	global_store_b8 v[0:1], v3, off
.LBB126_2854:
	s_mov_b32 s7, 0
.LBB126_2855:
	s_delay_alu instid0(SALU_CYCLE_1)
	s_and_b32 vcc_lo, exec_lo, s7
	s_cbranch_vccz .LBB126_2858
; %bb.2856:
	v_cmp_eq_u16_e32 vcc_lo, 29, v5
	s_mov_b32 s0, -1
	s_cbranch_vccz .LBB126_2858
; %bb.2857:
	v_trunc_f32_e32 v3, v2
	s_mov_b32 s0, 0
	s_mov_b32 s6, -1
	s_delay_alu instid0(VALU_DEP_1) | instskip(NEXT) | instid1(VALU_DEP_1)
	v_mul_f32_e32 v6, 0x2f800000, v3
	v_floor_f32_e32 v6, v6
	s_delay_alu instid0(VALU_DEP_1) | instskip(SKIP_1) | instid1(VALU_DEP_2)
	v_fmamk_f32 v3, v6, 0xcf800000, v3
	v_cvt_u32_f32_e32 v7, v6
	v_cvt_u32_f32_e32 v6, v3
	global_store_b64 v[0:1], v[6:7], off
.LBB126_2858:
	s_mov_b32 s7, 0
.LBB126_2859:
	s_delay_alu instid0(SALU_CYCLE_1)
	s_and_b32 vcc_lo, exec_lo, s7
	s_cbranch_vccz .LBB126_2875
; %bb.2860:
	v_cmp_gt_i16_e32 vcc_lo, 27, v5
	s_mov_b32 s6, -1
	s_cbranch_vccnz .LBB126_2866
; %bb.2861:
	v_cmp_lt_i16_e32 vcc_lo, 27, v5
	s_cbranch_vccz .LBB126_2863
; %bb.2862:
	v_cvt_u32_f32_e32 v3, v2
	s_mov_b32 s6, 0
	global_store_b32 v[0:1], v3, off
.LBB126_2863:
	s_and_not1_b32 vcc_lo, exec_lo, s6
	s_cbranch_vccnz .LBB126_2865
; %bb.2864:
	v_cvt_u32_f32_e32 v3, v2
	global_store_b16 v[0:1], v3, off
.LBB126_2865:
	s_mov_b32 s6, 0
.LBB126_2866:
	s_delay_alu instid0(SALU_CYCLE_1)
	s_and_not1_b32 vcc_lo, exec_lo, s6
	s_cbranch_vccnz .LBB126_2874
; %bb.2867:
	v_and_b32_e32 v3, 0x7fffffff, v2
	v_mov_b32_e32 v6, 0x80
	s_mov_b32 s6, exec_lo
	s_delay_alu instid0(VALU_DEP_2)
	v_cmpx_gt_u32_e32 0x43800000, v3
	s_cbranch_execz .LBB126_2873
; %bb.2868:
	v_cmp_lt_u32_e32 vcc_lo, 0x3bffffff, v3
	s_mov_b32 s7, 0
                                        ; implicit-def: $vgpr3
	s_and_saveexec_b32 s8, vcc_lo
	s_delay_alu instid0(SALU_CYCLE_1)
	s_xor_b32 s8, exec_lo, s8
	s_cbranch_execz .LBB126_3101
; %bb.2869:
	v_bfe_u32 v3, v2, 20, 1
	s_mov_b32 s7, exec_lo
	s_delay_alu instid0(VALU_DEP_1) | instskip(NEXT) | instid1(VALU_DEP_1)
	v_add3_u32 v3, v2, v3, 0x487ffff
	v_lshrrev_b32_e32 v3, 20, v3
	s_or_saveexec_b32 s8, s8
                                        ; implicit-def: $sgpr9
	s_delay_alu instid0(SALU_CYCLE_1)
	s_xor_b32 exec_lo, exec_lo, s8
	s_cbranch_execnz .LBB126_3102
.LBB126_2870:
	s_or_b32 exec_lo, exec_lo, s8
	v_mov_b32_e32 v6, s9
	s_and_saveexec_b32 s8, s7
.LBB126_2871:
	v_lshrrev_b32_e32 v6, 24, v2
	s_delay_alu instid0(VALU_DEP_1)
	v_and_or_b32 v6, 0x80, v6, v3
.LBB126_2872:
	s_or_b32 exec_lo, exec_lo, s8
.LBB126_2873:
	s_delay_alu instid0(SALU_CYCLE_1)
	s_or_b32 exec_lo, exec_lo, s6
	global_store_b8 v[0:1], v6, off
.LBB126_2874:
	s_mov_b32 s6, -1
.LBB126_2875:
	s_mov_b32 s7, 0
.LBB126_2876:
	s_delay_alu instid0(SALU_CYCLE_1)
	s_and_b32 vcc_lo, exec_lo, s7
	s_cbranch_vccz .LBB126_2916
; %bb.2877:
	v_cmp_lt_i16_e32 vcc_lo, 22, v5
	s_mov_b32 s3, -1
	s_cbranch_vccz .LBB126_2909
; %bb.2878:
	v_cmp_gt_i16_e32 vcc_lo, 24, v5
	s_cbranch_vccnz .LBB126_2898
; %bb.2879:
	v_cmp_lt_i16_e32 vcc_lo, 24, v5
	s_cbranch_vccz .LBB126_2887
; %bb.2880:
	v_and_b32_e32 v3, 0x7fffffff, v2
	v_mov_b32_e32 v6, 0x80
	s_mov_b32 s3, exec_lo
	s_delay_alu instid0(VALU_DEP_2)
	v_cmpx_gt_u32_e32 0x47800000, v3
	s_cbranch_execz .LBB126_2886
; %bb.2881:
	v_cmp_lt_u32_e32 vcc_lo, 0x37ffffff, v3
	s_mov_b32 s6, 0
                                        ; implicit-def: $vgpr3
	s_and_saveexec_b32 s7, vcc_lo
	s_delay_alu instid0(SALU_CYCLE_1)
	s_xor_b32 s7, exec_lo, s7
	s_cbranch_execz .LBB126_3107
; %bb.2882:
	v_bfe_u32 v3, v2, 21, 1
	s_mov_b32 s6, exec_lo
	s_delay_alu instid0(VALU_DEP_1) | instskip(NEXT) | instid1(VALU_DEP_1)
	v_add3_u32 v3, v2, v3, 0x88fffff
	v_lshrrev_b32_e32 v3, 21, v3
	s_or_saveexec_b32 s7, s7
                                        ; implicit-def: $sgpr8
	s_delay_alu instid0(SALU_CYCLE_1)
	s_xor_b32 exec_lo, exec_lo, s7
	s_cbranch_execnz .LBB126_3108
.LBB126_2883:
	s_or_b32 exec_lo, exec_lo, s7
	v_mov_b32_e32 v6, s8
	s_and_saveexec_b32 s7, s6
.LBB126_2884:
	v_lshrrev_b32_e32 v6, 24, v2
	s_delay_alu instid0(VALU_DEP_1)
	v_and_or_b32 v6, 0x80, v6, v3
.LBB126_2885:
	s_or_b32 exec_lo, exec_lo, s7
.LBB126_2886:
	s_delay_alu instid0(SALU_CYCLE_1)
	s_or_b32 exec_lo, exec_lo, s3
	s_mov_b32 s3, 0
	global_store_b8 v[0:1], v6, off
.LBB126_2887:
	s_and_b32 vcc_lo, exec_lo, s3
	s_cbranch_vccz .LBB126_2897
; %bb.2888:
	v_and_b32_e32 v6, 0x7fffffff, v2
	s_mov_b32 s3, exec_lo
                                        ; implicit-def: $vgpr3
	s_delay_alu instid0(VALU_DEP_1)
	v_cmpx_gt_u32_e32 0x43f00000, v6
	s_xor_b32 s3, exec_lo, s3
	s_cbranch_execz .LBB126_2894
; %bb.2889:
	s_mov_b32 s6, exec_lo
                                        ; implicit-def: $vgpr3
	v_cmpx_lt_u32_e32 0x3c7fffff, v6
	s_xor_b32 s6, exec_lo, s6
; %bb.2890:
	v_bfe_u32 v3, v2, 20, 1
	s_delay_alu instid0(VALU_DEP_1) | instskip(NEXT) | instid1(VALU_DEP_1)
	v_add3_u32 v3, v2, v3, 0x407ffff
	v_and_b32_e32 v6, 0xff00000, v3
	v_lshrrev_b32_e32 v3, 20, v3
	s_delay_alu instid0(VALU_DEP_2) | instskip(NEXT) | instid1(VALU_DEP_2)
	v_cmp_ne_u32_e32 vcc_lo, 0x7f00000, v6
	v_cndmask_b32_e32 v3, 0x7e, v3, vcc_lo
; %bb.2891:
	s_and_not1_saveexec_b32 s6, s6
; %bb.2892:
	v_add_f32_e64 v3, 0x46800000, |v2|
; %bb.2893:
	s_or_b32 exec_lo, exec_lo, s6
                                        ; implicit-def: $vgpr6
.LBB126_2894:
	s_and_not1_saveexec_b32 s3, s3
; %bb.2895:
	v_mov_b32_e32 v3, 0x7f
	v_cmp_lt_u32_e32 vcc_lo, 0x7f800000, v6
	s_delay_alu instid0(VALU_DEP_2)
	v_cndmask_b32_e32 v3, 0x7e, v3, vcc_lo
; %bb.2896:
	s_or_b32 exec_lo, exec_lo, s3
	v_lshrrev_b32_e32 v6, 24, v2
	s_delay_alu instid0(VALU_DEP_1)
	v_and_or_b32 v3, 0x80, v6, v3
	global_store_b8 v[0:1], v3, off
.LBB126_2897:
	s_mov_b32 s3, 0
.LBB126_2898:
	s_delay_alu instid0(SALU_CYCLE_1)
	s_and_not1_b32 vcc_lo, exec_lo, s3
	s_cbranch_vccnz .LBB126_2908
; %bb.2899:
	v_and_b32_e32 v6, 0x7fffffff, v2
	s_mov_b32 s3, exec_lo
                                        ; implicit-def: $vgpr3
	s_delay_alu instid0(VALU_DEP_1)
	v_cmpx_gt_u32_e32 0x47800000, v6
	s_xor_b32 s3, exec_lo, s3
	s_cbranch_execz .LBB126_2905
; %bb.2900:
	s_mov_b32 s6, exec_lo
                                        ; implicit-def: $vgpr3
	v_cmpx_lt_u32_e32 0x387fffff, v6
	s_xor_b32 s6, exec_lo, s6
; %bb.2901:
	v_bfe_u32 v3, v2, 21, 1
	s_delay_alu instid0(VALU_DEP_1) | instskip(NEXT) | instid1(VALU_DEP_1)
	v_add3_u32 v3, v2, v3, 0x80fffff
	v_lshrrev_b32_e32 v3, 21, v3
; %bb.2902:
	s_and_not1_saveexec_b32 s6, s6
; %bb.2903:
	v_add_f32_e64 v3, 0x43000000, |v2|
; %bb.2904:
	s_or_b32 exec_lo, exec_lo, s6
                                        ; implicit-def: $vgpr6
.LBB126_2905:
	s_and_not1_saveexec_b32 s3, s3
; %bb.2906:
	v_mov_b32_e32 v3, 0x7f
	v_cmp_lt_u32_e32 vcc_lo, 0x7f800000, v6
	s_delay_alu instid0(VALU_DEP_2)
	v_cndmask_b32_e32 v3, 0x7c, v3, vcc_lo
; %bb.2907:
	s_or_b32 exec_lo, exec_lo, s3
	v_lshrrev_b32_e32 v6, 24, v2
	s_delay_alu instid0(VALU_DEP_1)
	v_and_or_b32 v3, 0x80, v6, v3
	global_store_b8 v[0:1], v3, off
.LBB126_2908:
	s_mov_b32 s3, 0
	s_mov_b32 s6, -1
.LBB126_2909:
	s_and_not1_b32 vcc_lo, exec_lo, s3
	s_mov_b32 s3, 0
	s_cbranch_vccnz .LBB126_2916
; %bb.2910:
	v_cmp_lt_i16_e32 vcc_lo, 14, v5
	s_mov_b32 s3, -1
	s_cbranch_vccz .LBB126_2914
; %bb.2911:
	v_cmp_eq_u16_e32 vcc_lo, 15, v5
	s_mov_b32 s0, -1
	s_cbranch_vccz .LBB126_2913
; %bb.2912:
	v_bfe_u32 v3, v2, 16, 1
	v_cmp_o_f32_e32 vcc_lo, v2, v2
	s_mov_b32 s0, 0
	s_mov_b32 s6, -1
	s_delay_alu instid0(VALU_DEP_2) | instskip(NEXT) | instid1(VALU_DEP_1)
	v_add3_u32 v3, v2, v3, 0x7fff
	v_lshrrev_b32_e32 v3, 16, v3
	s_delay_alu instid0(VALU_DEP_1)
	v_cndmask_b32_e32 v3, 0x7fc0, v3, vcc_lo
	global_store_b16 v[0:1], v3, off
.LBB126_2913:
	s_mov_b32 s3, 0
.LBB126_2914:
	s_delay_alu instid0(SALU_CYCLE_1)
	s_and_b32 vcc_lo, exec_lo, s3
	s_mov_b32 s3, 0
	s_cbranch_vccz .LBB126_2916
; %bb.2915:
	v_cmp_ne_u16_e64 s0, 11, v5
	s_mov_b32 s3, -1
.LBB126_2916:
	s_delay_alu instid0(VALU_DEP_1)
	s_and_b32 vcc_lo, exec_lo, s0
	s_cbranch_vccnz .LBB126_3105
; %bb.2917:
	s_and_not1_b32 vcc_lo, exec_lo, s3
	s_cbranch_vccnz .LBB126_2919
.LBB126_2918:
	v_cmp_neq_f32_e32 vcc_lo, 0, v2
	s_mov_b32 s6, -1
	v_cndmask_b32_e64 v3, 0, 1, vcc_lo
	global_store_b8 v[0:1], v3, off
.LBB126_2919:
	s_mov_b32 s0, 0
	s_branch .LBB126_2921
.LBB126_2920:
	s_mov_b32 s0, -1
	s_mov_b32 s6, 0
.LBB126_2921:
	s_and_b32 vcc_lo, exec_lo, s0
	s_cbranch_vccz .LBB126_2960
; %bb.2922:
	v_cmp_gt_i16_e32 vcc_lo, 5, v5
	s_mov_b32 s0, -1
	s_cbranch_vccnz .LBB126_2943
; %bb.2923:
	v_cmp_gt_i16_e32 vcc_lo, 8, v5
	s_cbranch_vccnz .LBB126_2933
; %bb.2924:
	v_cmp_gt_i16_e32 vcc_lo, 9, v5
	s_cbranch_vccnz .LBB126_2930
; %bb.2925:
	v_cmp_lt_i16_e32 vcc_lo, 9, v5
	s_cbranch_vccz .LBB126_2927
; %bb.2926:
	v_cvt_f64_f32_e32 v[9:10], v2
	v_mov_b32_e32 v11, 0
	s_mov_b32 s0, 0
	s_delay_alu instid0(VALU_DEP_1)
	v_mov_b32_e32 v12, v11
	global_store_b128 v[0:1], v[9:12], off
.LBB126_2927:
	s_and_not1_b32 vcc_lo, exec_lo, s0
	s_cbranch_vccnz .LBB126_2929
; %bb.2928:
	v_mov_b32_e32 v3, 0
	global_store_b64 v[0:1], v[2:3], off
.LBB126_2929:
	s_mov_b32 s0, 0
.LBB126_2930:
	s_delay_alu instid0(SALU_CYCLE_1)
	s_and_not1_b32 vcc_lo, exec_lo, s0
	s_cbranch_vccnz .LBB126_2932
; %bb.2931:
	v_cvt_f16_f32_e32 v3, v2
	s_delay_alu instid0(VALU_DEP_1)
	v_and_b32_e32 v3, 0xffff, v3
	global_store_b32 v[0:1], v3, off
.LBB126_2932:
	s_mov_b32 s0, 0
.LBB126_2933:
	s_delay_alu instid0(SALU_CYCLE_1)
	s_and_not1_b32 vcc_lo, exec_lo, s0
	s_cbranch_vccnz .LBB126_2942
; %bb.2934:
	v_cmp_gt_i16_e32 vcc_lo, 6, v5
	s_mov_b32 s0, -1
	s_cbranch_vccnz .LBB126_2940
; %bb.2935:
	v_cmp_lt_i16_e32 vcc_lo, 6, v5
	s_cbranch_vccz .LBB126_2937
; %bb.2936:
	v_cvt_f64_f32_e32 v[6:7], v2
	s_mov_b32 s0, 0
	global_store_b64 v[0:1], v[6:7], off
.LBB126_2937:
	s_and_not1_b32 vcc_lo, exec_lo, s0
	s_cbranch_vccnz .LBB126_2939
; %bb.2938:
	global_store_b32 v[0:1], v2, off
.LBB126_2939:
	s_mov_b32 s0, 0
.LBB126_2940:
	s_delay_alu instid0(SALU_CYCLE_1)
	s_and_not1_b32 vcc_lo, exec_lo, s0
	s_cbranch_vccnz .LBB126_2942
; %bb.2941:
	v_cvt_f16_f32_e32 v3, v2
	global_store_b16 v[0:1], v3, off
.LBB126_2942:
	s_mov_b32 s0, 0
.LBB126_2943:
	s_delay_alu instid0(SALU_CYCLE_1)
	s_and_not1_b32 vcc_lo, exec_lo, s0
	s_cbranch_vccnz .LBB126_2959
; %bb.2944:
	v_cmp_gt_i16_e32 vcc_lo, 2, v5
	s_mov_b32 s0, -1
	s_cbranch_vccnz .LBB126_2954
; %bb.2945:
	v_cmp_gt_i16_e32 vcc_lo, 3, v5
	s_cbranch_vccnz .LBB126_2951
; %bb.2946:
	v_cmp_lt_i16_e32 vcc_lo, 3, v5
	s_cbranch_vccz .LBB126_2948
; %bb.2947:
	v_trunc_f32_e32 v3, v2
	s_mov_b32 s0, 0
	s_delay_alu instid0(VALU_DEP_1) | instskip(NEXT) | instid1(VALU_DEP_1)
	v_mul_f32_e64 v6, 0x2f800000, |v3|
	v_floor_f32_e32 v6, v6
	s_delay_alu instid0(VALU_DEP_1) | instskip(SKIP_2) | instid1(VALU_DEP_3)
	v_fma_f32 v7, 0xcf800000, v6, |v3|
	v_ashrrev_i32_e32 v3, 31, v3
	v_cvt_u32_f32_e32 v6, v6
	v_cvt_u32_f32_e32 v7, v7
	s_delay_alu instid0(VALU_DEP_2) | instskip(NEXT) | instid1(VALU_DEP_2)
	v_xor_b32_e32 v9, v6, v3
	v_xor_b32_e32 v7, v7, v3
	s_delay_alu instid0(VALU_DEP_1) | instskip(NEXT) | instid1(VALU_DEP_3)
	v_sub_co_u32 v6, vcc_lo, v7, v3
	v_sub_co_ci_u32_e32 v7, vcc_lo, v9, v3, vcc_lo
	global_store_b64 v[0:1], v[6:7], off
.LBB126_2948:
	s_and_not1_b32 vcc_lo, exec_lo, s0
	s_cbranch_vccnz .LBB126_2950
; %bb.2949:
	v_cvt_i32_f32_e32 v3, v2
	global_store_b32 v[0:1], v3, off
.LBB126_2950:
	s_mov_b32 s0, 0
.LBB126_2951:
	s_delay_alu instid0(SALU_CYCLE_1)
	s_and_not1_b32 vcc_lo, exec_lo, s0
	s_cbranch_vccnz .LBB126_2953
; %bb.2952:
	v_cvt_i32_f32_e32 v3, v2
	global_store_b16 v[0:1], v3, off
.LBB126_2953:
	s_mov_b32 s0, 0
.LBB126_2954:
	s_delay_alu instid0(SALU_CYCLE_1)
	s_and_not1_b32 vcc_lo, exec_lo, s0
	s_cbranch_vccnz .LBB126_2959
; %bb.2955:
	v_cmp_lt_i16_e32 vcc_lo, 0, v5
	s_mov_b32 s0, -1
	s_cbranch_vccz .LBB126_2957
; %bb.2956:
	v_cvt_i32_f32_e32 v3, v2
	s_mov_b32 s0, 0
	global_store_b8 v[0:1], v3, off
.LBB126_2957:
	s_and_not1_b32 vcc_lo, exec_lo, s0
	s_cbranch_vccnz .LBB126_2959
; %bb.2958:
	v_trunc_f32_e32 v2, v2
	s_delay_alu instid0(VALU_DEP_1) | instskip(NEXT) | instid1(VALU_DEP_1)
	v_mul_f32_e64 v3, 0x2f800000, |v2|
	v_floor_f32_e32 v3, v3
	s_delay_alu instid0(VALU_DEP_1) | instskip(SKIP_1) | instid1(VALU_DEP_2)
	v_fma_f32 v3, 0xcf800000, v3, |v2|
	v_ashrrev_i32_e32 v2, 31, v2
	v_cvt_u32_f32_e32 v3, v3
	s_delay_alu instid0(VALU_DEP_1) | instskip(NEXT) | instid1(VALU_DEP_1)
	v_xor_b32_e32 v3, v3, v2
	v_sub_nc_u32_e32 v2, v3, v2
	global_store_b8 v[0:1], v2, off
.LBB126_2959:
	s_mov_b32 s6, -1
.LBB126_2960:
	s_delay_alu instid0(SALU_CYCLE_1)
	s_and_not1_b32 vcc_lo, exec_lo, s6
	s_cbranch_vccnz .LBB126_3037
; %bb.2961:
	v_cndmask_b32_e64 v0, 0, 1.0, s2
	v_add_nc_u32_e32 v1, s1, v4
	v_cmp_gt_i16_e32 vcc_lo, 11, v5
	s_delay_alu instid0(VALU_DEP_3) | instskip(NEXT) | instid1(VALU_DEP_3)
	v_mul_f32_e32 v0, v8, v0
	v_ashrrev_i32_e32 v3, 31, v1
	s_delay_alu instid0(VALU_DEP_2) | instskip(SKIP_1) | instid1(VALU_DEP_1)
	v_mul_f32_e32 v2, s11, v0
	v_add_co_u32 v0, s0, s4, v1
	v_add_co_ci_u32_e64 v1, s0, s5, v3, s0
	s_cbranch_vccnz .LBB126_3082
; %bb.2962:
	v_cmp_lt_i16_e32 vcc_lo, 25, v5
	s_mov_b32 s2, -1
	s_mov_b32 s1, 0
	s_mov_b32 s0, 0
	s_cbranch_vccz .LBB126_2995
; %bb.2963:
	v_cmp_lt_i16_e32 vcc_lo, 28, v5
	s_cbranch_vccz .LBB126_2979
; %bb.2964:
	v_cmp_lt_i16_e32 vcc_lo, 43, v5
	;; [unrolled: 3-line block ×3, first 2 shown]
	s_cbranch_vccz .LBB126_2969
; %bb.2966:
	v_cmp_eq_u16_e32 vcc_lo, 46, v5
	s_mov_b32 s0, -1
	s_cbranch_vccz .LBB126_2968
; %bb.2967:
	v_bfe_u32 v3, v2, 16, 1
	v_cmp_o_f32_e32 vcc_lo, v2, v2
	s_mov_b32 s0, 0
	s_delay_alu instid0(VALU_DEP_2) | instskip(NEXT) | instid1(VALU_DEP_1)
	v_add3_u32 v3, v2, v3, 0x7fff
	v_lshrrev_b32_e32 v3, 16, v3
	s_delay_alu instid0(VALU_DEP_1)
	v_cndmask_b32_e32 v3, 0x7fc0, v3, vcc_lo
	global_store_b32 v[0:1], v3, off
.LBB126_2968:
	s_mov_b32 s2, 0
.LBB126_2969:
	s_delay_alu instid0(SALU_CYCLE_1)
	s_and_b32 vcc_lo, exec_lo, s2
	s_cbranch_vccz .LBB126_2974
; %bb.2970:
	v_cmp_eq_u16_e32 vcc_lo, 44, v5
	s_mov_b32 s0, -1
	s_cbranch_vccz .LBB126_2974
; %bb.2971:
	v_bfe_u32 v4, v2, 23, 8
	v_mov_b32_e32 v3, 0xff
	s_mov_b32 s2, exec_lo
	s_delay_alu instid0(VALU_DEP_2)
	v_cmpx_ne_u32_e32 0xff, v4
; %bb.2972:
	v_and_b32_e32 v3, 0x400000, v2
	v_and_or_b32 v4, 0x3fffff, v2, v4
	s_delay_alu instid0(VALU_DEP_2) | instskip(NEXT) | instid1(VALU_DEP_2)
	v_cmp_ne_u32_e32 vcc_lo, 0, v3
	v_cmp_ne_u32_e64 s0, 0, v4
	v_lshrrev_b32_e32 v3, 23, v2
	s_delay_alu instid0(VALU_DEP_2) | instskip(NEXT) | instid1(SALU_CYCLE_1)
	s_and_b32 s0, vcc_lo, s0
	v_cndmask_b32_e64 v4, 0, 1, s0
	s_delay_alu instid0(VALU_DEP_1)
	v_add_nc_u32_e32 v3, v3, v4
; %bb.2973:
	s_or_b32 exec_lo, exec_lo, s2
	s_mov_b32 s0, 0
	global_store_b8 v[0:1], v3, off
.LBB126_2974:
	s_mov_b32 s2, 0
.LBB126_2975:
	s_delay_alu instid0(SALU_CYCLE_1)
	s_and_b32 vcc_lo, exec_lo, s2
	s_cbranch_vccz .LBB126_2978
; %bb.2976:
	v_cmp_eq_u16_e32 vcc_lo, 29, v5
	s_mov_b32 s0, -1
	s_cbranch_vccz .LBB126_2978
; %bb.2977:
	v_trunc_f32_e32 v3, v2
	s_mov_b32 s0, 0
	s_delay_alu instid0(VALU_DEP_1) | instskip(NEXT) | instid1(VALU_DEP_1)
	v_mul_f32_e32 v4, 0x2f800000, v3
	v_floor_f32_e32 v4, v4
	s_delay_alu instid0(VALU_DEP_1) | instskip(SKIP_1) | instid1(VALU_DEP_2)
	v_fmamk_f32 v3, v4, 0xcf800000, v3
	v_cvt_u32_f32_e32 v4, v4
	v_cvt_u32_f32_e32 v3, v3
	global_store_b64 v[0:1], v[3:4], off
.LBB126_2978:
	s_mov_b32 s2, 0
.LBB126_2979:
	s_delay_alu instid0(SALU_CYCLE_1)
	s_and_b32 vcc_lo, exec_lo, s2
	s_cbranch_vccz .LBB126_2994
; %bb.2980:
	v_cmp_gt_i16_e32 vcc_lo, 27, v5
	s_mov_b32 s2, -1
	s_cbranch_vccnz .LBB126_2986
; %bb.2981:
	v_cmp_lt_i16_e32 vcc_lo, 27, v5
	s_cbranch_vccz .LBB126_2983
; %bb.2982:
	v_cvt_u32_f32_e32 v3, v2
	s_mov_b32 s2, 0
	global_store_b32 v[0:1], v3, off
.LBB126_2983:
	s_and_not1_b32 vcc_lo, exec_lo, s2
	s_cbranch_vccnz .LBB126_2985
; %bb.2984:
	v_cvt_u32_f32_e32 v3, v2
	global_store_b16 v[0:1], v3, off
.LBB126_2985:
	s_mov_b32 s2, 0
.LBB126_2986:
	s_delay_alu instid0(SALU_CYCLE_1)
	s_and_not1_b32 vcc_lo, exec_lo, s2
	s_cbranch_vccnz .LBB126_2994
; %bb.2987:
	v_and_b32_e32 v3, 0x7fffffff, v2
	v_mov_b32_e32 v4, 0x80
	s_mov_b32 s2, exec_lo
	s_delay_alu instid0(VALU_DEP_2)
	v_cmpx_gt_u32_e32 0x43800000, v3
	s_cbranch_execz .LBB126_2993
; %bb.2988:
	v_cmp_lt_u32_e32 vcc_lo, 0x3bffffff, v3
	s_mov_b32 s3, 0
                                        ; implicit-def: $vgpr3
	s_and_saveexec_b32 s4, vcc_lo
	s_delay_alu instid0(SALU_CYCLE_1)
	s_xor_b32 s4, exec_lo, s4
	s_cbranch_execz .LBB126_3109
; %bb.2989:
	v_bfe_u32 v3, v2, 20, 1
	s_mov_b32 s3, exec_lo
	s_delay_alu instid0(VALU_DEP_1) | instskip(NEXT) | instid1(VALU_DEP_1)
	v_add3_u32 v3, v2, v3, 0x487ffff
	v_lshrrev_b32_e32 v3, 20, v3
	s_or_saveexec_b32 s4, s4
                                        ; implicit-def: $sgpr5
	s_delay_alu instid0(SALU_CYCLE_1)
	s_xor_b32 exec_lo, exec_lo, s4
	s_cbranch_execnz .LBB126_3110
.LBB126_2990:
	s_or_b32 exec_lo, exec_lo, s4
	v_mov_b32_e32 v4, s5
	s_and_saveexec_b32 s4, s3
.LBB126_2991:
	v_lshrrev_b32_e32 v4, 24, v2
	s_delay_alu instid0(VALU_DEP_1)
	v_and_or_b32 v4, 0x80, v4, v3
.LBB126_2992:
	s_or_b32 exec_lo, exec_lo, s4
.LBB126_2993:
	s_delay_alu instid0(SALU_CYCLE_1)
	s_or_b32 exec_lo, exec_lo, s2
	global_store_b8 v[0:1], v4, off
.LBB126_2994:
	s_mov_b32 s2, 0
.LBB126_2995:
	s_delay_alu instid0(SALU_CYCLE_1)
	s_and_b32 vcc_lo, exec_lo, s2
	s_cbranch_vccz .LBB126_3035
; %bb.2996:
	v_cmp_lt_i16_e32 vcc_lo, 22, v5
	s_mov_b32 s1, -1
	s_cbranch_vccz .LBB126_3028
; %bb.2997:
	v_cmp_gt_i16_e32 vcc_lo, 24, v5
	s_cbranch_vccnz .LBB126_3017
; %bb.2998:
	v_cmp_lt_i16_e32 vcc_lo, 24, v5
	s_cbranch_vccz .LBB126_3006
; %bb.2999:
	v_and_b32_e32 v3, 0x7fffffff, v2
	v_mov_b32_e32 v4, 0x80
	s_mov_b32 s1, exec_lo
	s_delay_alu instid0(VALU_DEP_2)
	v_cmpx_gt_u32_e32 0x47800000, v3
	s_cbranch_execz .LBB126_3005
; %bb.3000:
	v_cmp_lt_u32_e32 vcc_lo, 0x37ffffff, v3
	s_mov_b32 s2, 0
                                        ; implicit-def: $vgpr3
	s_and_saveexec_b32 s3, vcc_lo
	s_delay_alu instid0(SALU_CYCLE_1)
	s_xor_b32 s3, exec_lo, s3
	s_cbranch_execz .LBB126_3115
; %bb.3001:
	v_bfe_u32 v3, v2, 21, 1
	s_mov_b32 s2, exec_lo
	s_delay_alu instid0(VALU_DEP_1) | instskip(NEXT) | instid1(VALU_DEP_1)
	v_add3_u32 v3, v2, v3, 0x88fffff
	v_lshrrev_b32_e32 v3, 21, v3
	s_or_saveexec_b32 s3, s3
                                        ; implicit-def: $sgpr4
	s_delay_alu instid0(SALU_CYCLE_1)
	s_xor_b32 exec_lo, exec_lo, s3
	s_cbranch_execnz .LBB126_3116
.LBB126_3002:
	s_or_b32 exec_lo, exec_lo, s3
	v_mov_b32_e32 v4, s4
	s_and_saveexec_b32 s3, s2
.LBB126_3003:
	v_lshrrev_b32_e32 v4, 24, v2
	s_delay_alu instid0(VALU_DEP_1)
	v_and_or_b32 v4, 0x80, v4, v3
.LBB126_3004:
	s_or_b32 exec_lo, exec_lo, s3
.LBB126_3005:
	s_delay_alu instid0(SALU_CYCLE_1)
	s_or_b32 exec_lo, exec_lo, s1
	s_mov_b32 s1, 0
	global_store_b8 v[0:1], v4, off
.LBB126_3006:
	s_and_b32 vcc_lo, exec_lo, s1
	s_cbranch_vccz .LBB126_3016
; %bb.3007:
	v_and_b32_e32 v4, 0x7fffffff, v2
	s_mov_b32 s1, exec_lo
                                        ; implicit-def: $vgpr3
	s_delay_alu instid0(VALU_DEP_1)
	v_cmpx_gt_u32_e32 0x43f00000, v4
	s_xor_b32 s1, exec_lo, s1
	s_cbranch_execz .LBB126_3013
; %bb.3008:
	s_mov_b32 s2, exec_lo
                                        ; implicit-def: $vgpr3
	v_cmpx_lt_u32_e32 0x3c7fffff, v4
	s_xor_b32 s2, exec_lo, s2
; %bb.3009:
	v_bfe_u32 v3, v2, 20, 1
	s_delay_alu instid0(VALU_DEP_1) | instskip(NEXT) | instid1(VALU_DEP_1)
	v_add3_u32 v3, v2, v3, 0x407ffff
	v_and_b32_e32 v4, 0xff00000, v3
	v_lshrrev_b32_e32 v3, 20, v3
	s_delay_alu instid0(VALU_DEP_2) | instskip(NEXT) | instid1(VALU_DEP_2)
	v_cmp_ne_u32_e32 vcc_lo, 0x7f00000, v4
	v_cndmask_b32_e32 v3, 0x7e, v3, vcc_lo
; %bb.3010:
	s_and_not1_saveexec_b32 s2, s2
; %bb.3011:
	v_add_f32_e64 v3, 0x46800000, |v2|
; %bb.3012:
	s_or_b32 exec_lo, exec_lo, s2
                                        ; implicit-def: $vgpr4
.LBB126_3013:
	s_and_not1_saveexec_b32 s1, s1
; %bb.3014:
	v_mov_b32_e32 v3, 0x7f
	v_cmp_lt_u32_e32 vcc_lo, 0x7f800000, v4
	s_delay_alu instid0(VALU_DEP_2)
	v_cndmask_b32_e32 v3, 0x7e, v3, vcc_lo
; %bb.3015:
	s_or_b32 exec_lo, exec_lo, s1
	v_lshrrev_b32_e32 v4, 24, v2
	s_delay_alu instid0(VALU_DEP_1)
	v_and_or_b32 v3, 0x80, v4, v3
	global_store_b8 v[0:1], v3, off
.LBB126_3016:
	s_mov_b32 s1, 0
.LBB126_3017:
	s_delay_alu instid0(SALU_CYCLE_1)
	s_and_not1_b32 vcc_lo, exec_lo, s1
	s_cbranch_vccnz .LBB126_3027
; %bb.3018:
	v_and_b32_e32 v4, 0x7fffffff, v2
	s_mov_b32 s1, exec_lo
                                        ; implicit-def: $vgpr3
	s_delay_alu instid0(VALU_DEP_1)
	v_cmpx_gt_u32_e32 0x47800000, v4
	s_xor_b32 s1, exec_lo, s1
	s_cbranch_execz .LBB126_3024
; %bb.3019:
	s_mov_b32 s2, exec_lo
                                        ; implicit-def: $vgpr3
	v_cmpx_lt_u32_e32 0x387fffff, v4
	s_xor_b32 s2, exec_lo, s2
; %bb.3020:
	v_bfe_u32 v3, v2, 21, 1
	s_delay_alu instid0(VALU_DEP_1) | instskip(NEXT) | instid1(VALU_DEP_1)
	v_add3_u32 v3, v2, v3, 0x80fffff
	v_lshrrev_b32_e32 v3, 21, v3
; %bb.3021:
	s_and_not1_saveexec_b32 s2, s2
; %bb.3022:
	v_add_f32_e64 v3, 0x43000000, |v2|
; %bb.3023:
	s_or_b32 exec_lo, exec_lo, s2
                                        ; implicit-def: $vgpr4
.LBB126_3024:
	s_and_not1_saveexec_b32 s1, s1
; %bb.3025:
	v_mov_b32_e32 v3, 0x7f
	v_cmp_lt_u32_e32 vcc_lo, 0x7f800000, v4
	s_delay_alu instid0(VALU_DEP_2)
	v_cndmask_b32_e32 v3, 0x7c, v3, vcc_lo
; %bb.3026:
	s_or_b32 exec_lo, exec_lo, s1
	v_lshrrev_b32_e32 v4, 24, v2
	s_delay_alu instid0(VALU_DEP_1)
	v_and_or_b32 v3, 0x80, v4, v3
	global_store_b8 v[0:1], v3, off
.LBB126_3027:
	s_mov_b32 s1, 0
.LBB126_3028:
	s_delay_alu instid0(SALU_CYCLE_1)
	s_and_not1_b32 vcc_lo, exec_lo, s1
	s_mov_b32 s1, 0
	s_cbranch_vccnz .LBB126_3035
; %bb.3029:
	v_cmp_lt_i16_e32 vcc_lo, 14, v5
	s_mov_b32 s1, -1
	s_cbranch_vccz .LBB126_3033
; %bb.3030:
	v_cmp_eq_u16_e32 vcc_lo, 15, v5
	s_mov_b32 s0, -1
	s_cbranch_vccz .LBB126_3032
; %bb.3031:
	v_bfe_u32 v3, v2, 16, 1
	v_cmp_o_f32_e32 vcc_lo, v2, v2
	s_mov_b32 s0, 0
	s_delay_alu instid0(VALU_DEP_2) | instskip(NEXT) | instid1(VALU_DEP_1)
	v_add3_u32 v3, v2, v3, 0x7fff
	v_lshrrev_b32_e32 v3, 16, v3
	s_delay_alu instid0(VALU_DEP_1)
	v_cndmask_b32_e32 v3, 0x7fc0, v3, vcc_lo
	global_store_b16 v[0:1], v3, off
.LBB126_3032:
	s_mov_b32 s1, 0
.LBB126_3033:
	s_delay_alu instid0(SALU_CYCLE_1)
	s_and_b32 vcc_lo, exec_lo, s1
	s_mov_b32 s1, 0
	s_cbranch_vccz .LBB126_3035
; %bb.3034:
	v_cmp_ne_u16_e64 s0, 11, v5
	s_mov_b32 s1, -1
.LBB126_3035:
	s_delay_alu instid0(VALU_DEP_1)
	s_and_b32 vcc_lo, exec_lo, s0
	s_cbranch_vccnz .LBB126_3113
.LBB126_3036:
	s_mov_b32 s0, 0
	s_branch .LBB126_3038
.LBB126_3037:
	s_mov_b32 s0, 0
	s_mov_b32 s1, 0
                                        ; implicit-def: $vgpr5
                                        ; implicit-def: $vgpr0_vgpr1
                                        ; implicit-def: $vgpr2
.LBB126_3038:
	s_and_not1_b32 s2, s16, exec_lo
	s_and_b32 s3, s13, exec_lo
	s_and_b32 s0, s0, exec_lo
	s_and_b32 s13, s1, exec_lo
	s_or_b32 s16, s2, s3
.LBB126_3039:
	s_or_b32 exec_lo, exec_lo, s15
	s_and_saveexec_b32 s1, s16
	s_cbranch_execz .LBB126_3042
; %bb.3040:
	; divergent unreachable
	s_or_b32 exec_lo, exec_lo, s1
	s_and_saveexec_b32 s1, s13
	s_delay_alu instid0(SALU_CYCLE_1)
	s_xor_b32 s1, exec_lo, s1
	s_cbranch_execnz .LBB126_3043
.LBB126_3041:
	s_or_b32 exec_lo, exec_lo, s1
	s_and_saveexec_b32 s1, s0
	s_cbranch_execnz .LBB126_3044
	s_branch .LBB126_3081
.LBB126_3042:
	s_or_b32 exec_lo, exec_lo, s1
	s_and_saveexec_b32 s1, s13
	s_delay_alu instid0(SALU_CYCLE_1)
	s_xor_b32 s1, exec_lo, s1
	s_cbranch_execz .LBB126_3041
.LBB126_3043:
	s_waitcnt vmcnt(0)
	v_cmp_neq_f32_e32 vcc_lo, 0, v2
	v_cndmask_b32_e64 v3, 0, 1, vcc_lo
	global_store_b8 v[0:1], v3, off
	s_or_b32 exec_lo, exec_lo, s1
	s_and_saveexec_b32 s1, s0
	s_cbranch_execz .LBB126_3081
.LBB126_3044:
	v_cmp_gt_i16_e32 vcc_lo, 5, v5
	s_mov_b32 s0, -1
	s_cbranch_vccnz .LBB126_3065
; %bb.3045:
	v_cmp_gt_i16_e32 vcc_lo, 8, v5
	s_cbranch_vccnz .LBB126_3055
; %bb.3046:
	v_cmp_gt_i16_e32 vcc_lo, 9, v5
	s_cbranch_vccnz .LBB126_3052
; %bb.3047:
	v_cmp_lt_i16_e32 vcc_lo, 9, v5
	s_cbranch_vccz .LBB126_3049
; %bb.3048:
	s_waitcnt vmcnt(0)
	v_cvt_f64_f32_e32 v[6:7], v2
	v_mov_b32_e32 v8, 0
	s_mov_b32 s0, 0
	s_delay_alu instid0(VALU_DEP_1)
	v_mov_b32_e32 v9, v8
	global_store_b128 v[0:1], v[6:9], off
.LBB126_3049:
	s_and_not1_b32 vcc_lo, exec_lo, s0
	s_cbranch_vccnz .LBB126_3051
; %bb.3050:
	s_waitcnt vmcnt(0)
	v_mov_b32_e32 v3, 0
	global_store_b64 v[0:1], v[2:3], off
.LBB126_3051:
	s_mov_b32 s0, 0
.LBB126_3052:
	s_delay_alu instid0(SALU_CYCLE_1)
	s_and_not1_b32 vcc_lo, exec_lo, s0
	s_cbranch_vccnz .LBB126_3054
; %bb.3053:
	s_waitcnt vmcnt(0)
	v_cvt_f16_f32_e32 v3, v2
	s_delay_alu instid0(VALU_DEP_1)
	v_and_b32_e32 v3, 0xffff, v3
	global_store_b32 v[0:1], v3, off
.LBB126_3054:
	s_mov_b32 s0, 0
.LBB126_3055:
	s_delay_alu instid0(SALU_CYCLE_1)
	s_and_not1_b32 vcc_lo, exec_lo, s0
	s_cbranch_vccnz .LBB126_3064
; %bb.3056:
	v_cmp_gt_i16_e32 vcc_lo, 6, v5
	s_mov_b32 s0, -1
	s_cbranch_vccnz .LBB126_3062
; %bb.3057:
	v_cmp_lt_i16_e32 vcc_lo, 6, v5
	s_cbranch_vccz .LBB126_3059
; %bb.3058:
	s_waitcnt vmcnt(0)
	v_cvt_f64_f32_e32 v[3:4], v2
	s_mov_b32 s0, 0
	global_store_b64 v[0:1], v[3:4], off
.LBB126_3059:
	s_and_not1_b32 vcc_lo, exec_lo, s0
	s_cbranch_vccnz .LBB126_3061
; %bb.3060:
	s_waitcnt vmcnt(0)
	global_store_b32 v[0:1], v2, off
.LBB126_3061:
	s_mov_b32 s0, 0
.LBB126_3062:
	s_delay_alu instid0(SALU_CYCLE_1)
	s_and_not1_b32 vcc_lo, exec_lo, s0
	s_cbranch_vccnz .LBB126_3064
; %bb.3063:
	s_waitcnt vmcnt(0)
	v_cvt_f16_f32_e32 v3, v2
	global_store_b16 v[0:1], v3, off
.LBB126_3064:
	s_mov_b32 s0, 0
.LBB126_3065:
	s_delay_alu instid0(SALU_CYCLE_1)
	s_and_not1_b32 vcc_lo, exec_lo, s0
	s_cbranch_vccnz .LBB126_3081
; %bb.3066:
	v_cmp_gt_i16_e32 vcc_lo, 2, v5
	s_mov_b32 s0, -1
	s_cbranch_vccnz .LBB126_3076
; %bb.3067:
	v_cmp_gt_i16_e32 vcc_lo, 3, v5
	s_cbranch_vccnz .LBB126_3073
; %bb.3068:
	v_cmp_lt_i16_e32 vcc_lo, 3, v5
	s_cbranch_vccz .LBB126_3070
; %bb.3069:
	s_waitcnt vmcnt(0)
	v_trunc_f32_e32 v3, v2
	s_mov_b32 s0, 0
	s_delay_alu instid0(VALU_DEP_1) | instskip(SKIP_1) | instid1(VALU_DEP_2)
	v_mul_f32_e64 v4, 0x2f800000, |v3|
	v_ashrrev_i32_e32 v7, 31, v3
	v_floor_f32_e32 v4, v4
	s_delay_alu instid0(VALU_DEP_1) | instskip(SKIP_1) | instid1(VALU_DEP_2)
	v_fma_f32 v6, 0xcf800000, v4, |v3|
	v_cvt_u32_f32_e32 v4, v4
	v_cvt_u32_f32_e32 v3, v6
	s_delay_alu instid0(VALU_DEP_2) | instskip(NEXT) | instid1(VALU_DEP_2)
	v_xor_b32_e32 v4, v4, v7
	v_xor_b32_e32 v3, v3, v7
	s_delay_alu instid0(VALU_DEP_1) | instskip(NEXT) | instid1(VALU_DEP_3)
	v_sub_co_u32 v3, vcc_lo, v3, v7
	v_sub_co_ci_u32_e32 v4, vcc_lo, v4, v7, vcc_lo
	global_store_b64 v[0:1], v[3:4], off
.LBB126_3070:
	s_and_not1_b32 vcc_lo, exec_lo, s0
	s_cbranch_vccnz .LBB126_3072
; %bb.3071:
	s_waitcnt vmcnt(0)
	v_cvt_i32_f32_e32 v3, v2
	global_store_b32 v[0:1], v3, off
.LBB126_3072:
	s_mov_b32 s0, 0
.LBB126_3073:
	s_delay_alu instid0(SALU_CYCLE_1)
	s_and_not1_b32 vcc_lo, exec_lo, s0
	s_cbranch_vccnz .LBB126_3075
; %bb.3074:
	s_waitcnt vmcnt(0)
	v_cvt_i32_f32_e32 v3, v2
	global_store_b16 v[0:1], v3, off
.LBB126_3075:
	s_mov_b32 s0, 0
.LBB126_3076:
	s_delay_alu instid0(SALU_CYCLE_1)
	s_and_not1_b32 vcc_lo, exec_lo, s0
	s_cbranch_vccnz .LBB126_3081
; %bb.3077:
	v_cmp_lt_i16_e32 vcc_lo, 0, v5
	s_mov_b32 s0, -1
	s_cbranch_vccz .LBB126_3079
; %bb.3078:
	s_waitcnt vmcnt(0)
	v_cvt_i32_f32_e32 v3, v2
	s_mov_b32 s0, 0
	global_store_b8 v[0:1], v3, off
.LBB126_3079:
	s_and_not1_b32 vcc_lo, exec_lo, s0
	s_cbranch_vccnz .LBB126_3081
; %bb.3080:
	s_waitcnt vmcnt(0)
	v_trunc_f32_e32 v2, v2
	s_delay_alu instid0(VALU_DEP_1) | instskip(NEXT) | instid1(VALU_DEP_1)
	v_mul_f32_e64 v3, 0x2f800000, |v2|
	v_floor_f32_e32 v3, v3
	s_delay_alu instid0(VALU_DEP_1) | instskip(SKIP_1) | instid1(VALU_DEP_2)
	v_fma_f32 v3, 0xcf800000, v3, |v2|
	v_ashrrev_i32_e32 v2, 31, v2
	v_cvt_u32_f32_e32 v3, v3
	s_delay_alu instid0(VALU_DEP_1) | instskip(NEXT) | instid1(VALU_DEP_1)
	v_xor_b32_e32 v3, v3, v2
	v_sub_nc_u32_e32 v2, v3, v2
	global_store_b8 v[0:1], v2, off
	s_nop 0
	s_sendmsg sendmsg(MSG_DEALLOC_VGPRS)
	s_endpgm
.LBB126_3081:
	s_nop 0
	s_sendmsg sendmsg(MSG_DEALLOC_VGPRS)
	s_endpgm
.LBB126_3082:
	s_mov_b32 s1, 0
	s_mov_b32 s0, -1
	s_branch .LBB126_3038
.LBB126_3083:
	s_cbranch_execnz .LBB126_3087
; %bb.3084:
	s_mov_b32 s6, 0
	s_and_not1_b32 s2, s2, exec_lo
	s_or_b32 s13, s13, exec_lo
	s_cbranch_execz .LBB126_2552
	s_branch .LBB126_2553
.LBB126_3085:
	s_or_saveexec_b32 s7, s7
                                        ; implicit-def: $sgpr12
	s_delay_alu instid0(SALU_CYCLE_1)
	s_xor_b32 exec_lo, exec_lo, s7
	s_cbranch_execz .LBB126_2632
.LBB126_3086:
	v_add_f32_e64 v3, 0x46000000, |v2|
	s_and_not1_b32 s6, s6, exec_lo
	s_mov_b32 s12, 0
	s_delay_alu instid0(VALU_DEP_1) | instskip(NEXT) | instid1(VALU_DEP_1)
	v_and_b32_e32 v3, 0xff, v3
	v_cmp_ne_u32_e32 vcc_lo, 0, v3
	s_and_b32 s14, vcc_lo, exec_lo
	s_delay_alu instid0(SALU_CYCLE_1)
	s_or_b32 s6, s6, s14
	s_or_b32 exec_lo, exec_lo, s7
	v_mov_b32_e32 v9, s12
	s_and_saveexec_b32 s7, s6
	s_cbranch_execnz .LBB126_2633
	s_branch .LBB126_2634
.LBB126_3087:
	s_trap 2
	s_sendmsg_rtn_b32 s0, sendmsg(MSG_RTN_GET_DOORBELL)
	s_mov_b32 ttmp2, m0
	s_waitcnt lgkmcnt(0)
	s_and_b32 s0, s0, 0x3ff
	s_delay_alu instid0(SALU_CYCLE_1) | instskip(NEXT) | instid1(SALU_CYCLE_1)
	s_bitset1_b32 s0, 10
	s_mov_b32 m0, s0
	s_sendmsg sendmsg(MSG_INTERRUPT)
	s_mov_b32 m0, ttmp2
.LBB126_3088:                           ; =>This Inner Loop Header: Depth=1
	s_sethalt 5
	s_branch .LBB126_3088
.LBB126_3089:
	s_cbranch_execnz .LBB126_3095
; %bb.3090:
	s_or_b32 s13, s13, exec_lo
	s_cbranch_execz .LBB126_2680
	s_branch .LBB126_2681
.LBB126_3091:
	s_or_saveexec_b32 s6, s6
                                        ; implicit-def: $sgpr7
	s_delay_alu instid0(SALU_CYCLE_1)
	s_xor_b32 exec_lo, exec_lo, s6
	s_cbranch_execz .LBB126_2645
.LBB126_3092:
	v_add_f32_e64 v3, 0x42800000, |v2|
	s_and_not1_b32 s3, s3, exec_lo
	s_mov_b32 s7, 0
	s_delay_alu instid0(VALU_DEP_1) | instskip(NEXT) | instid1(VALU_DEP_1)
	v_and_b32_e32 v3, 0xff, v3
	v_cmp_ne_u32_e32 vcc_lo, 0, v3
	s_and_b32 s12, vcc_lo, exec_lo
	s_delay_alu instid0(SALU_CYCLE_1)
	s_or_b32 s3, s3, s12
	s_or_b32 exec_lo, exec_lo, s6
	v_mov_b32_e32 v9, s7
	s_and_saveexec_b32 s6, s3
	s_cbranch_execnz .LBB126_2646
	s_branch .LBB126_2647
.LBB126_3093:
	s_or_saveexec_b32 s8, s8
                                        ; implicit-def: $sgpr9
	s_delay_alu instid0(SALU_CYCLE_1)
	s_xor_b32 exec_lo, exec_lo, s8
	s_cbranch_execz .LBB126_2751
.LBB126_3094:
	v_add_f32_e64 v3, 0x46000000, |v2|
	s_and_not1_b32 s7, s7, exec_lo
	s_mov_b32 s9, 0
	s_delay_alu instid0(VALU_DEP_1) | instskip(NEXT) | instid1(VALU_DEP_1)
	v_and_b32_e32 v3, 0xff, v3
	v_cmp_ne_u32_e32 vcc_lo, 0, v3
	s_and_b32 s12, vcc_lo, exec_lo
	s_delay_alu instid0(SALU_CYCLE_1)
	s_or_b32 s7, s7, s12
	s_or_b32 exec_lo, exec_lo, s8
	v_mov_b32_e32 v6, s9
	s_and_saveexec_b32 s8, s7
	s_cbranch_execnz .LBB126_2752
	s_branch .LBB126_2753
.LBB126_3095:
	s_trap 2
	s_sendmsg_rtn_b32 s0, sendmsg(MSG_RTN_GET_DOORBELL)
	s_mov_b32 ttmp2, m0
	s_waitcnt lgkmcnt(0)
	s_and_b32 s0, s0, 0x3ff
	s_delay_alu instid0(SALU_CYCLE_1) | instskip(NEXT) | instid1(SALU_CYCLE_1)
	s_bitset1_b32 s0, 10
	s_mov_b32 m0, s0
	s_sendmsg sendmsg(MSG_INTERRUPT)
	s_mov_b32 m0, ttmp2
.LBB126_3096:                           ; =>This Inner Loop Header: Depth=1
	s_sethalt 5
	s_branch .LBB126_3096
.LBB126_3097:
	s_cbranch_execnz .LBB126_3103
; %bb.3098:
	s_or_b32 s13, s13, exec_lo
	s_cbranch_execz .LBB126_2799
	s_branch .LBB126_2800
.LBB126_3099:
	s_or_saveexec_b32 s7, s7
                                        ; implicit-def: $sgpr8
	s_delay_alu instid0(SALU_CYCLE_1)
	s_xor_b32 exec_lo, exec_lo, s7
	s_cbranch_execz .LBB126_2764
.LBB126_3100:
	v_add_f32_e64 v3, 0x42800000, |v2|
	s_and_not1_b32 s6, s6, exec_lo
	s_mov_b32 s8, 0
	s_delay_alu instid0(VALU_DEP_1) | instskip(NEXT) | instid1(VALU_DEP_1)
	v_and_b32_e32 v3, 0xff, v3
	v_cmp_ne_u32_e32 vcc_lo, 0, v3
	s_and_b32 s9, vcc_lo, exec_lo
	s_delay_alu instid0(SALU_CYCLE_1)
	s_or_b32 s6, s6, s9
	s_or_b32 exec_lo, exec_lo, s7
	v_mov_b32_e32 v6, s8
	s_and_saveexec_b32 s7, s6
	s_cbranch_execnz .LBB126_2765
	s_branch .LBB126_2766
.LBB126_3101:
	s_or_saveexec_b32 s8, s8
                                        ; implicit-def: $sgpr9
	s_delay_alu instid0(SALU_CYCLE_1)
	s_xor_b32 exec_lo, exec_lo, s8
	s_cbranch_execz .LBB126_2870
.LBB126_3102:
	v_add_f32_e64 v3, 0x46000000, |v2|
	s_and_not1_b32 s7, s7, exec_lo
	s_mov_b32 s9, 0
	s_delay_alu instid0(VALU_DEP_1) | instskip(NEXT) | instid1(VALU_DEP_1)
	v_and_b32_e32 v3, 0xff, v3
	v_cmp_ne_u32_e32 vcc_lo, 0, v3
	s_and_b32 s10, vcc_lo, exec_lo
	s_delay_alu instid0(SALU_CYCLE_1)
	s_or_b32 s7, s7, s10
	s_or_b32 exec_lo, exec_lo, s8
	v_mov_b32_e32 v6, s9
	s_and_saveexec_b32 s8, s7
	s_cbranch_execnz .LBB126_2871
	s_branch .LBB126_2872
.LBB126_3103:
	s_trap 2
	s_sendmsg_rtn_b32 s0, sendmsg(MSG_RTN_GET_DOORBELL)
	s_mov_b32 ttmp2, m0
	s_waitcnt lgkmcnt(0)
	s_and_b32 s0, s0, 0x3ff
	s_delay_alu instid0(SALU_CYCLE_1) | instskip(NEXT) | instid1(SALU_CYCLE_1)
	s_bitset1_b32 s0, 10
	s_mov_b32 m0, s0
	s_sendmsg sendmsg(MSG_INTERRUPT)
	s_mov_b32 m0, ttmp2
.LBB126_3104:                           ; =>This Inner Loop Header: Depth=1
	s_sethalt 5
	s_branch .LBB126_3104
.LBB126_3105:
	s_cbranch_execnz .LBB126_3111
; %bb.3106:
	s_or_b32 s13, s13, exec_lo
	s_cbranch_execz .LBB126_2918
	s_branch .LBB126_2919
.LBB126_3107:
	s_or_saveexec_b32 s7, s7
                                        ; implicit-def: $sgpr8
	s_delay_alu instid0(SALU_CYCLE_1)
	s_xor_b32 exec_lo, exec_lo, s7
	s_cbranch_execz .LBB126_2883
.LBB126_3108:
	v_add_f32_e64 v3, 0x42800000, |v2|
	s_and_not1_b32 s6, s6, exec_lo
	s_mov_b32 s8, 0
	s_delay_alu instid0(VALU_DEP_1) | instskip(NEXT) | instid1(VALU_DEP_1)
	v_and_b32_e32 v3, 0xff, v3
	v_cmp_ne_u32_e32 vcc_lo, 0, v3
	s_and_b32 s9, vcc_lo, exec_lo
	s_delay_alu instid0(SALU_CYCLE_1)
	s_or_b32 s6, s6, s9
	s_or_b32 exec_lo, exec_lo, s7
	v_mov_b32_e32 v6, s8
	s_and_saveexec_b32 s7, s6
	s_cbranch_execnz .LBB126_2884
	s_branch .LBB126_2885
.LBB126_3109:
	s_or_saveexec_b32 s4, s4
                                        ; implicit-def: $sgpr5
	s_delay_alu instid0(SALU_CYCLE_1)
	s_xor_b32 exec_lo, exec_lo, s4
	s_cbranch_execz .LBB126_2990
.LBB126_3110:
	v_add_f32_e64 v3, 0x46000000, |v2|
	s_and_not1_b32 s3, s3, exec_lo
	s_mov_b32 s5, 0
	s_delay_alu instid0(VALU_DEP_1) | instskip(NEXT) | instid1(VALU_DEP_1)
	v_and_b32_e32 v3, 0xff, v3
	v_cmp_ne_u32_e32 vcc_lo, 0, v3
	s_and_b32 s6, vcc_lo, exec_lo
	s_delay_alu instid0(SALU_CYCLE_1)
	s_or_b32 s3, s3, s6
	s_or_b32 exec_lo, exec_lo, s4
	v_mov_b32_e32 v4, s5
	s_and_saveexec_b32 s4, s3
	s_cbranch_execnz .LBB126_2991
	s_branch .LBB126_2992
.LBB126_3111:
	s_trap 2
	s_sendmsg_rtn_b32 s0, sendmsg(MSG_RTN_GET_DOORBELL)
	s_mov_b32 ttmp2, m0
	s_waitcnt lgkmcnt(0)
	s_and_b32 s0, s0, 0x3ff
	s_delay_alu instid0(SALU_CYCLE_1) | instskip(NEXT) | instid1(SALU_CYCLE_1)
	s_bitset1_b32 s0, 10
	s_mov_b32 m0, s0
	s_sendmsg sendmsg(MSG_INTERRUPT)
	s_mov_b32 m0, ttmp2
.LBB126_3112:                           ; =>This Inner Loop Header: Depth=1
	s_sethalt 5
	s_branch .LBB126_3112
.LBB126_3113:
	s_cbranch_execnz .LBB126_3117
; %bb.3114:
	s_mov_b32 s1, 0
	s_or_b32 s13, s13, exec_lo
	s_branch .LBB126_3036
.LBB126_3115:
	s_or_saveexec_b32 s3, s3
                                        ; implicit-def: $sgpr4
	s_delay_alu instid0(SALU_CYCLE_1)
	s_xor_b32 exec_lo, exec_lo, s3
	s_cbranch_execz .LBB126_3002
.LBB126_3116:
	v_add_f32_e64 v3, 0x42800000, |v2|
	s_and_not1_b32 s2, s2, exec_lo
	s_mov_b32 s4, 0
	s_delay_alu instid0(VALU_DEP_1) | instskip(NEXT) | instid1(VALU_DEP_1)
	v_and_b32_e32 v3, 0xff, v3
	v_cmp_ne_u32_e32 vcc_lo, 0, v3
	s_and_b32 s5, vcc_lo, exec_lo
	s_delay_alu instid0(SALU_CYCLE_1)
	s_or_b32 s2, s2, s5
	s_or_b32 exec_lo, exec_lo, s3
	v_mov_b32_e32 v4, s4
	s_and_saveexec_b32 s3, s2
	s_cbranch_execnz .LBB126_3003
	s_branch .LBB126_3004
.LBB126_3117:
	s_trap 2
	s_sendmsg_rtn_b32 s0, sendmsg(MSG_RTN_GET_DOORBELL)
	s_mov_b32 ttmp2, m0
	s_waitcnt lgkmcnt(0)
	s_and_b32 s0, s0, 0x3ff
	s_delay_alu instid0(SALU_CYCLE_1) | instskip(NEXT) | instid1(SALU_CYCLE_1)
	s_bitset1_b32 s0, 10
	s_mov_b32 m0, s0
	s_sendmsg sendmsg(MSG_INTERRUPT)
	s_mov_b32 m0, ttmp2
.LBB126_3118:                           ; =>This Inner Loop Header: Depth=1
	s_sethalt 5
	s_branch .LBB126_3118
	.section	.rodata,"a",@progbits
	.p2align	6, 0x0
	.amdhsa_kernel _ZN2at6native32elementwise_kernel_manual_unrollILi128ELi4EZNS0_15gpu_kernel_implIZNS0_12_GLOBAL__N_119masked_scale_kernelIbffEEvRNS_6TensorERKS5_S8_T1_EUlfbE_EEvRNS_18TensorIteratorBaseERKT_EUlibE_EEviS9_
		.amdhsa_group_segment_fixed_size 0
		.amdhsa_private_segment_fixed_size 0
		.amdhsa_kernarg_size 56
		.amdhsa_user_sgpr_count 15
		.amdhsa_user_sgpr_dispatch_ptr 0
		.amdhsa_user_sgpr_queue_ptr 0
		.amdhsa_user_sgpr_kernarg_segment_ptr 1
		.amdhsa_user_sgpr_dispatch_id 0
		.amdhsa_user_sgpr_private_segment_size 0
		.amdhsa_wavefront_size32 1
		.amdhsa_uses_dynamic_stack 0
		.amdhsa_enable_private_segment 0
		.amdhsa_system_sgpr_workgroup_id_x 1
		.amdhsa_system_sgpr_workgroup_id_y 0
		.amdhsa_system_sgpr_workgroup_id_z 0
		.amdhsa_system_sgpr_workgroup_info 0
		.amdhsa_system_vgpr_workitem_id 0
		.amdhsa_next_free_vgpr 14
		.amdhsa_next_free_sgpr 35
		.amdhsa_reserve_vcc 1
		.amdhsa_float_round_mode_32 0
		.amdhsa_float_round_mode_16_64 0
		.amdhsa_float_denorm_mode_32 3
		.amdhsa_float_denorm_mode_16_64 3
		.amdhsa_dx10_clamp 1
		.amdhsa_ieee_mode 1
		.amdhsa_fp16_overflow 0
		.amdhsa_workgroup_processor_mode 1
		.amdhsa_memory_ordered 1
		.amdhsa_forward_progress 0
		.amdhsa_shared_vgpr_count 0
		.amdhsa_exception_fp_ieee_invalid_op 0
		.amdhsa_exception_fp_denorm_src 0
		.amdhsa_exception_fp_ieee_div_zero 0
		.amdhsa_exception_fp_ieee_overflow 0
		.amdhsa_exception_fp_ieee_underflow 0
		.amdhsa_exception_fp_ieee_inexact 0
		.amdhsa_exception_int_div_zero 0
	.end_amdhsa_kernel
	.section	.text._ZN2at6native32elementwise_kernel_manual_unrollILi128ELi4EZNS0_15gpu_kernel_implIZNS0_12_GLOBAL__N_119masked_scale_kernelIbffEEvRNS_6TensorERKS5_S8_T1_EUlfbE_EEvRNS_18TensorIteratorBaseERKT_EUlibE_EEviS9_,"axG",@progbits,_ZN2at6native32elementwise_kernel_manual_unrollILi128ELi4EZNS0_15gpu_kernel_implIZNS0_12_GLOBAL__N_119masked_scale_kernelIbffEEvRNS_6TensorERKS5_S8_T1_EUlfbE_EEvRNS_18TensorIteratorBaseERKT_EUlibE_EEviS9_,comdat
.Lfunc_end126:
	.size	_ZN2at6native32elementwise_kernel_manual_unrollILi128ELi4EZNS0_15gpu_kernel_implIZNS0_12_GLOBAL__N_119masked_scale_kernelIbffEEvRNS_6TensorERKS5_S8_T1_EUlfbE_EEvRNS_18TensorIteratorBaseERKT_EUlibE_EEviS9_, .Lfunc_end126-_ZN2at6native32elementwise_kernel_manual_unrollILi128ELi4EZNS0_15gpu_kernel_implIZNS0_12_GLOBAL__N_119masked_scale_kernelIbffEEvRNS_6TensorERKS5_S8_T1_EUlfbE_EEvRNS_18TensorIteratorBaseERKT_EUlibE_EEviS9_
                                        ; -- End function
	.section	.AMDGPU.csdata,"",@progbits
; Kernel info:
; codeLenInByte = 53928
; NumSgprs: 37
; NumVgprs: 14
; ScratchSize: 0
; MemoryBound: 1
; FloatMode: 240
; IeeeMode: 1
; LDSByteSize: 0 bytes/workgroup (compile time only)
; SGPRBlocks: 4
; VGPRBlocks: 1
; NumSGPRsForWavesPerEU: 37
; NumVGPRsForWavesPerEU: 14
; Occupancy: 16
; WaveLimiterHint : 0
; COMPUTE_PGM_RSRC2:SCRATCH_EN: 0
; COMPUTE_PGM_RSRC2:USER_SGPR: 15
; COMPUTE_PGM_RSRC2:TRAP_HANDLER: 0
; COMPUTE_PGM_RSRC2:TGID_X_EN: 1
; COMPUTE_PGM_RSRC2:TGID_Y_EN: 0
; COMPUTE_PGM_RSRC2:TGID_Z_EN: 0
; COMPUTE_PGM_RSRC2:TIDIG_COMP_CNT: 0
	.section	.text._ZN2at6native32elementwise_kernel_manual_unrollILi128ELi4EZNS0_15gpu_kernel_implIZNS0_12_GLOBAL__N_119masked_scale_kernelIbffEEvRNS_6TensorERKS5_S8_T1_EUlfbE_EEvRNS_18TensorIteratorBaseERKT_EUlibE0_EEviS9_,"axG",@progbits,_ZN2at6native32elementwise_kernel_manual_unrollILi128ELi4EZNS0_15gpu_kernel_implIZNS0_12_GLOBAL__N_119masked_scale_kernelIbffEEvRNS_6TensorERKS5_S8_T1_EUlfbE_EEvRNS_18TensorIteratorBaseERKT_EUlibE0_EEviS9_,comdat
	.globl	_ZN2at6native32elementwise_kernel_manual_unrollILi128ELi4EZNS0_15gpu_kernel_implIZNS0_12_GLOBAL__N_119masked_scale_kernelIbffEEvRNS_6TensorERKS5_S8_T1_EUlfbE_EEvRNS_18TensorIteratorBaseERKT_EUlibE0_EEviS9_ ; -- Begin function _ZN2at6native32elementwise_kernel_manual_unrollILi128ELi4EZNS0_15gpu_kernel_implIZNS0_12_GLOBAL__N_119masked_scale_kernelIbffEEvRNS_6TensorERKS5_S8_T1_EUlfbE_EEvRNS_18TensorIteratorBaseERKT_EUlibE0_EEviS9_
	.p2align	8
	.type	_ZN2at6native32elementwise_kernel_manual_unrollILi128ELi4EZNS0_15gpu_kernel_implIZNS0_12_GLOBAL__N_119masked_scale_kernelIbffEEvRNS_6TensorERKS5_S8_T1_EUlfbE_EEvRNS_18TensorIteratorBaseERKT_EUlibE0_EEviS9_,@function
_ZN2at6native32elementwise_kernel_manual_unrollILi128ELi4EZNS0_15gpu_kernel_implIZNS0_12_GLOBAL__N_119masked_scale_kernelIbffEEvRNS_6TensorERKS5_S8_T1_EUlfbE_EEvRNS_18TensorIteratorBaseERKT_EUlibE0_EEviS9_: ; @_ZN2at6native32elementwise_kernel_manual_unrollILi128ELi4EZNS0_15gpu_kernel_implIZNS0_12_GLOBAL__N_119masked_scale_kernelIbffEEvRNS_6TensorERKS5_S8_T1_EUlfbE_EEvRNS_18TensorIteratorBaseERKT_EUlibE0_EEviS9_
; %bb.0:
	s_clause 0x1
	s_load_b32 s26, s[0:1], 0x8
	s_load_b32 s36, s[0:1], 0x0
	v_lshl_or_b32 v4, s15, 9, v0
	s_or_b32 s20, s0, 8
	s_mov_b32 s3, -1
	s_mov_b32 s28, 0
	s_mov_b32 s21, s1
	v_or_b32_e32 v12, 0x180, v4
	s_mov_b32 s8, 0
	s_mov_b32 s2, exec_lo
	s_waitcnt lgkmcnt(0)
	s_add_i32 s27, s26, -1
	s_delay_alu instid0(SALU_CYCLE_1)
	s_cmp_gt_u32 s27, 1
	s_cselect_b32 s29, -1, 0
	v_cmpx_le_i32_e64 s36, v12
	s_xor_b32 s30, exec_lo, s2
	s_cbranch_execz .LBB127_1509
; %bb.1:
	s_clause 0x4
	s_load_b256 s[4:11], s[20:21], 0x188
	s_load_b128 s[16:19], s[20:21], 0x4
	s_load_b64 s[24:25], s[20:21], 0x14
	s_load_b128 s[12:15], s[20:21], 0xc4
	s_load_b64 s[22:23], s[20:21], 0xd4
	s_cmp_lg_u32 s26, 0
	s_mov_b32 s42, 0
	s_cselect_b32 s37, -1, 0
	s_min_u32 s35, s27, 15
	s_cmp_gt_u32 s26, 1
	s_mov_b32 s40, 0
	s_mov_b32 s39, 0
	s_cselect_b32 s34, -1, 0
	s_mov_b32 s38, 0
	s_mov_b32 s41, exec_lo
	s_waitcnt lgkmcnt(0)
	s_lshr_b32 s33, s11, 8
	s_lshr_b32 s31, s11, 16
	v_cmpx_gt_i32_e64 s36, v4
	s_cbranch_execz .LBB127_385
; %bb.2:
	s_and_not1_b32 vcc_lo, exec_lo, s29
	s_cbranch_vccnz .LBB127_8
; %bb.3:
	v_dual_mov_b32 v0, 0 :: v_dual_mov_b32 v1, 0
	v_mov_b32_e32 v2, 0
	s_and_not1_b32 vcc_lo, exec_lo, s37
	s_cbranch_vccnz .LBB127_9
; %bb.4:
	s_add_i32 s2, s35, 1
	v_dual_mov_b32 v1, 0 :: v_dual_mov_b32 v2, 0
	v_dual_mov_b32 v0, 0 :: v_dual_mov_b32 v3, v4
	s_and_b32 s39, s2, 30
	s_add_u32 s2, s20, 0xffffffec
	s_addc_u32 s3, s21, -1
	s_set_inst_prefetch_distance 0x1
	.p2align	6
.LBB127_5:                              ; =>This Inner Loop Header: Depth=1
	s_clause 0x2
	s_load_b128 s[44:47], s[2:3], 0x18
	s_load_b64 s[52:53], s[2:3], 0x28
	s_load_b128 s[48:51], s[2:3], 0xd8
	s_waitcnt lgkmcnt(0)
	v_mul_hi_u32 v5, s45, v3
	s_delay_alu instid0(VALU_DEP_1) | instskip(NEXT) | instid1(VALU_DEP_1)
	v_add_nc_u32_e32 v5, v3, v5
	v_lshrrev_b32_e32 v5, s46, v5
	s_delay_alu instid0(VALU_DEP_1)
	v_mul_hi_u32 v6, s52, v5
	v_mul_lo_u32 v7, v5, s44
	s_load_b64 s[44:45], s[2:3], 0xe8
	s_add_u32 s2, s2, 24
	s_addc_u32 s3, s3, 0
	s_add_i32 s39, s39, -2
	s_delay_alu instid0(SALU_CYCLE_1) | instskip(NEXT) | instid1(VALU_DEP_2)
	s_cmp_lg_u32 s39, 0
	v_add_nc_u32_e32 v6, v5, v6
	s_delay_alu instid0(VALU_DEP_2) | instskip(NEXT) | instid1(VALU_DEP_2)
	v_sub_nc_u32_e32 v7, v3, v7
	v_lshrrev_b32_e32 v3, s53, v6
	s_delay_alu instid0(VALU_DEP_2) | instskip(NEXT) | instid1(VALU_DEP_2)
	v_mul_lo_u32 v8, v7, s48
	v_mul_lo_u32 v6, v3, s47
	s_delay_alu instid0(VALU_DEP_1) | instskip(SKIP_2) | instid1(VALU_DEP_3)
	v_sub_nc_u32_e32 v5, v5, v6
	v_mul_lo_u32 v6, v7, s49
	v_mul_lo_u32 v7, v7, s50
	;; [unrolled: 1-line block ×3, first 2 shown]
	s_waitcnt lgkmcnt(0)
	v_mul_lo_u32 v10, v5, s44
	v_mul_lo_u32 v5, v5, s45
	s_delay_alu instid0(VALU_DEP_3) | instskip(NEXT) | instid1(VALU_DEP_3)
	v_add3_u32 v0, v8, v0, v9
	v_add3_u32 v2, v6, v2, v10
	s_delay_alu instid0(VALU_DEP_3)
	v_add3_u32 v1, v7, v1, v5
	s_cbranch_scc1 .LBB127_5
; %bb.6:
	s_set_inst_prefetch_distance 0x2
	s_bitcmp1_b32 s35, 0
	s_cselect_b32 s39, -1, 0
	s_delay_alu instid0(SALU_CYCLE_1)
	s_and_b32 vcc_lo, exec_lo, s39
	s_cbranch_vccnz .LBB127_9
; %bb.7:
	s_clause 0x3
	s_load_b64 s[44:45], s[2:3], 0x18
	s_load_b32 s39, s[2:3], 0x20
	s_load_b64 s[46:47], s[2:3], 0xd8
	s_load_b32 s2, s[2:3], 0xe0
	s_waitcnt lgkmcnt(0)
	v_mul_hi_u32 v5, s45, v3
	s_delay_alu instid0(VALU_DEP_1) | instskip(NEXT) | instid1(VALU_DEP_1)
	v_add_nc_u32_e32 v5, v3, v5
	v_lshrrev_b32_e32 v5, s39, v5
	s_delay_alu instid0(VALU_DEP_1) | instskip(NEXT) | instid1(VALU_DEP_1)
	v_mul_lo_u32 v5, v5, s44
	v_sub_nc_u32_e32 v3, v3, v5
	s_delay_alu instid0(VALU_DEP_1) | instskip(SKIP_2) | instid1(VALU_DEP_3)
	v_mad_u64_u32 v[5:6], null, v3, s46, v[0:1]
	v_mad_u64_u32 v[6:7], null, v3, s47, v[2:3]
	v_mad_u64_u32 v[7:8], null, v3, s2, v[1:2]
	v_mov_b32_e32 v0, v5
	s_delay_alu instid0(VALU_DEP_2)
	v_dual_mov_b32 v2, v6 :: v_dual_mov_b32 v1, v7
	s_branch .LBB127_9
.LBB127_8:
	s_mov_b32 s38, -1
                                        ; implicit-def: $vgpr0
                                        ; implicit-def: $vgpr2
                                        ; implicit-def: $vgpr1
.LBB127_9:
	s_delay_alu instid0(SALU_CYCLE_1)
	s_and_not1_b32 vcc_lo, exec_lo, s38
	s_cbranch_vccnz .LBB127_12
; %bb.10:
	v_mul_hi_u32 v0, s17, v4
	s_and_not1_b32 vcc_lo, exec_lo, s34
	s_delay_alu instid0(VALU_DEP_1) | instskip(NEXT) | instid1(VALU_DEP_1)
	v_add_nc_u32_e32 v0, v4, v0
	v_lshrrev_b32_e32 v3, s18, v0
	s_delay_alu instid0(VALU_DEP_1) | instskip(NEXT) | instid1(VALU_DEP_1)
	v_mul_lo_u32 v0, v3, s16
	v_sub_nc_u32_e32 v1, v4, v0
	s_delay_alu instid0(VALU_DEP_1)
	v_mul_lo_u32 v0, v1, s12
	v_mul_lo_u32 v2, v1, s13
	;; [unrolled: 1-line block ×3, first 2 shown]
	s_cbranch_vccnz .LBB127_12
; %bb.11:
	v_mul_hi_u32 v5, s24, v3
	s_delay_alu instid0(VALU_DEP_1) | instskip(NEXT) | instid1(VALU_DEP_1)
	v_add_nc_u32_e32 v5, v3, v5
	v_lshrrev_b32_e32 v5, s25, v5
	s_delay_alu instid0(VALU_DEP_1) | instskip(NEXT) | instid1(VALU_DEP_1)
	v_mul_lo_u32 v5, v5, s19
	v_sub_nc_u32_e32 v3, v3, v5
	s_delay_alu instid0(VALU_DEP_1) | instskip(SKIP_2) | instid1(VALU_DEP_3)
	v_mad_u64_u32 v[5:6], null, v3, s15, v[0:1]
	v_mad_u64_u32 v[6:7], null, v3, s22, v[2:3]
	;; [unrolled: 1-line block ×3, first 2 shown]
	v_mov_b32_e32 v0, v5
	s_delay_alu instid0(VALU_DEP_2)
	v_dual_mov_b32 v2, v6 :: v_dual_mov_b32 v1, v7
.LBB127_12:
	v_and_b32_e64 v6, 0xff, s33
	s_delay_alu instid0(VALU_DEP_2) | instskip(NEXT) | instid1(VALU_DEP_1)
	v_add_co_u32 v2, s2, s6, v2
	v_add_co_ci_u32_e64 v3, null, s7, 0, s2
	s_delay_alu instid0(VALU_DEP_3)
	v_cmp_gt_i16_e32 vcc_lo, 11, v6
	s_mov_b32 s3, 0
	s_cbranch_vccnz .LBB127_19
; %bb.13:
	v_cmp_lt_i16_e32 vcc_lo, 25, v6
	s_cbranch_vccz .LBB127_28
; %bb.14:
	v_cmp_lt_i16_e32 vcc_lo, 28, v6
	s_cbranch_vccz .LBB127_148
	;; [unrolled: 3-line block ×4, first 2 shown]
; %bb.17:
	v_cmp_eq_u16_e32 vcc_lo, 46, v6
	s_mov_b32 s38, 0
	s_cbranch_vccz .LBB127_154
; %bb.18:
	global_load_b32 v5, v[2:3], off
	s_mov_b32 s2, -1
	s_waitcnt vmcnt(0)
	v_lshlrev_b32_e32 v5, 16, v5
	s_branch .LBB127_156
.LBB127_19:
	s_mov_b32 s2, 0
                                        ; implicit-def: $vgpr5
	s_cbranch_execnz .LBB127_221
.LBB127_20:
	s_and_not1_b32 vcc_lo, exec_lo, s2
	s_cbranch_vccnz .LBB127_268
.LBB127_21:
	v_and_b32_e64 v3, 0xff, s31
	v_add_co_u32 v1, s2, s8, v1
	s_delay_alu instid0(VALU_DEP_1) | instskip(NEXT) | instid1(VALU_DEP_3)
	v_add_co_ci_u32_e64 v2, null, s9, 0, s2
	v_cmp_gt_i16_e32 vcc_lo, 11, v3
	s_mov_b32 s39, 0
	s_cbranch_vccnz .LBB127_29
; %bb.22:
	v_cmp_lt_i16_e32 vcc_lo, 25, v3
	s_cbranch_vccz .LBB127_149
; %bb.23:
	v_cmp_lt_i16_e32 vcc_lo, 28, v3
	s_cbranch_vccz .LBB127_151
	;; [unrolled: 3-line block ×4, first 2 shown]
; %bb.26:
	v_cmp_eq_u16_e32 vcc_lo, 46, v3
	s_mov_b32 s40, 0
	s_cbranch_vccz .LBB127_269
; %bb.27:
	global_load_b32 v6, v[1:2], off
	s_mov_b32 s2, -1
	s_waitcnt vmcnt(0)
	v_and_b32_e32 v6, 0x7fff7fff, v6
	s_delay_alu instid0(VALU_DEP_1)
	v_cmp_ne_u32_e32 vcc_lo, 0, v6
	s_and_b32 s38, vcc_lo, exec_lo
	s_branch .LBB127_271
.LBB127_28:
	s_mov_b32 s2, 0
                                        ; implicit-def: $vgpr5
	s_cbranch_execnz .LBB127_186
	s_branch .LBB127_220
.LBB127_29:
	s_mov_b32 s2, 0
                                        ; implicit-def: $sgpr38
	s_cbranch_execnz .LBB127_334
.LBB127_30:
	s_and_not1_b32 vcc_lo, exec_lo, s2
	s_cbranch_vccnz .LBB127_382
.LBB127_31:
	v_cndmask_b32_e64 v1, 0, 1.0, s38
	v_and_b32_e64 v6, 0xff, s11
	v_add_co_u32 v0, s38, s4, v0
	s_mov_b32 s2, 0
	s_waitcnt vmcnt(0)
	v_mul_f32_e32 v2, v5, v1
	v_cmp_gt_i16_e32 vcc_lo, 11, v6
	v_add_co_ci_u32_e64 v1, null, s5, 0, s38
	s_mov_b32 s39, -1
	s_delay_alu instid0(VALU_DEP_3)
	v_mul_f32_e32 v2, s10, v2
	s_mov_b32 s38, 0
	s_cbranch_vccnz .LBB127_108
; %bb.32:
	v_cmp_lt_i16_e32 vcc_lo, 25, v6
	s_cbranch_vccz .LBB127_65
; %bb.33:
	v_cmp_lt_i16_e32 vcc_lo, 28, v6
	s_cbranch_vccz .LBB127_48
	;; [unrolled: 3-line block ×4, first 2 shown]
; %bb.36:
	v_cmp_eq_u16_e32 vcc_lo, 46, v6
	s_mov_b32 s39, 0
	s_mov_b32 s2, -1
	s_cbranch_vccz .LBB127_38
; %bb.37:
	v_bfe_u32 v3, v2, 16, 1
	v_cmp_o_f32_e32 vcc_lo, v2, v2
	s_mov_b32 s38, -1
	s_mov_b32 s2, 0
	s_delay_alu instid0(VALU_DEP_2) | instskip(NEXT) | instid1(VALU_DEP_1)
	v_add3_u32 v3, v2, v3, 0x7fff
	v_lshrrev_b32_e32 v3, 16, v3
	s_delay_alu instid0(VALU_DEP_1)
	v_cndmask_b32_e32 v3, 0x7fc0, v3, vcc_lo
	global_store_b32 v[0:1], v3, off
.LBB127_38:
	s_and_b32 vcc_lo, exec_lo, s39
	s_cbranch_vccz .LBB127_43
; %bb.39:
	v_cmp_eq_u16_e32 vcc_lo, 44, v6
	s_mov_b32 s2, -1
	s_cbranch_vccz .LBB127_43
; %bb.40:
	v_bfe_u32 v5, v2, 23, 8
	v_mov_b32_e32 v3, 0xff
	s_mov_b32 s38, exec_lo
	s_delay_alu instid0(VALU_DEP_2)
	v_cmpx_ne_u32_e32 0xff, v5
; %bb.41:
	v_and_b32_e32 v3, 0x400000, v2
	v_and_or_b32 v5, 0x3fffff, v2, v5
	s_delay_alu instid0(VALU_DEP_2) | instskip(NEXT) | instid1(VALU_DEP_2)
	v_cmp_ne_u32_e32 vcc_lo, 0, v3
	v_cmp_ne_u32_e64 s2, 0, v5
	v_lshrrev_b32_e32 v3, 23, v2
	s_delay_alu instid0(VALU_DEP_2) | instskip(NEXT) | instid1(SALU_CYCLE_1)
	s_and_b32 s2, vcc_lo, s2
	v_cndmask_b32_e64 v5, 0, 1, s2
	s_delay_alu instid0(VALU_DEP_1)
	v_add_nc_u32_e32 v3, v3, v5
; %bb.42:
	s_or_b32 exec_lo, exec_lo, s38
	s_mov_b32 s38, -1
	s_mov_b32 s2, 0
	global_store_b8 v[0:1], v3, off
.LBB127_43:
	s_mov_b32 s39, 0
.LBB127_44:
	s_delay_alu instid0(SALU_CYCLE_1)
	s_and_b32 vcc_lo, exec_lo, s39
	s_cbranch_vccz .LBB127_47
; %bb.45:
	v_cmp_eq_u16_e32 vcc_lo, 29, v6
	s_mov_b32 s2, -1
	s_cbranch_vccz .LBB127_47
; %bb.46:
	v_trunc_f32_e32 v3, v2
	s_mov_b32 s38, -1
	s_mov_b32 s2, 0
	s_delay_alu instid0(VALU_DEP_1) | instskip(NEXT) | instid1(VALU_DEP_1)
	v_mul_f32_e32 v5, 0x2f800000, v3
	v_floor_f32_e32 v5, v5
	s_delay_alu instid0(VALU_DEP_1) | instskip(SKIP_1) | instid1(VALU_DEP_2)
	v_fmamk_f32 v3, v5, 0xcf800000, v3
	v_cvt_u32_f32_e32 v8, v5
	v_cvt_u32_f32_e32 v7, v3
	global_store_b64 v[0:1], v[7:8], off
.LBB127_47:
	s_mov_b32 s39, 0
.LBB127_48:
	s_delay_alu instid0(SALU_CYCLE_1)
	s_and_b32 vcc_lo, exec_lo, s39
	s_cbranch_vccz .LBB127_64
; %bb.49:
	v_cmp_gt_i16_e32 vcc_lo, 27, v6
	s_mov_b32 s38, -1
	s_cbranch_vccnz .LBB127_55
; %bb.50:
	v_cmp_lt_i16_e32 vcc_lo, 27, v6
	s_cbranch_vccz .LBB127_52
; %bb.51:
	v_cvt_u32_f32_e32 v3, v2
	s_mov_b32 s38, 0
	global_store_b32 v[0:1], v3, off
.LBB127_52:
	s_and_not1_b32 vcc_lo, exec_lo, s38
	s_cbranch_vccnz .LBB127_54
; %bb.53:
	v_cvt_u32_f32_e32 v3, v2
	global_store_b16 v[0:1], v3, off
.LBB127_54:
	s_mov_b32 s38, 0
.LBB127_55:
	s_delay_alu instid0(SALU_CYCLE_1)
	s_and_not1_b32 vcc_lo, exec_lo, s38
	s_cbranch_vccnz .LBB127_63
; %bb.56:
	v_and_b32_e32 v3, 0x7fffffff, v2
	v_mov_b32_e32 v5, 0x80
	s_mov_b32 s38, exec_lo
	s_delay_alu instid0(VALU_DEP_2)
	v_cmpx_gt_u32_e32 0x43800000, v3
	s_cbranch_execz .LBB127_62
; %bb.57:
	v_cmp_lt_u32_e32 vcc_lo, 0x3bffffff, v3
	s_mov_b32 s39, 0
                                        ; implicit-def: $vgpr3
	s_and_saveexec_b32 s40, vcc_lo
	s_delay_alu instid0(SALU_CYCLE_1)
	s_xor_b32 s40, exec_lo, s40
	s_cbranch_execz .LBB127_421
; %bb.58:
	v_bfe_u32 v3, v2, 20, 1
	s_mov_b32 s39, exec_lo
	s_delay_alu instid0(VALU_DEP_1) | instskip(NEXT) | instid1(VALU_DEP_1)
	v_add3_u32 v3, v2, v3, 0x487ffff
	v_lshrrev_b32_e32 v3, 20, v3
	s_or_saveexec_b32 s40, s40
                                        ; implicit-def: $sgpr43
	s_delay_alu instid0(SALU_CYCLE_1)
	s_xor_b32 exec_lo, exec_lo, s40
	s_cbranch_execnz .LBB127_422
.LBB127_59:
	s_or_b32 exec_lo, exec_lo, s40
	v_mov_b32_e32 v5, s43
	s_and_saveexec_b32 s40, s39
.LBB127_60:
	v_lshrrev_b32_e32 v5, 24, v2
	s_delay_alu instid0(VALU_DEP_1)
	v_and_or_b32 v5, 0x80, v5, v3
.LBB127_61:
	s_or_b32 exec_lo, exec_lo, s40
.LBB127_62:
	s_delay_alu instid0(SALU_CYCLE_1)
	s_or_b32 exec_lo, exec_lo, s38
	global_store_b8 v[0:1], v5, off
.LBB127_63:
	s_mov_b32 s38, -1
.LBB127_64:
	s_mov_b32 s39, 0
.LBB127_65:
	s_delay_alu instid0(SALU_CYCLE_1)
	s_and_b32 vcc_lo, exec_lo, s39
	s_cbranch_vccz .LBB127_106
; %bb.66:
	v_cmp_lt_i16_e32 vcc_lo, 22, v6
	s_mov_b32 s39, -1
	s_cbranch_vccz .LBB127_98
; %bb.67:
	v_cmp_gt_i16_e32 vcc_lo, 24, v6
	s_mov_b32 s38, -1
	s_cbranch_vccnz .LBB127_87
; %bb.68:
	v_cmp_lt_i16_e32 vcc_lo, 24, v6
	s_cbranch_vccz .LBB127_76
; %bb.69:
	v_and_b32_e32 v3, 0x7fffffff, v2
	v_mov_b32_e32 v5, 0x80
	s_mov_b32 s38, exec_lo
	s_delay_alu instid0(VALU_DEP_2)
	v_cmpx_gt_u32_e32 0x47800000, v3
	s_cbranch_execz .LBB127_75
; %bb.70:
	v_cmp_lt_u32_e32 vcc_lo, 0x37ffffff, v3
	s_mov_b32 s39, 0
                                        ; implicit-def: $vgpr3
	s_and_saveexec_b32 s40, vcc_lo
	s_delay_alu instid0(SALU_CYCLE_1)
	s_xor_b32 s40, exec_lo, s40
	s_cbranch_execz .LBB127_540
; %bb.71:
	v_bfe_u32 v3, v2, 21, 1
	s_mov_b32 s39, exec_lo
	s_delay_alu instid0(VALU_DEP_1) | instskip(NEXT) | instid1(VALU_DEP_1)
	v_add3_u32 v3, v2, v3, 0x88fffff
	v_lshrrev_b32_e32 v3, 21, v3
	s_or_saveexec_b32 s40, s40
                                        ; implicit-def: $sgpr43
	s_delay_alu instid0(SALU_CYCLE_1)
	s_xor_b32 exec_lo, exec_lo, s40
	s_cbranch_execnz .LBB127_541
.LBB127_72:
	s_or_b32 exec_lo, exec_lo, s40
	v_mov_b32_e32 v5, s43
	s_and_saveexec_b32 s40, s39
.LBB127_73:
	v_lshrrev_b32_e32 v5, 24, v2
	s_delay_alu instid0(VALU_DEP_1)
	v_and_or_b32 v5, 0x80, v5, v3
.LBB127_74:
	s_or_b32 exec_lo, exec_lo, s40
.LBB127_75:
	s_delay_alu instid0(SALU_CYCLE_1)
	s_or_b32 exec_lo, exec_lo, s38
	s_mov_b32 s38, 0
	global_store_b8 v[0:1], v5, off
.LBB127_76:
	s_and_b32 vcc_lo, exec_lo, s38
	s_cbranch_vccz .LBB127_86
; %bb.77:
	v_and_b32_e32 v5, 0x7fffffff, v2
	s_mov_b32 s38, exec_lo
                                        ; implicit-def: $vgpr3
	s_delay_alu instid0(VALU_DEP_1)
	v_cmpx_gt_u32_e32 0x43f00000, v5
	s_xor_b32 s38, exec_lo, s38
	s_cbranch_execz .LBB127_83
; %bb.78:
	s_mov_b32 s39, exec_lo
                                        ; implicit-def: $vgpr3
	v_cmpx_lt_u32_e32 0x3c7fffff, v5
	s_xor_b32 s39, exec_lo, s39
; %bb.79:
	v_bfe_u32 v3, v2, 20, 1
	s_delay_alu instid0(VALU_DEP_1) | instskip(NEXT) | instid1(VALU_DEP_1)
	v_add3_u32 v3, v2, v3, 0x407ffff
	v_and_b32_e32 v5, 0xff00000, v3
	v_lshrrev_b32_e32 v3, 20, v3
	s_delay_alu instid0(VALU_DEP_2) | instskip(NEXT) | instid1(VALU_DEP_2)
	v_cmp_ne_u32_e32 vcc_lo, 0x7f00000, v5
	v_cndmask_b32_e32 v3, 0x7e, v3, vcc_lo
; %bb.80:
	s_and_not1_saveexec_b32 s39, s39
; %bb.81:
	v_add_f32_e64 v3, 0x46800000, |v2|
; %bb.82:
	s_or_b32 exec_lo, exec_lo, s39
                                        ; implicit-def: $vgpr5
.LBB127_83:
	s_and_not1_saveexec_b32 s38, s38
; %bb.84:
	v_mov_b32_e32 v3, 0x7f
	v_cmp_lt_u32_e32 vcc_lo, 0x7f800000, v5
	s_delay_alu instid0(VALU_DEP_2)
	v_cndmask_b32_e32 v3, 0x7e, v3, vcc_lo
; %bb.85:
	s_or_b32 exec_lo, exec_lo, s38
	v_lshrrev_b32_e32 v5, 24, v2
	s_delay_alu instid0(VALU_DEP_1)
	v_and_or_b32 v3, 0x80, v5, v3
	global_store_b8 v[0:1], v3, off
.LBB127_86:
	s_mov_b32 s38, 0
.LBB127_87:
	s_delay_alu instid0(SALU_CYCLE_1)
	s_and_not1_b32 vcc_lo, exec_lo, s38
	s_cbranch_vccnz .LBB127_97
; %bb.88:
	v_and_b32_e32 v5, 0x7fffffff, v2
	s_mov_b32 s38, exec_lo
                                        ; implicit-def: $vgpr3
	s_delay_alu instid0(VALU_DEP_1)
	v_cmpx_gt_u32_e32 0x47800000, v5
	s_xor_b32 s38, exec_lo, s38
	s_cbranch_execz .LBB127_94
; %bb.89:
	s_mov_b32 s39, exec_lo
                                        ; implicit-def: $vgpr3
	v_cmpx_lt_u32_e32 0x387fffff, v5
	s_xor_b32 s39, exec_lo, s39
; %bb.90:
	v_bfe_u32 v3, v2, 21, 1
	s_delay_alu instid0(VALU_DEP_1) | instskip(NEXT) | instid1(VALU_DEP_1)
	v_add3_u32 v3, v2, v3, 0x80fffff
	v_lshrrev_b32_e32 v3, 21, v3
; %bb.91:
	s_and_not1_saveexec_b32 s39, s39
; %bb.92:
	v_add_f32_e64 v3, 0x43000000, |v2|
; %bb.93:
	s_or_b32 exec_lo, exec_lo, s39
                                        ; implicit-def: $vgpr5
.LBB127_94:
	s_and_not1_saveexec_b32 s38, s38
; %bb.95:
	v_mov_b32_e32 v3, 0x7f
	v_cmp_lt_u32_e32 vcc_lo, 0x7f800000, v5
	s_delay_alu instid0(VALU_DEP_2)
	v_cndmask_b32_e32 v3, 0x7c, v3, vcc_lo
; %bb.96:
	s_or_b32 exec_lo, exec_lo, s38
	v_lshrrev_b32_e32 v5, 24, v2
	s_delay_alu instid0(VALU_DEP_1)
	v_and_or_b32 v3, 0x80, v5, v3
	global_store_b8 v[0:1], v3, off
.LBB127_97:
	s_mov_b32 s39, 0
	s_mov_b32 s38, -1
.LBB127_98:
	s_and_not1_b32 vcc_lo, exec_lo, s39
	s_cbranch_vccnz .LBB127_106
; %bb.99:
	v_cmp_lt_i16_e32 vcc_lo, 14, v6
	s_mov_b32 s39, -1
	s_cbranch_vccz .LBB127_103
; %bb.100:
	v_cmp_eq_u16_e32 vcc_lo, 15, v6
	s_mov_b32 s2, -1
	s_cbranch_vccz .LBB127_102
; %bb.101:
	v_bfe_u32 v3, v2, 16, 1
	v_cmp_o_f32_e32 vcc_lo, v2, v2
	s_mov_b32 s38, -1
	s_mov_b32 s2, 0
	s_delay_alu instid0(VALU_DEP_2) | instskip(NEXT) | instid1(VALU_DEP_1)
	v_add3_u32 v3, v2, v3, 0x7fff
	v_lshrrev_b32_e32 v3, 16, v3
	s_delay_alu instid0(VALU_DEP_1)
	v_cndmask_b32_e32 v3, 0x7fc0, v3, vcc_lo
	global_store_b16 v[0:1], v3, off
.LBB127_102:
	s_mov_b32 s39, 0
.LBB127_103:
	s_delay_alu instid0(SALU_CYCLE_1)
	s_and_b32 vcc_lo, exec_lo, s39
	s_cbranch_vccz .LBB127_106
; %bb.104:
	v_cmp_eq_u16_e32 vcc_lo, 11, v6
	s_mov_b32 s2, -1
	s_cbranch_vccz .LBB127_106
; %bb.105:
	v_cmp_neq_f32_e32 vcc_lo, 0, v2
	s_mov_b32 s2, 0
	s_mov_b32 s38, -1
	v_cndmask_b32_e64 v3, 0, 1, vcc_lo
	global_store_b8 v[0:1], v3, off
.LBB127_106:
.LBB127_107:
	s_and_not1_b32 vcc_lo, exec_lo, s38
	s_mov_b32 s39, 0
	s_cbranch_vccz .LBB127_147
	s_branch .LBB127_383
.LBB127_108:
	s_and_b32 vcc_lo, exec_lo, s39
	s_cbranch_vccz .LBB127_107
; %bb.109:
	v_cmp_gt_i16_e32 vcc_lo, 5, v6
	s_mov_b32 s38, -1
	s_cbranch_vccnz .LBB127_130
; %bb.110:
	v_cmp_gt_i16_e32 vcc_lo, 8, v6
	s_cbranch_vccnz .LBB127_120
; %bb.111:
	v_cmp_gt_i16_e32 vcc_lo, 9, v6
	s_cbranch_vccnz .LBB127_117
; %bb.112:
	v_cmp_lt_i16_e32 vcc_lo, 9, v6
	s_cbranch_vccz .LBB127_114
; %bb.113:
	v_cvt_f64_f32_e32 v[7:8], v2
	v_mov_b32_e32 v9, 0
	s_mov_b32 s38, 0
	s_delay_alu instid0(VALU_DEP_1)
	v_mov_b32_e32 v10, v9
	global_store_b128 v[0:1], v[7:10], off
.LBB127_114:
	s_and_not1_b32 vcc_lo, exec_lo, s38
	s_cbranch_vccnz .LBB127_116
; %bb.115:
	v_mov_b32_e32 v3, 0
	global_store_b64 v[0:1], v[2:3], off
.LBB127_116:
	s_mov_b32 s38, 0
.LBB127_117:
	s_delay_alu instid0(SALU_CYCLE_1)
	s_and_not1_b32 vcc_lo, exec_lo, s38
	s_cbranch_vccnz .LBB127_119
; %bb.118:
	v_cvt_f16_f32_e32 v3, v2
	s_delay_alu instid0(VALU_DEP_1)
	v_and_b32_e32 v3, 0xffff, v3
	global_store_b32 v[0:1], v3, off
.LBB127_119:
	s_mov_b32 s38, 0
.LBB127_120:
	s_delay_alu instid0(SALU_CYCLE_1)
	s_and_not1_b32 vcc_lo, exec_lo, s38
	s_cbranch_vccnz .LBB127_129
; %bb.121:
	v_cmp_gt_i16_e32 vcc_lo, 6, v6
	s_mov_b32 s38, -1
	s_cbranch_vccnz .LBB127_127
; %bb.122:
	v_cmp_lt_i16_e32 vcc_lo, 6, v6
	s_cbranch_vccz .LBB127_124
; %bb.123:
	v_cvt_f64_f32_e32 v[7:8], v2
	s_mov_b32 s38, 0
	global_store_b64 v[0:1], v[7:8], off
.LBB127_124:
	s_and_not1_b32 vcc_lo, exec_lo, s38
	s_cbranch_vccnz .LBB127_126
; %bb.125:
	global_store_b32 v[0:1], v2, off
.LBB127_126:
	s_mov_b32 s38, 0
.LBB127_127:
	s_delay_alu instid0(SALU_CYCLE_1)
	s_and_not1_b32 vcc_lo, exec_lo, s38
	s_cbranch_vccnz .LBB127_129
; %bb.128:
	v_cvt_f16_f32_e32 v3, v2
	global_store_b16 v[0:1], v3, off
.LBB127_129:
	s_mov_b32 s38, 0
.LBB127_130:
	s_delay_alu instid0(SALU_CYCLE_1)
	s_and_not1_b32 vcc_lo, exec_lo, s38
	s_cbranch_vccnz .LBB127_146
; %bb.131:
	v_cmp_gt_i16_e32 vcc_lo, 2, v6
	s_mov_b32 s38, -1
	s_cbranch_vccnz .LBB127_141
; %bb.132:
	v_cmp_gt_i16_e32 vcc_lo, 3, v6
	s_cbranch_vccnz .LBB127_138
; %bb.133:
	v_cmp_lt_i16_e32 vcc_lo, 3, v6
	s_cbranch_vccz .LBB127_135
; %bb.134:
	v_trunc_f32_e32 v3, v2
	s_mov_b32 s38, 0
	s_delay_alu instid0(VALU_DEP_1) | instskip(NEXT) | instid1(VALU_DEP_1)
	v_mul_f32_e64 v5, 0x2f800000, |v3|
	v_floor_f32_e32 v5, v5
	s_delay_alu instid0(VALU_DEP_1) | instskip(SKIP_2) | instid1(VALU_DEP_3)
	v_fma_f32 v7, 0xcf800000, v5, |v3|
	v_ashrrev_i32_e32 v3, 31, v3
	v_cvt_u32_f32_e32 v5, v5
	v_cvt_u32_f32_e32 v7, v7
	s_delay_alu instid0(VALU_DEP_2) | instskip(NEXT) | instid1(VALU_DEP_2)
	v_xor_b32_e32 v5, v5, v3
	v_xor_b32_e32 v7, v7, v3
	s_delay_alu instid0(VALU_DEP_1) | instskip(NEXT) | instid1(VALU_DEP_3)
	v_sub_co_u32 v7, vcc_lo, v7, v3
	v_sub_co_ci_u32_e32 v8, vcc_lo, v5, v3, vcc_lo
	global_store_b64 v[0:1], v[7:8], off
.LBB127_135:
	s_and_not1_b32 vcc_lo, exec_lo, s38
	s_cbranch_vccnz .LBB127_137
; %bb.136:
	v_cvt_i32_f32_e32 v3, v2
	global_store_b32 v[0:1], v3, off
.LBB127_137:
	s_mov_b32 s38, 0
.LBB127_138:
	s_delay_alu instid0(SALU_CYCLE_1)
	s_and_not1_b32 vcc_lo, exec_lo, s38
	s_cbranch_vccnz .LBB127_140
; %bb.139:
	v_cvt_i32_f32_e32 v3, v2
	global_store_b16 v[0:1], v3, off
.LBB127_140:
	s_mov_b32 s38, 0
.LBB127_141:
	s_delay_alu instid0(SALU_CYCLE_1)
	s_and_not1_b32 vcc_lo, exec_lo, s38
	s_cbranch_vccnz .LBB127_146
; %bb.142:
	v_cmp_lt_i16_e32 vcc_lo, 0, v6
	s_mov_b32 s38, -1
	s_cbranch_vccz .LBB127_144
; %bb.143:
	v_cvt_i32_f32_e32 v3, v2
	s_mov_b32 s38, 0
	global_store_b8 v[0:1], v3, off
.LBB127_144:
	s_and_not1_b32 vcc_lo, exec_lo, s38
	s_cbranch_vccnz .LBB127_146
; %bb.145:
	v_trunc_f32_e32 v2, v2
	s_delay_alu instid0(VALU_DEP_1) | instskip(NEXT) | instid1(VALU_DEP_1)
	v_mul_f32_e64 v3, 0x2f800000, |v2|
	v_floor_f32_e32 v3, v3
	s_delay_alu instid0(VALU_DEP_1) | instskip(SKIP_1) | instid1(VALU_DEP_2)
	v_fma_f32 v3, 0xcf800000, v3, |v2|
	v_ashrrev_i32_e32 v2, 31, v2
	v_cvt_u32_f32_e32 v3, v3
	s_delay_alu instid0(VALU_DEP_1) | instskip(NEXT) | instid1(VALU_DEP_1)
	v_xor_b32_e32 v3, v3, v2
	v_sub_nc_u32_e32 v2, v3, v2
	global_store_b8 v[0:1], v2, off
.LBB127_146:
	s_mov_b32 s39, 0
.LBB127_147:
	v_add_nc_u32_e32 v4, 0x80, v4
	s_mov_b32 s43, -1
	s_branch .LBB127_384
.LBB127_148:
	s_mov_b32 s38, -1
	s_mov_b32 s2, 0
                                        ; implicit-def: $vgpr5
	s_branch .LBB127_167
.LBB127_149:
	s_mov_b32 s40, -1
	s_mov_b32 s2, 0
                                        ; implicit-def: $sgpr38
	s_branch .LBB127_298
.LBB127_150:
	s_mov_b32 s38, -1
	s_mov_b32 s2, 0
                                        ; implicit-def: $vgpr5
	s_branch .LBB127_162
.LBB127_151:
	s_mov_b32 s40, -1
	s_mov_b32 s2, 0
                                        ; implicit-def: $sgpr38
	s_branch .LBB127_279
.LBB127_152:
	s_mov_b32 s38, -1
	s_branch .LBB127_155
.LBB127_153:
	s_mov_b32 s40, -1
	s_mov_b32 s2, 0
                                        ; implicit-def: $sgpr38
	s_branch .LBB127_274
.LBB127_154:
	s_mov_b32 s3, -1
.LBB127_155:
	s_mov_b32 s2, 0
                                        ; implicit-def: $vgpr5
.LBB127_156:
	s_and_b32 vcc_lo, exec_lo, s38
	s_cbranch_vccz .LBB127_161
; %bb.157:
	v_cmp_eq_u16_e32 vcc_lo, 44, v6
	s_cbranch_vccz .LBB127_160
; %bb.158:
	global_load_u8 v5, v[2:3], off
	s_mov_b32 s3, 0
	s_mov_b32 s2, -1
	s_waitcnt vmcnt(0)
	v_lshlrev_b32_e32 v7, 23, v5
	v_cmp_ne_u32_e32 vcc_lo, 0xff, v5
	s_delay_alu instid0(VALU_DEP_2) | instskip(SKIP_1) | instid1(VALU_DEP_2)
	v_cndmask_b32_e32 v7, 0x7f800001, v7, vcc_lo
	v_cmp_ne_u32_e32 vcc_lo, 0, v5
	v_cndmask_b32_e32 v5, 0x400000, v7, vcc_lo
	s_branch .LBB127_161
.LBB127_159:
	s_mov_b32 s40, -1
	s_branch .LBB127_270
.LBB127_160:
	s_mov_b32 s3, -1
                                        ; implicit-def: $vgpr5
.LBB127_161:
	s_mov_b32 s38, 0
.LBB127_162:
	s_delay_alu instid0(SALU_CYCLE_1)
	s_and_b32 vcc_lo, exec_lo, s38
	s_cbranch_vccz .LBB127_166
; %bb.163:
	v_cmp_eq_u16_e32 vcc_lo, 29, v6
	s_cbranch_vccz .LBB127_165
; %bb.164:
	global_load_b64 v[7:8], v[2:3], off
	s_mov_b32 s2, -1
	s_mov_b32 s3, 0
	s_mov_b32 s38, 0
	s_waitcnt vmcnt(0)
	v_clz_i32_u32_e32 v5, v8
	s_delay_alu instid0(VALU_DEP_1) | instskip(NEXT) | instid1(VALU_DEP_1)
	v_min_u32_e32 v5, 32, v5
	v_lshlrev_b64 v[7:8], v5, v[7:8]
	v_sub_nc_u32_e32 v5, 32, v5
	s_delay_alu instid0(VALU_DEP_2) | instskip(NEXT) | instid1(VALU_DEP_1)
	v_min_u32_e32 v7, 1, v7
	v_or_b32_e32 v7, v8, v7
	s_delay_alu instid0(VALU_DEP_1) | instskip(NEXT) | instid1(VALU_DEP_1)
	v_cvt_f32_u32_e32 v7, v7
	v_ldexp_f32 v5, v7, v5
	s_branch .LBB127_167
.LBB127_165:
	s_mov_b32 s3, -1
                                        ; implicit-def: $vgpr5
.LBB127_166:
	s_mov_b32 s38, 0
.LBB127_167:
	s_delay_alu instid0(SALU_CYCLE_1)
	s_and_b32 vcc_lo, exec_lo, s38
	s_cbranch_vccz .LBB127_185
; %bb.168:
	v_cmp_gt_i16_e32 vcc_lo, 27, v6
	s_cbranch_vccnz .LBB127_171
; %bb.169:
	v_cmp_lt_i16_e32 vcc_lo, 27, v6
	s_cbranch_vccz .LBB127_172
; %bb.170:
	global_load_b32 v5, v[2:3], off
	s_mov_b32 s2, 0
	s_waitcnt vmcnt(0)
	v_cvt_f32_u32_e32 v5, v5
	s_branch .LBB127_173
.LBB127_171:
	s_mov_b32 s2, -1
                                        ; implicit-def: $vgpr5
	s_branch .LBB127_176
.LBB127_172:
	s_mov_b32 s2, -1
                                        ; implicit-def: $vgpr5
.LBB127_173:
	s_delay_alu instid0(SALU_CYCLE_1)
	s_and_not1_b32 vcc_lo, exec_lo, s2
	s_cbranch_vccnz .LBB127_175
; %bb.174:
	global_load_u16 v5, v[2:3], off
	s_waitcnt vmcnt(0)
	v_cvt_f32_u32_e32 v5, v5
.LBB127_175:
	s_mov_b32 s2, 0
.LBB127_176:
	s_delay_alu instid0(SALU_CYCLE_1)
	s_and_not1_b32 vcc_lo, exec_lo, s2
	s_cbranch_vccnz .LBB127_184
; %bb.177:
	global_load_u8 v7, v[2:3], off
	s_mov_b32 s2, 0
	s_mov_b32 s39, exec_lo
                                        ; implicit-def: $sgpr38
	s_waitcnt vmcnt(0)
	v_cmpx_lt_i16_e32 0x7f, v7
	s_xor_b32 s39, exec_lo, s39
	s_cbranch_execz .LBB127_197
; %bb.178:
	s_mov_b32 s2, -1
	s_mov_b32 s40, exec_lo
                                        ; implicit-def: $sgpr38
	v_cmpx_eq_u16_e32 0x80, v7
; %bb.179:
	s_mov_b32 s38, 0x7f800001
	s_xor_b32 s2, exec_lo, -1
; %bb.180:
	s_or_b32 exec_lo, exec_lo, s40
	s_delay_alu instid0(SALU_CYCLE_1)
	s_and_b32 s2, s2, exec_lo
	s_or_saveexec_b32 s39, s39
	v_mov_b32_e32 v5, s38
	s_xor_b32 exec_lo, exec_lo, s39
	s_cbranch_execnz .LBB127_198
.LBB127_181:
	s_or_b32 exec_lo, exec_lo, s39
	s_and_saveexec_b32 s38, s2
	s_cbranch_execz .LBB127_183
.LBB127_182:
	v_and_b32_e32 v5, 0xffff, v7
	v_lshlrev_b32_e32 v7, 24, v7
	s_delay_alu instid0(VALU_DEP_2) | instskip(NEXT) | instid1(VALU_DEP_2)
	v_and_b32_e32 v8, 7, v5
	v_and_b32_e32 v7, 0x80000000, v7
	s_delay_alu instid0(VALU_DEP_2) | instskip(NEXT) | instid1(VALU_DEP_1)
	v_clz_i32_u32_e32 v9, v8
	v_min_u32_e32 v9, 32, v9
	s_delay_alu instid0(VALU_DEP_1) | instskip(SKIP_1) | instid1(VALU_DEP_2)
	v_subrev_nc_u32_e32 v10, 28, v9
	v_sub_nc_u32_e32 v9, 29, v9
	v_lshlrev_b32_e32 v10, v10, v5
	v_bfe_u32 v5, v5, 3, 4
	s_delay_alu instid0(VALU_DEP_1) | instskip(NEXT) | instid1(VALU_DEP_3)
	v_cmp_eq_u32_e32 vcc_lo, 0, v5
	v_dual_cndmask_b32 v5, v5, v9 :: v_dual_and_b32 v10, 7, v10
	s_delay_alu instid0(VALU_DEP_1) | instskip(NEXT) | instid1(VALU_DEP_2)
	v_cndmask_b32_e32 v8, v8, v10, vcc_lo
	v_lshl_add_u32 v5, v5, 23, 0x3b800000
	s_delay_alu instid0(VALU_DEP_2) | instskip(NEXT) | instid1(VALU_DEP_1)
	v_lshlrev_b32_e32 v8, 20, v8
	v_or3_b32 v5, v7, v5, v8
.LBB127_183:
	s_or_b32 exec_lo, exec_lo, s38
.LBB127_184:
	s_mov_b32 s2, -1
.LBB127_185:
	s_branch .LBB127_220
.LBB127_186:
	v_cmp_lt_i16_e32 vcc_lo, 22, v6
	s_cbranch_vccz .LBB127_196
; %bb.187:
	v_cmp_gt_i16_e32 vcc_lo, 24, v6
	s_cbranch_vccnz .LBB127_199
; %bb.188:
	v_cmp_lt_i16_e32 vcc_lo, 24, v6
	s_cbranch_vccz .LBB127_200
; %bb.189:
	global_load_u8 v7, v[2:3], off
	s_mov_b32 s2, 0
	s_mov_b32 s39, exec_lo
                                        ; implicit-def: $sgpr38
	s_waitcnt vmcnt(0)
	v_cmpx_lt_i16_e32 0x7f, v7
	s_xor_b32 s39, exec_lo, s39
	s_cbranch_execz .LBB127_212
; %bb.190:
	s_mov_b32 s2, -1
	s_mov_b32 s40, exec_lo
                                        ; implicit-def: $sgpr38
	v_cmpx_eq_u16_e32 0x80, v7
; %bb.191:
	s_mov_b32 s38, 0x7f800001
	s_xor_b32 s2, exec_lo, -1
; %bb.192:
	s_or_b32 exec_lo, exec_lo, s40
	s_delay_alu instid0(SALU_CYCLE_1)
	s_and_b32 s2, s2, exec_lo
	s_or_saveexec_b32 s39, s39
	v_mov_b32_e32 v5, s38
	s_xor_b32 exec_lo, exec_lo, s39
	s_cbranch_execnz .LBB127_213
.LBB127_193:
	s_or_b32 exec_lo, exec_lo, s39
	s_and_saveexec_b32 s38, s2
	s_cbranch_execz .LBB127_195
.LBB127_194:
	v_and_b32_e32 v5, 0xffff, v7
	v_lshlrev_b32_e32 v7, 24, v7
	s_delay_alu instid0(VALU_DEP_2) | instskip(NEXT) | instid1(VALU_DEP_2)
	v_and_b32_e32 v8, 3, v5
	v_and_b32_e32 v7, 0x80000000, v7
	s_delay_alu instid0(VALU_DEP_2) | instskip(NEXT) | instid1(VALU_DEP_1)
	v_clz_i32_u32_e32 v9, v8
	v_min_u32_e32 v9, 32, v9
	s_delay_alu instid0(VALU_DEP_1) | instskip(SKIP_1) | instid1(VALU_DEP_2)
	v_subrev_nc_u32_e32 v10, 29, v9
	v_sub_nc_u32_e32 v9, 30, v9
	v_lshlrev_b32_e32 v10, v10, v5
	v_bfe_u32 v5, v5, 2, 5
	s_delay_alu instid0(VALU_DEP_1) | instskip(NEXT) | instid1(VALU_DEP_3)
	v_cmp_eq_u32_e32 vcc_lo, 0, v5
	v_dual_cndmask_b32 v5, v5, v9 :: v_dual_and_b32 v10, 3, v10
	s_delay_alu instid0(VALU_DEP_1) | instskip(NEXT) | instid1(VALU_DEP_2)
	v_cndmask_b32_e32 v8, v8, v10, vcc_lo
	v_lshl_add_u32 v5, v5, 23, 0x37800000
	s_delay_alu instid0(VALU_DEP_2) | instskip(NEXT) | instid1(VALU_DEP_1)
	v_lshlrev_b32_e32 v8, 21, v8
	v_or3_b32 v5, v7, v5, v8
.LBB127_195:
	s_or_b32 exec_lo, exec_lo, s38
	s_mov_b32 s2, 0
	s_branch .LBB127_201
.LBB127_196:
	s_mov_b32 s38, -1
                                        ; implicit-def: $vgpr5
	s_branch .LBB127_207
.LBB127_197:
	s_or_saveexec_b32 s39, s39
	v_mov_b32_e32 v5, s38
	s_xor_b32 exec_lo, exec_lo, s39
	s_cbranch_execz .LBB127_181
.LBB127_198:
	v_cmp_ne_u16_e32 vcc_lo, 0, v7
	v_mov_b32_e32 v5, 0
	s_and_not1_b32 s2, s2, exec_lo
	s_and_b32 s38, vcc_lo, exec_lo
	s_delay_alu instid0(SALU_CYCLE_1)
	s_or_b32 s2, s2, s38
	s_or_b32 exec_lo, exec_lo, s39
	s_and_saveexec_b32 s38, s2
	s_cbranch_execnz .LBB127_182
	s_branch .LBB127_183
.LBB127_199:
	s_mov_b32 s2, -1
                                        ; implicit-def: $vgpr5
	s_branch .LBB127_204
.LBB127_200:
	s_mov_b32 s2, -1
                                        ; implicit-def: $vgpr5
.LBB127_201:
	s_delay_alu instid0(SALU_CYCLE_1)
	s_and_b32 vcc_lo, exec_lo, s2
	s_cbranch_vccz .LBB127_203
; %bb.202:
	global_load_u8 v5, v[2:3], off
	s_waitcnt vmcnt(0)
	v_lshlrev_b32_e32 v5, 24, v5
	s_delay_alu instid0(VALU_DEP_1) | instskip(NEXT) | instid1(VALU_DEP_1)
	v_and_b32_e32 v7, 0x7f000000, v5
	v_clz_i32_u32_e32 v8, v7
	v_cmp_ne_u32_e32 vcc_lo, 0, v7
	v_add_nc_u32_e32 v10, 0x1000000, v7
	s_delay_alu instid0(VALU_DEP_3) | instskip(NEXT) | instid1(VALU_DEP_1)
	v_min_u32_e32 v8, 32, v8
	v_sub_nc_u32_e64 v8, v8, 4 clamp
	s_delay_alu instid0(VALU_DEP_1) | instskip(SKIP_1) | instid1(VALU_DEP_2)
	v_lshlrev_b32_e32 v9, v8, v7
	v_lshlrev_b32_e32 v8, 23, v8
	v_lshrrev_b32_e32 v9, 4, v9
	s_delay_alu instid0(VALU_DEP_1) | instskip(SKIP_1) | instid1(VALU_DEP_2)
	v_sub_nc_u32_e32 v8, v9, v8
	v_ashrrev_i32_e32 v9, 8, v10
	v_add_nc_u32_e32 v8, 0x3c000000, v8
	s_delay_alu instid0(VALU_DEP_1) | instskip(NEXT) | instid1(VALU_DEP_1)
	v_and_or_b32 v8, 0x7f800000, v9, v8
	v_cndmask_b32_e32 v7, 0, v8, vcc_lo
	s_delay_alu instid0(VALU_DEP_1)
	v_and_or_b32 v5, 0x80000000, v5, v7
.LBB127_203:
	s_mov_b32 s2, 0
.LBB127_204:
	s_delay_alu instid0(SALU_CYCLE_1)
	s_and_not1_b32 vcc_lo, exec_lo, s2
	s_cbranch_vccnz .LBB127_206
; %bb.205:
	global_load_u8 v5, v[2:3], off
	s_waitcnt vmcnt(0)
	v_lshlrev_b32_e32 v7, 25, v5
	v_lshlrev_b16 v5, 8, v5
	s_delay_alu instid0(VALU_DEP_2) | instskip(NEXT) | instid1(VALU_DEP_2)
	v_lshrrev_b32_e32 v8, 4, v7
	v_and_or_b32 v9, 0x7f00, v5, 0.5
	v_bfe_i32 v5, v5, 0, 16
	s_delay_alu instid0(VALU_DEP_3) | instskip(NEXT) | instid1(VALU_DEP_1)
	v_or_b32_e32 v8, 0x70000000, v8
	v_dual_add_f32 v9, -0.5, v9 :: v_dual_mul_f32 v8, 0x7800000, v8
	v_cmp_gt_u32_e32 vcc_lo, 0x8000000, v7
	s_delay_alu instid0(VALU_DEP_2) | instskip(NEXT) | instid1(VALU_DEP_1)
	v_cndmask_b32_e32 v7, v8, v9, vcc_lo
	v_and_or_b32 v5, 0x80000000, v5, v7
.LBB127_206:
	s_mov_b32 s38, 0
	s_mov_b32 s2, -1
.LBB127_207:
	s_and_not1_b32 vcc_lo, exec_lo, s38
	s_cbranch_vccnz .LBB127_220
; %bb.208:
	v_cmp_lt_i16_e32 vcc_lo, 14, v6
	s_cbranch_vccz .LBB127_211
; %bb.209:
	v_cmp_eq_u16_e32 vcc_lo, 15, v6
	s_cbranch_vccz .LBB127_214
; %bb.210:
	global_load_u16 v5, v[2:3], off
	s_mov_b32 s2, -1
	s_mov_b32 s3, 0
	s_waitcnt vmcnt(0)
	v_lshlrev_b32_e32 v5, 16, v5
	s_branch .LBB127_215
.LBB127_211:
	s_mov_b32 s38, -1
                                        ; implicit-def: $vgpr5
	s_branch .LBB127_216
.LBB127_212:
	s_or_saveexec_b32 s39, s39
	v_mov_b32_e32 v5, s38
	s_xor_b32 exec_lo, exec_lo, s39
	s_cbranch_execz .LBB127_193
.LBB127_213:
	v_cmp_ne_u16_e32 vcc_lo, 0, v7
	v_mov_b32_e32 v5, 0
	s_and_not1_b32 s2, s2, exec_lo
	s_and_b32 s38, vcc_lo, exec_lo
	s_delay_alu instid0(SALU_CYCLE_1)
	s_or_b32 s2, s2, s38
	s_or_b32 exec_lo, exec_lo, s39
	s_and_saveexec_b32 s38, s2
	s_cbranch_execnz .LBB127_194
	s_branch .LBB127_195
.LBB127_214:
	s_mov_b32 s3, -1
                                        ; implicit-def: $vgpr5
.LBB127_215:
	s_mov_b32 s38, 0
.LBB127_216:
	s_delay_alu instid0(SALU_CYCLE_1)
	s_and_b32 vcc_lo, exec_lo, s38
	s_cbranch_vccz .LBB127_220
; %bb.217:
	v_cmp_eq_u16_e32 vcc_lo, 11, v6
	s_cbranch_vccz .LBB127_219
; %bb.218:
	global_load_u8 v5, v[2:3], off
	s_mov_b32 s3, 0
	s_mov_b32 s2, -1
	s_waitcnt vmcnt(0)
	v_cmp_ne_u16_e32 vcc_lo, 0, v5
	v_cndmask_b32_e64 v5, 0, 1.0, vcc_lo
	s_branch .LBB127_220
.LBB127_219:
	s_mov_b32 s3, -1
                                        ; implicit-def: $vgpr5
.LBB127_220:
	s_branch .LBB127_20
.LBB127_221:
	v_cmp_gt_i16_e32 vcc_lo, 5, v6
	s_cbranch_vccnz .LBB127_226
; %bb.222:
	v_cmp_gt_i16_e32 vcc_lo, 8, v6
	s_cbranch_vccnz .LBB127_227
; %bb.223:
	;; [unrolled: 3-line block ×3, first 2 shown]
	v_cmp_lt_i16_e32 vcc_lo, 9, v6
	s_cbranch_vccz .LBB127_229
; %bb.225:
	global_load_b64 v[7:8], v[2:3], off
	s_mov_b32 s2, 0
	s_waitcnt vmcnt(0)
	v_cvt_f32_f64_e32 v5, v[7:8]
	s_branch .LBB127_230
.LBB127_226:
                                        ; implicit-def: $vgpr5
	s_branch .LBB127_248
.LBB127_227:
	s_mov_b32 s2, -1
                                        ; implicit-def: $vgpr5
	s_branch .LBB127_236
.LBB127_228:
	s_mov_b32 s2, -1
                                        ; implicit-def: $vgpr5
	s_branch .LBB127_233
.LBB127_229:
	s_mov_b32 s2, -1
                                        ; implicit-def: $vgpr5
.LBB127_230:
	s_delay_alu instid0(SALU_CYCLE_1)
	s_and_not1_b32 vcc_lo, exec_lo, s2
	s_cbranch_vccnz .LBB127_232
; %bb.231:
	global_load_b32 v5, v[2:3], off
.LBB127_232:
	s_mov_b32 s2, 0
.LBB127_233:
	s_delay_alu instid0(SALU_CYCLE_1)
	s_and_not1_b32 vcc_lo, exec_lo, s2
	s_cbranch_vccnz .LBB127_235
; %bb.234:
	global_load_b32 v5, v[2:3], off
	s_waitcnt vmcnt(0)
	v_cvt_f32_f16_e32 v5, v5
.LBB127_235:
	s_mov_b32 s2, 0
.LBB127_236:
	s_delay_alu instid0(SALU_CYCLE_1)
	s_and_not1_b32 vcc_lo, exec_lo, s2
	s_cbranch_vccnz .LBB127_247
; %bb.237:
	v_cmp_gt_i16_e32 vcc_lo, 6, v6
	s_cbranch_vccnz .LBB127_240
; %bb.238:
	v_cmp_lt_i16_e32 vcc_lo, 6, v6
	s_cbranch_vccz .LBB127_241
; %bb.239:
	global_load_b64 v[7:8], v[2:3], off
	s_mov_b32 s2, 0
	s_waitcnt vmcnt(0)
	v_cvt_f32_f64_e32 v5, v[7:8]
	s_branch .LBB127_242
.LBB127_240:
	s_mov_b32 s2, -1
                                        ; implicit-def: $vgpr5
	s_branch .LBB127_245
.LBB127_241:
	s_mov_b32 s2, -1
                                        ; implicit-def: $vgpr5
.LBB127_242:
	s_delay_alu instid0(SALU_CYCLE_1)
	s_and_not1_b32 vcc_lo, exec_lo, s2
	s_cbranch_vccnz .LBB127_244
; %bb.243:
	global_load_b32 v5, v[2:3], off
.LBB127_244:
	s_mov_b32 s2, 0
.LBB127_245:
	s_delay_alu instid0(SALU_CYCLE_1)
	s_and_not1_b32 vcc_lo, exec_lo, s2
	s_cbranch_vccnz .LBB127_247
; %bb.246:
	global_load_u16 v5, v[2:3], off
	s_waitcnt vmcnt(0)
	v_cvt_f32_f16_e32 v5, v5
.LBB127_247:
	s_cbranch_execnz .LBB127_267
.LBB127_248:
	v_cmp_gt_i16_e32 vcc_lo, 2, v6
	s_cbranch_vccnz .LBB127_252
; %bb.249:
	v_cmp_gt_i16_e32 vcc_lo, 3, v6
	s_cbranch_vccnz .LBB127_253
; %bb.250:
	v_cmp_lt_i16_e32 vcc_lo, 3, v6
	s_cbranch_vccz .LBB127_254
; %bb.251:
	global_load_b64 v[7:8], v[2:3], off
	s_mov_b32 s2, 0
	s_waitcnt vmcnt(0)
	v_xor_b32_e32 v5, v7, v8
	v_cls_i32_e32 v9, v8
	s_delay_alu instid0(VALU_DEP_2) | instskip(NEXT) | instid1(VALU_DEP_2)
	v_ashrrev_i32_e32 v5, 31, v5
	v_add_nc_u32_e32 v9, -1, v9
	s_delay_alu instid0(VALU_DEP_2) | instskip(NEXT) | instid1(VALU_DEP_1)
	v_add_nc_u32_e32 v5, 32, v5
	v_min_u32_e32 v5, v9, v5
	s_delay_alu instid0(VALU_DEP_1) | instskip(SKIP_1) | instid1(VALU_DEP_2)
	v_lshlrev_b64 v[7:8], v5, v[7:8]
	v_sub_nc_u32_e32 v5, 32, v5
	v_min_u32_e32 v7, 1, v7
	s_delay_alu instid0(VALU_DEP_1) | instskip(NEXT) | instid1(VALU_DEP_1)
	v_or_b32_e32 v7, v8, v7
	v_cvt_f32_i32_e32 v7, v7
	s_delay_alu instid0(VALU_DEP_1)
	v_ldexp_f32 v5, v7, v5
	s_branch .LBB127_255
.LBB127_252:
	s_mov_b32 s2, -1
                                        ; implicit-def: $vgpr5
	s_branch .LBB127_261
.LBB127_253:
	s_mov_b32 s2, -1
                                        ; implicit-def: $vgpr5
	s_branch .LBB127_258
.LBB127_254:
	s_mov_b32 s2, -1
                                        ; implicit-def: $vgpr5
.LBB127_255:
	s_delay_alu instid0(SALU_CYCLE_1)
	s_and_not1_b32 vcc_lo, exec_lo, s2
	s_cbranch_vccnz .LBB127_257
; %bb.256:
	global_load_b32 v5, v[2:3], off
	s_waitcnt vmcnt(0)
	v_cvt_f32_i32_e32 v5, v5
.LBB127_257:
	s_mov_b32 s2, 0
.LBB127_258:
	s_delay_alu instid0(SALU_CYCLE_1)
	s_and_not1_b32 vcc_lo, exec_lo, s2
	s_cbranch_vccnz .LBB127_260
; %bb.259:
	global_load_i16 v5, v[2:3], off
	s_waitcnt vmcnt(0)
	v_cvt_f32_i32_e32 v5, v5
.LBB127_260:
	s_mov_b32 s2, 0
.LBB127_261:
	s_delay_alu instid0(SALU_CYCLE_1)
	s_and_not1_b32 vcc_lo, exec_lo, s2
	s_cbranch_vccnz .LBB127_267
; %bb.262:
	v_cmp_lt_i16_e32 vcc_lo, 0, v6
	s_mov_b32 s2, 0
	s_cbranch_vccz .LBB127_264
; %bb.263:
	global_load_i8 v5, v[2:3], off
	s_waitcnt vmcnt(0)
	v_cvt_f32_i32_e32 v5, v5
	s_branch .LBB127_265
.LBB127_264:
	s_mov_b32 s2, -1
                                        ; implicit-def: $vgpr5
.LBB127_265:
	s_delay_alu instid0(SALU_CYCLE_1)
	s_and_not1_b32 vcc_lo, exec_lo, s2
	s_cbranch_vccnz .LBB127_267
; %bb.266:
	global_load_u8 v2, v[2:3], off
	s_waitcnt vmcnt(0)
	v_cvt_f32_ubyte0_e32 v5, v2
.LBB127_267:
	s_branch .LBB127_21
.LBB127_268:
	s_mov_b32 s2, 0
	s_mov_b32 s39, 0
	s_branch .LBB127_383
.LBB127_269:
	s_mov_b32 s39, -1
.LBB127_270:
	s_mov_b32 s2, 0
                                        ; implicit-def: $sgpr38
.LBB127_271:
	s_and_b32 vcc_lo, exec_lo, s40
	s_cbranch_vccz .LBB127_273
; %bb.272:
	v_cmp_eq_u16_e64 s2, 44, v3
	s_mov_b32 s39, -1
	s_or_b32 s38, s38, exec_lo
.LBB127_273:
	s_mov_b32 s40, 0
.LBB127_274:
	s_delay_alu instid0(SALU_CYCLE_1)
	s_and_b32 vcc_lo, exec_lo, s40
	s_cbranch_vccz .LBB127_278
; %bb.275:
	v_cmp_eq_u16_e32 vcc_lo, 29, v3
	s_cbranch_vccz .LBB127_277
; %bb.276:
	global_load_b64 v[6:7], v[1:2], off
	s_mov_b32 s2, -1
	s_mov_b32 s39, 0
	s_mov_b32 s40, 0
	s_waitcnt vmcnt(0)
	v_cmp_ne_u64_e32 vcc_lo, 0, v[6:7]
	s_and_b32 s38, vcc_lo, exec_lo
	s_branch .LBB127_279
.LBB127_277:
	s_mov_b32 s39, -1
                                        ; implicit-def: $sgpr38
.LBB127_278:
	s_mov_b32 s40, 0
.LBB127_279:
	s_delay_alu instid0(SALU_CYCLE_1)
	s_and_b32 vcc_lo, exec_lo, s40
	s_cbranch_vccz .LBB127_297
; %bb.280:
	v_cmp_gt_i16_e32 vcc_lo, 27, v3
	s_cbranch_vccnz .LBB127_283
; %bb.281:
	v_cmp_lt_i16_e32 vcc_lo, 27, v3
	s_cbranch_vccz .LBB127_284
; %bb.282:
	global_load_b32 v6, v[1:2], off
	s_mov_b32 s2, 0
	s_waitcnt vmcnt(0)
	v_cmp_ne_u32_e32 vcc_lo, 0, v6
	s_and_b32 s38, vcc_lo, exec_lo
	s_branch .LBB127_285
.LBB127_283:
	s_mov_b32 s2, -1
                                        ; implicit-def: $sgpr38
	s_branch .LBB127_288
.LBB127_284:
	s_mov_b32 s2, -1
                                        ; implicit-def: $sgpr38
.LBB127_285:
	s_delay_alu instid0(SALU_CYCLE_1)
	s_and_not1_b32 vcc_lo, exec_lo, s2
	s_cbranch_vccnz .LBB127_287
; %bb.286:
	global_load_u16 v6, v[1:2], off
	s_and_not1_b32 s2, s38, exec_lo
	s_waitcnt vmcnt(0)
	v_cmp_ne_u16_e32 vcc_lo, 0, v6
	s_and_b32 s38, vcc_lo, exec_lo
	s_delay_alu instid0(SALU_CYCLE_1)
	s_or_b32 s38, s2, s38
.LBB127_287:
	s_mov_b32 s2, 0
.LBB127_288:
	s_delay_alu instid0(SALU_CYCLE_1)
	s_and_not1_b32 vcc_lo, exec_lo, s2
	s_cbranch_vccnz .LBB127_296
; %bb.289:
	global_load_u8 v6, v[1:2], off
	s_mov_b32 s2, 0
	s_mov_b32 s40, exec_lo
                                        ; implicit-def: $sgpr38
	s_waitcnt vmcnt(0)
	v_cmpx_lt_i16_e32 0x7f, v6
	s_xor_b32 s40, exec_lo, s40
	s_cbranch_execz .LBB127_310
; %bb.290:
	s_mov_b32 s2, -1
	s_mov_b32 s43, exec_lo
                                        ; implicit-def: $sgpr38
	v_cmpx_eq_u16_e32 0x80, v6
; %bb.291:
	s_mov_b32 s38, -1
	s_xor_b32 s2, exec_lo, -1
; %bb.292:
	s_or_b32 exec_lo, exec_lo, s43
	s_delay_alu instid0(SALU_CYCLE_1)
	s_and_b32 s2, s2, exec_lo
	s_and_not1_saveexec_b32 s40, s40
	s_cbranch_execnz .LBB127_311
.LBB127_293:
	s_or_b32 exec_lo, exec_lo, s40
	s_and_saveexec_b32 s40, s2
	s_cbranch_execz .LBB127_295
.LBB127_294:
	v_and_b32_e32 v6, 0xffff, v6
	s_and_not1_b32 s2, s38, exec_lo
	s_delay_alu instid0(VALU_DEP_1) | instskip(NEXT) | instid1(VALU_DEP_1)
	v_and_b32_e32 v7, 7, v6
	v_clz_i32_u32_e32 v8, v7
	s_delay_alu instid0(VALU_DEP_1) | instskip(NEXT) | instid1(VALU_DEP_1)
	v_min_u32_e32 v8, 32, v8
	v_subrev_nc_u32_e32 v9, 28, v8
	v_sub_nc_u32_e32 v8, 29, v8
	s_delay_alu instid0(VALU_DEP_2) | instskip(SKIP_1) | instid1(VALU_DEP_2)
	v_lshlrev_b32_e32 v9, v9, v6
	v_bfe_u32 v6, v6, 3, 4
	v_and_b32_e32 v9, 7, v9
	s_delay_alu instid0(VALU_DEP_2) | instskip(NEXT) | instid1(VALU_DEP_2)
	v_cmp_eq_u32_e32 vcc_lo, 0, v6
	v_dual_cndmask_b32 v6, v6, v8 :: v_dual_cndmask_b32 v7, v7, v9
	s_delay_alu instid0(VALU_DEP_1) | instskip(NEXT) | instid1(VALU_DEP_2)
	v_lshl_add_u32 v6, v6, 23, 0x3b800000
	v_lshlrev_b32_e32 v7, 20, v7
	s_delay_alu instid0(VALU_DEP_1) | instskip(NEXT) | instid1(VALU_DEP_1)
	v_and_or_b32 v6, 0x7f800000, v6, v7
	v_cmp_ne_u32_e32 vcc_lo, 0, v6
	s_and_b32 s38, vcc_lo, exec_lo
	s_delay_alu instid0(SALU_CYCLE_1)
	s_or_b32 s38, s2, s38
.LBB127_295:
	s_or_b32 exec_lo, exec_lo, s40
.LBB127_296:
	s_mov_b32 s2, -1
.LBB127_297:
	s_mov_b32 s40, 0
.LBB127_298:
	s_delay_alu instid0(SALU_CYCLE_1)
	s_and_b32 vcc_lo, exec_lo, s40
	s_cbranch_vccz .LBB127_333
; %bb.299:
	v_cmp_lt_i16_e32 vcc_lo, 22, v3
	s_cbranch_vccz .LBB127_309
; %bb.300:
	v_cmp_gt_i16_e32 vcc_lo, 24, v3
	s_cbranch_vccnz .LBB127_312
; %bb.301:
	v_cmp_lt_i16_e32 vcc_lo, 24, v3
	s_cbranch_vccz .LBB127_313
; %bb.302:
	global_load_u8 v6, v[1:2], off
	s_mov_b32 s2, 0
	s_mov_b32 s40, exec_lo
                                        ; implicit-def: $sgpr38
	s_waitcnt vmcnt(0)
	v_cmpx_lt_i16_e32 0x7f, v6
	s_xor_b32 s40, exec_lo, s40
	s_cbranch_execz .LBB127_325
; %bb.303:
	s_mov_b32 s2, -1
	s_mov_b32 s43, exec_lo
                                        ; implicit-def: $sgpr38
	v_cmpx_eq_u16_e32 0x80, v6
; %bb.304:
	s_mov_b32 s38, -1
	s_xor_b32 s2, exec_lo, -1
; %bb.305:
	s_or_b32 exec_lo, exec_lo, s43
	s_delay_alu instid0(SALU_CYCLE_1)
	s_and_b32 s2, s2, exec_lo
	s_and_not1_saveexec_b32 s40, s40
	s_cbranch_execnz .LBB127_326
.LBB127_306:
	s_or_b32 exec_lo, exec_lo, s40
	s_and_saveexec_b32 s40, s2
	s_cbranch_execz .LBB127_308
.LBB127_307:
	v_and_b32_e32 v6, 0xffff, v6
	s_and_not1_b32 s2, s38, exec_lo
	s_delay_alu instid0(VALU_DEP_1) | instskip(NEXT) | instid1(VALU_DEP_1)
	v_and_b32_e32 v7, 3, v6
	v_clz_i32_u32_e32 v8, v7
	s_delay_alu instid0(VALU_DEP_1) | instskip(NEXT) | instid1(VALU_DEP_1)
	v_min_u32_e32 v8, 32, v8
	v_subrev_nc_u32_e32 v9, 29, v8
	v_sub_nc_u32_e32 v8, 30, v8
	s_delay_alu instid0(VALU_DEP_2) | instskip(SKIP_1) | instid1(VALU_DEP_2)
	v_lshlrev_b32_e32 v9, v9, v6
	v_bfe_u32 v6, v6, 2, 5
	v_and_b32_e32 v9, 3, v9
	s_delay_alu instid0(VALU_DEP_2) | instskip(NEXT) | instid1(VALU_DEP_2)
	v_cmp_eq_u32_e32 vcc_lo, 0, v6
	v_dual_cndmask_b32 v6, v6, v8 :: v_dual_cndmask_b32 v7, v7, v9
	s_delay_alu instid0(VALU_DEP_1) | instskip(NEXT) | instid1(VALU_DEP_2)
	v_lshl_add_u32 v6, v6, 23, 0x37800000
	v_lshlrev_b32_e32 v7, 21, v7
	s_delay_alu instid0(VALU_DEP_1) | instskip(NEXT) | instid1(VALU_DEP_1)
	v_and_or_b32 v6, 0x7f800000, v6, v7
	v_cmp_ne_u32_e32 vcc_lo, 0, v6
	s_and_b32 s38, vcc_lo, exec_lo
	s_delay_alu instid0(SALU_CYCLE_1)
	s_or_b32 s38, s2, s38
.LBB127_308:
	s_or_b32 exec_lo, exec_lo, s40
	s_mov_b32 s2, 0
	s_branch .LBB127_314
.LBB127_309:
	s_mov_b32 s40, -1
                                        ; implicit-def: $sgpr38
	s_branch .LBB127_320
.LBB127_310:
	s_and_not1_saveexec_b32 s40, s40
	s_cbranch_execz .LBB127_293
.LBB127_311:
	v_cmp_ne_u16_e32 vcc_lo, 0, v6
	s_and_not1_b32 s2, s2, exec_lo
	s_and_not1_b32 s38, s38, exec_lo
	s_and_b32 s43, vcc_lo, exec_lo
	s_delay_alu instid0(SALU_CYCLE_1)
	s_or_b32 s2, s2, s43
	s_or_b32 exec_lo, exec_lo, s40
	s_and_saveexec_b32 s40, s2
	s_cbranch_execnz .LBB127_294
	s_branch .LBB127_295
.LBB127_312:
	s_mov_b32 s2, -1
                                        ; implicit-def: $sgpr38
	s_branch .LBB127_317
.LBB127_313:
	s_mov_b32 s2, -1
                                        ; implicit-def: $sgpr38
.LBB127_314:
	s_delay_alu instid0(SALU_CYCLE_1)
	s_and_b32 vcc_lo, exec_lo, s2
	s_cbranch_vccz .LBB127_316
; %bb.315:
	global_load_u8 v6, v[1:2], off
	s_and_not1_b32 s38, s38, exec_lo
	s_waitcnt vmcnt(0)
	v_lshlrev_b32_e32 v6, 24, v6
	s_delay_alu instid0(VALU_DEP_1) | instskip(NEXT) | instid1(VALU_DEP_1)
	v_and_b32_e32 v6, 0x7f000000, v6
	v_clz_i32_u32_e32 v7, v6
	v_add_nc_u32_e32 v9, 0x1000000, v6
	v_cmp_ne_u32_e32 vcc_lo, 0, v6
	s_delay_alu instid0(VALU_DEP_3) | instskip(NEXT) | instid1(VALU_DEP_3)
	v_min_u32_e32 v7, 32, v7
	v_ashrrev_i32_e32 v9, 8, v9
	s_delay_alu instid0(VALU_DEP_2) | instskip(NEXT) | instid1(VALU_DEP_1)
	v_sub_nc_u32_e64 v7, v7, 4 clamp
	v_lshlrev_b32_e32 v8, v7, v6
	v_lshlrev_b32_e32 v7, 23, v7
	s_delay_alu instid0(VALU_DEP_2) | instskip(NEXT) | instid1(VALU_DEP_1)
	v_lshrrev_b32_e32 v8, 4, v8
	v_sub_nc_u32_e32 v7, v8, v7
	v_and_b32_e32 v8, 0x7f800000, v9
	s_delay_alu instid0(VALU_DEP_2) | instskip(NEXT) | instid1(VALU_DEP_1)
	v_add_nc_u32_e32 v7, 0x3c000000, v7
	v_and_or_b32 v7, 0x7ff00000, v7, v8
	s_delay_alu instid0(VALU_DEP_1) | instskip(NEXT) | instid1(VALU_DEP_1)
	v_cmp_ne_u32_e64 s2, 0, v7
	s_and_b32 s2, vcc_lo, s2
	s_delay_alu instid0(SALU_CYCLE_1) | instskip(NEXT) | instid1(SALU_CYCLE_1)
	s_and_b32 s2, s2, exec_lo
	s_or_b32 s38, s38, s2
.LBB127_316:
	s_mov_b32 s2, 0
.LBB127_317:
	s_delay_alu instid0(SALU_CYCLE_1)
	s_and_not1_b32 vcc_lo, exec_lo, s2
	s_cbranch_vccnz .LBB127_319
; %bb.318:
	global_load_u8 v6, v[1:2], off
	s_and_not1_b32 s2, s38, exec_lo
	s_waitcnt vmcnt(0)
	v_lshlrev_b32_e32 v7, 25, v6
	v_lshlrev_b32_e32 v6, 8, v6
	s_delay_alu instid0(VALU_DEP_2) | instskip(NEXT) | instid1(VALU_DEP_2)
	v_lshrrev_b32_e32 v8, 4, v7
	v_and_or_b32 v6, 0x7f00, v6, 0.5
	s_delay_alu instid0(VALU_DEP_2) | instskip(NEXT) | instid1(VALU_DEP_2)
	v_or_b32_e32 v8, 0x70000000, v8
	v_add_f32_e32 v6, -0.5, v6
	s_delay_alu instid0(VALU_DEP_2) | instskip(SKIP_1) | instid1(VALU_DEP_2)
	v_mul_f32_e32 v8, 0x7800000, v8
	v_cmp_gt_u32_e32 vcc_lo, 0x8000000, v7
	v_cndmask_b32_e32 v6, v8, v6, vcc_lo
	s_delay_alu instid0(VALU_DEP_1) | instskip(SKIP_1) | instid1(SALU_CYCLE_1)
	v_cmp_neq_f32_e32 vcc_lo, 0, v6
	s_and_b32 s38, vcc_lo, exec_lo
	s_or_b32 s38, s2, s38
.LBB127_319:
	s_mov_b32 s40, 0
	s_mov_b32 s2, -1
.LBB127_320:
	s_and_not1_b32 vcc_lo, exec_lo, s40
	s_cbranch_vccnz .LBB127_333
; %bb.321:
	v_cmp_lt_i16_e32 vcc_lo, 14, v3
	s_cbranch_vccz .LBB127_324
; %bb.322:
	v_cmp_eq_u16_e32 vcc_lo, 15, v3
	s_cbranch_vccz .LBB127_327
; %bb.323:
	global_load_u16 v6, v[1:2], off
	s_mov_b32 s39, 0
	s_mov_b32 s2, -1
	s_waitcnt vmcnt(0)
	v_and_b32_e32 v6, 0x7fff, v6
	s_delay_alu instid0(VALU_DEP_1)
	v_cmp_ne_u16_e32 vcc_lo, 0, v6
	s_and_b32 s38, vcc_lo, exec_lo
	s_branch .LBB127_328
.LBB127_324:
	s_mov_b32 s40, -1
                                        ; implicit-def: $sgpr38
	s_branch .LBB127_329
.LBB127_325:
	s_and_not1_saveexec_b32 s40, s40
	s_cbranch_execz .LBB127_306
.LBB127_326:
	v_cmp_ne_u16_e32 vcc_lo, 0, v6
	s_and_not1_b32 s2, s2, exec_lo
	s_and_not1_b32 s38, s38, exec_lo
	s_and_b32 s43, vcc_lo, exec_lo
	s_delay_alu instid0(SALU_CYCLE_1)
	s_or_b32 s2, s2, s43
	s_or_b32 exec_lo, exec_lo, s40
	s_and_saveexec_b32 s40, s2
	s_cbranch_execnz .LBB127_307
	s_branch .LBB127_308
.LBB127_327:
	s_mov_b32 s39, -1
                                        ; implicit-def: $sgpr38
.LBB127_328:
	s_mov_b32 s40, 0
.LBB127_329:
	s_delay_alu instid0(SALU_CYCLE_1)
	s_and_b32 vcc_lo, exec_lo, s40
	s_cbranch_vccz .LBB127_333
; %bb.330:
	v_cmp_eq_u16_e32 vcc_lo, 11, v3
	s_cbranch_vccz .LBB127_332
; %bb.331:
	global_load_u8 v6, v[1:2], off
	s_mov_b32 s39, 0
	s_mov_b32 s2, -1
	s_waitcnt vmcnt(0)
	v_cmp_ne_u16_e32 vcc_lo, 0, v6
	s_and_b32 s38, vcc_lo, exec_lo
	s_branch .LBB127_333
.LBB127_332:
	s_mov_b32 s39, -1
                                        ; implicit-def: $sgpr38
.LBB127_333:
	s_branch .LBB127_30
.LBB127_334:
	v_cmp_gt_i16_e32 vcc_lo, 5, v3
	s_cbranch_vccnz .LBB127_339
; %bb.335:
	v_cmp_gt_i16_e32 vcc_lo, 8, v3
	s_cbranch_vccnz .LBB127_340
; %bb.336:
	;; [unrolled: 3-line block ×3, first 2 shown]
	v_cmp_lt_i16_e32 vcc_lo, 9, v3
	s_cbranch_vccz .LBB127_342
; %bb.338:
	global_load_b128 v[6:9], v[1:2], off
	s_waitcnt vmcnt(0)
	v_cmp_neq_f64_e32 vcc_lo, 0, v[6:7]
	v_cmp_neq_f64_e64 s2, 0, v[8:9]
	s_delay_alu instid0(VALU_DEP_1)
	s_or_b32 s38, vcc_lo, s2
	s_mov_b32 s2, 0
	s_and_b32 s38, s38, exec_lo
	s_branch .LBB127_343
.LBB127_339:
	s_mov_b32 s2, -1
                                        ; implicit-def: $sgpr38
	s_branch .LBB127_361
.LBB127_340:
	s_mov_b32 s2, -1
                                        ; implicit-def: $sgpr38
	s_branch .LBB127_349
.LBB127_341:
	s_mov_b32 s2, -1
                                        ; implicit-def: $sgpr38
	s_branch .LBB127_346
.LBB127_342:
	s_mov_b32 s2, -1
                                        ; implicit-def: $sgpr38
.LBB127_343:
	s_delay_alu instid0(SALU_CYCLE_1)
	s_and_not1_b32 vcc_lo, exec_lo, s2
	s_cbranch_vccnz .LBB127_345
; %bb.344:
	global_load_b64 v[6:7], v[1:2], off
	s_and_not1_b32 s2, s38, exec_lo
	s_waitcnt vmcnt(0)
	v_or_b32_e32 v6, v6, v7
	s_delay_alu instid0(VALU_DEP_1) | instskip(NEXT) | instid1(VALU_DEP_1)
	v_and_b32_e32 v6, 0x7fffffff, v6
	v_cmp_ne_u32_e32 vcc_lo, 0, v6
	s_and_b32 s38, vcc_lo, exec_lo
	s_delay_alu instid0(SALU_CYCLE_1)
	s_or_b32 s38, s2, s38
.LBB127_345:
	s_mov_b32 s2, 0
.LBB127_346:
	s_delay_alu instid0(SALU_CYCLE_1)
	s_and_not1_b32 vcc_lo, exec_lo, s2
	s_cbranch_vccnz .LBB127_348
; %bb.347:
	global_load_b32 v6, v[1:2], off
	s_and_not1_b32 s2, s38, exec_lo
	s_waitcnt vmcnt(0)
	v_and_b32_e32 v6, 0x7fff7fff, v6
	s_delay_alu instid0(VALU_DEP_1) | instskip(SKIP_1) | instid1(SALU_CYCLE_1)
	v_cmp_ne_u32_e32 vcc_lo, 0, v6
	s_and_b32 s38, vcc_lo, exec_lo
	s_or_b32 s38, s2, s38
.LBB127_348:
	s_mov_b32 s2, 0
.LBB127_349:
	s_delay_alu instid0(SALU_CYCLE_1)
	s_and_not1_b32 vcc_lo, exec_lo, s2
	s_cbranch_vccnz .LBB127_360
; %bb.350:
	v_cmp_gt_i16_e32 vcc_lo, 6, v3
	s_cbranch_vccnz .LBB127_353
; %bb.351:
	v_cmp_lt_i16_e32 vcc_lo, 6, v3
	s_cbranch_vccz .LBB127_354
; %bb.352:
	global_load_b64 v[6:7], v[1:2], off
	s_mov_b32 s2, 0
	s_waitcnt vmcnt(0)
	v_cmp_neq_f64_e32 vcc_lo, 0, v[6:7]
	s_and_b32 s38, vcc_lo, exec_lo
	s_branch .LBB127_355
.LBB127_353:
	s_mov_b32 s2, -1
                                        ; implicit-def: $sgpr38
	s_branch .LBB127_358
.LBB127_354:
	s_mov_b32 s2, -1
                                        ; implicit-def: $sgpr38
.LBB127_355:
	s_delay_alu instid0(SALU_CYCLE_1)
	s_and_not1_b32 vcc_lo, exec_lo, s2
	s_cbranch_vccnz .LBB127_357
; %bb.356:
	global_load_b32 v6, v[1:2], off
	s_and_not1_b32 s2, s38, exec_lo
	s_waitcnt vmcnt(0)
	v_cmp_neq_f32_e32 vcc_lo, 0, v6
	s_and_b32 s38, vcc_lo, exec_lo
	s_delay_alu instid0(SALU_CYCLE_1)
	s_or_b32 s38, s2, s38
.LBB127_357:
	s_mov_b32 s2, 0
.LBB127_358:
	s_delay_alu instid0(SALU_CYCLE_1)
	s_and_not1_b32 vcc_lo, exec_lo, s2
	s_cbranch_vccnz .LBB127_360
; %bb.359:
	global_load_u16 v6, v[1:2], off
	s_and_not1_b32 s2, s38, exec_lo
	s_waitcnt vmcnt(0)
	v_and_b32_e32 v6, 0x7fff, v6
	s_delay_alu instid0(VALU_DEP_1) | instskip(SKIP_1) | instid1(SALU_CYCLE_1)
	v_cmp_ne_u16_e32 vcc_lo, 0, v6
	s_and_b32 s38, vcc_lo, exec_lo
	s_or_b32 s38, s2, s38
.LBB127_360:
	s_mov_b32 s2, 0
.LBB127_361:
	s_delay_alu instid0(SALU_CYCLE_1)
	s_and_not1_b32 vcc_lo, exec_lo, s2
	s_cbranch_vccnz .LBB127_381
; %bb.362:
	v_cmp_gt_i16_e32 vcc_lo, 2, v3
	s_cbranch_vccnz .LBB127_366
; %bb.363:
	v_cmp_gt_i16_e32 vcc_lo, 3, v3
	s_cbranch_vccnz .LBB127_367
; %bb.364:
	v_cmp_lt_i16_e32 vcc_lo, 3, v3
	s_cbranch_vccz .LBB127_368
; %bb.365:
	global_load_b64 v[6:7], v[1:2], off
	s_mov_b32 s2, 0
	s_waitcnt vmcnt(0)
	v_cmp_ne_u64_e32 vcc_lo, 0, v[6:7]
	s_and_b32 s38, vcc_lo, exec_lo
	s_branch .LBB127_369
.LBB127_366:
	s_mov_b32 s2, -1
                                        ; implicit-def: $sgpr38
	s_branch .LBB127_375
.LBB127_367:
	s_mov_b32 s2, -1
                                        ; implicit-def: $sgpr38
	s_branch .LBB127_372
.LBB127_368:
	s_mov_b32 s2, -1
                                        ; implicit-def: $sgpr38
.LBB127_369:
	s_delay_alu instid0(SALU_CYCLE_1)
	s_and_not1_b32 vcc_lo, exec_lo, s2
	s_cbranch_vccnz .LBB127_371
; %bb.370:
	global_load_b32 v6, v[1:2], off
	s_and_not1_b32 s2, s38, exec_lo
	s_waitcnt vmcnt(0)
	v_cmp_ne_u32_e32 vcc_lo, 0, v6
	s_and_b32 s38, vcc_lo, exec_lo
	s_delay_alu instid0(SALU_CYCLE_1)
	s_or_b32 s38, s2, s38
.LBB127_371:
	s_mov_b32 s2, 0
.LBB127_372:
	s_delay_alu instid0(SALU_CYCLE_1)
	s_and_not1_b32 vcc_lo, exec_lo, s2
	s_cbranch_vccnz .LBB127_374
; %bb.373:
	global_load_u16 v6, v[1:2], off
	s_and_not1_b32 s2, s38, exec_lo
	s_waitcnt vmcnt(0)
	v_cmp_ne_u16_e32 vcc_lo, 0, v6
	s_and_b32 s38, vcc_lo, exec_lo
	s_delay_alu instid0(SALU_CYCLE_1)
	s_or_b32 s38, s2, s38
.LBB127_374:
	s_mov_b32 s2, 0
.LBB127_375:
	s_delay_alu instid0(SALU_CYCLE_1)
	s_and_not1_b32 vcc_lo, exec_lo, s2
	s_cbranch_vccnz .LBB127_381
; %bb.376:
	v_cmp_lt_i16_e32 vcc_lo, 0, v3
	s_mov_b32 s2, 0
	s_cbranch_vccz .LBB127_378
; %bb.377:
	global_load_u8 v3, v[1:2], off
	s_waitcnt vmcnt(0)
	v_cmp_ne_u16_e32 vcc_lo, 0, v3
	s_and_b32 s38, vcc_lo, exec_lo
	s_branch .LBB127_379
.LBB127_378:
	s_mov_b32 s2, -1
                                        ; implicit-def: $sgpr38
.LBB127_379:
	s_delay_alu instid0(SALU_CYCLE_1)
	s_and_not1_b32 vcc_lo, exec_lo, s2
	s_cbranch_vccnz .LBB127_381
; %bb.380:
	global_load_u8 v1, v[1:2], off
	s_and_not1_b32 s2, s38, exec_lo
	s_waitcnt vmcnt(0)
	v_cmp_ne_u16_e32 vcc_lo, 0, v1
	s_and_b32 s38, vcc_lo, exec_lo
	s_delay_alu instid0(SALU_CYCLE_1)
	s_or_b32 s38, s2, s38
.LBB127_381:
	s_branch .LBB127_31
.LBB127_382:
	s_mov_b32 s2, 0
.LBB127_383:
	s_mov_b32 s43, 0
                                        ; implicit-def: $vgpr4
.LBB127_384:
	s_and_b32 s38, s2, exec_lo
	s_and_b32 s39, s39, exec_lo
	;; [unrolled: 1-line block ×3, first 2 shown]
	s_or_not1_b32 s3, s43, exec_lo
.LBB127_385:
	s_or_b32 exec_lo, exec_lo, s41
	s_mov_b32 s43, 0
	s_mov_b32 s2, 0
                                        ; implicit-def: $vgpr6
                                        ; implicit-def: $vgpr2_vgpr3
                                        ; implicit-def: $vgpr0
                                        ; implicit-def: $vgpr1
                                        ; implicit-def: $vgpr5
	s_and_saveexec_b32 s41, s3
	s_cbranch_execz .LBB127_1275
; %bb.386:
	s_mov_b32 s47, -1
	s_mov_b32 s42, s40
	s_mov_b32 s44, s39
	;; [unrolled: 1-line block ×3, first 2 shown]
	s_mov_b32 s45, exec_lo
	v_cmpx_gt_i32_e64 s36, v4
	s_cbranch_execz .LBB127_707
; %bb.387:
	s_and_not1_b32 vcc_lo, exec_lo, s29
	s_cbranch_vccnz .LBB127_393
; %bb.388:
	v_dual_mov_b32 v0, 0 :: v_dual_mov_b32 v1, 0
	v_mov_b32_e32 v2, 0
	s_and_not1_b32 vcc_lo, exec_lo, s37
	s_mov_b32 s42, 0
	s_cbranch_vccnz .LBB127_394
; %bb.389:
	s_add_i32 s2, s35, 1
	v_dual_mov_b32 v1, 0 :: v_dual_mov_b32 v2, 0
	v_dual_mov_b32 v0, 0 :: v_dual_mov_b32 v3, v4
	s_and_b32 s43, s2, 30
	s_add_u32 s2, s20, 0xffffffec
	s_addc_u32 s3, s21, -1
	s_set_inst_prefetch_distance 0x1
	.p2align	6
.LBB127_390:                            ; =>This Inner Loop Header: Depth=1
	s_clause 0x2
	s_load_b128 s[48:51], s[2:3], 0x18
	s_load_b64 s[46:47], s[2:3], 0x28
	s_load_b128 s[52:55], s[2:3], 0xd8
	s_waitcnt vmcnt(0) lgkmcnt(0)
	v_mul_hi_u32 v5, s49, v3
	s_delay_alu instid0(VALU_DEP_1) | instskip(NEXT) | instid1(VALU_DEP_1)
	v_add_nc_u32_e32 v5, v3, v5
	v_lshrrev_b32_e32 v5, s50, v5
	s_delay_alu instid0(VALU_DEP_1)
	v_mul_hi_u32 v6, s46, v5
	v_mul_lo_u32 v7, v5, s48
	s_load_b64 s[48:49], s[2:3], 0xe8
	s_add_u32 s2, s2, 24
	s_addc_u32 s3, s3, 0
	s_add_i32 s43, s43, -2
	s_delay_alu instid0(SALU_CYCLE_1) | instskip(NEXT) | instid1(VALU_DEP_2)
	s_cmp_eq_u32 s43, 0
	v_add_nc_u32_e32 v6, v5, v6
	s_delay_alu instid0(VALU_DEP_2) | instskip(NEXT) | instid1(VALU_DEP_2)
	v_sub_nc_u32_e32 v7, v3, v7
	v_lshrrev_b32_e32 v3, s47, v6
	s_delay_alu instid0(VALU_DEP_2) | instskip(NEXT) | instid1(VALU_DEP_2)
	v_mul_lo_u32 v8, v7, s52
	v_mul_lo_u32 v6, v3, s51
	s_delay_alu instid0(VALU_DEP_1) | instskip(SKIP_2) | instid1(VALU_DEP_3)
	v_sub_nc_u32_e32 v5, v5, v6
	v_mul_lo_u32 v6, v7, s53
	v_mul_lo_u32 v7, v7, s54
	;; [unrolled: 1-line block ×3, first 2 shown]
	s_waitcnt lgkmcnt(0)
	v_mul_lo_u32 v10, v5, s48
	v_mul_lo_u32 v5, v5, s49
	s_delay_alu instid0(VALU_DEP_3) | instskip(NEXT) | instid1(VALU_DEP_3)
	v_add3_u32 v0, v8, v0, v9
	v_add3_u32 v2, v6, v2, v10
	s_delay_alu instid0(VALU_DEP_3)
	v_add3_u32 v1, v7, v1, v5
	s_cbranch_scc0 .LBB127_390
; %bb.391:
	s_set_inst_prefetch_distance 0x2
	s_bitcmp1_b32 s35, 0
	s_cselect_b32 s43, -1, 0
	s_delay_alu instid0(SALU_CYCLE_1)
	s_and_b32 vcc_lo, exec_lo, s43
	s_cbranch_vccnz .LBB127_394
; %bb.392:
	s_clause 0x3
	s_load_b64 s[46:47], s[2:3], 0x18
	s_load_b32 s43, s[2:3], 0x20
	s_load_b64 s[48:49], s[2:3], 0xd8
	s_load_b32 s2, s[2:3], 0xe0
	s_waitcnt lgkmcnt(0)
	v_mul_hi_u32 v5, s47, v3
	s_delay_alu instid0(VALU_DEP_1) | instskip(NEXT) | instid1(VALU_DEP_1)
	v_add_nc_u32_e32 v5, v3, v5
	v_lshrrev_b32_e32 v5, s43, v5
	s_delay_alu instid0(VALU_DEP_1) | instskip(NEXT) | instid1(VALU_DEP_1)
	v_mul_lo_u32 v5, v5, s46
	v_sub_nc_u32_e32 v3, v3, v5
	s_delay_alu instid0(VALU_DEP_1) | instskip(SKIP_2) | instid1(VALU_DEP_3)
	v_mad_u64_u32 v[5:6], null, v3, s48, v[0:1]
	v_mad_u64_u32 v[6:7], null, v3, s49, v[2:3]
	;; [unrolled: 1-line block ×3, first 2 shown]
	v_mov_b32_e32 v0, v5
	s_delay_alu instid0(VALU_DEP_2)
	v_dual_mov_b32 v2, v6 :: v_dual_mov_b32 v1, v7
	s_branch .LBB127_394
.LBB127_393:
	s_mov_b32 s42, -1
                                        ; implicit-def: $vgpr0
                                        ; implicit-def: $vgpr2
                                        ; implicit-def: $vgpr1
.LBB127_394:
	s_delay_alu instid0(SALU_CYCLE_1)
	s_and_not1_b32 vcc_lo, exec_lo, s42
	s_cbranch_vccnz .LBB127_397
; %bb.395:
	v_mul_hi_u32 v0, s17, v4
	s_and_not1_b32 vcc_lo, exec_lo, s34
	s_delay_alu instid0(VALU_DEP_1) | instskip(NEXT) | instid1(VALU_DEP_1)
	v_add_nc_u32_e32 v0, v4, v0
	v_lshrrev_b32_e32 v3, s18, v0
	s_delay_alu instid0(VALU_DEP_1) | instskip(NEXT) | instid1(VALU_DEP_1)
	v_mul_lo_u32 v0, v3, s16
	v_sub_nc_u32_e32 v1, v4, v0
	s_delay_alu instid0(VALU_DEP_1)
	v_mul_lo_u32 v0, v1, s12
	v_mul_lo_u32 v2, v1, s13
	;; [unrolled: 1-line block ×3, first 2 shown]
	s_cbranch_vccnz .LBB127_397
; %bb.396:
	s_waitcnt vmcnt(0)
	v_mul_hi_u32 v5, s24, v3
	s_delay_alu instid0(VALU_DEP_1) | instskip(NEXT) | instid1(VALU_DEP_1)
	v_add_nc_u32_e32 v5, v3, v5
	v_lshrrev_b32_e32 v5, s25, v5
	s_delay_alu instid0(VALU_DEP_1) | instskip(NEXT) | instid1(VALU_DEP_1)
	v_mul_lo_u32 v5, v5, s19
	v_sub_nc_u32_e32 v3, v3, v5
	s_delay_alu instid0(VALU_DEP_1) | instskip(SKIP_2) | instid1(VALU_DEP_3)
	v_mad_u64_u32 v[5:6], null, v3, s15, v[0:1]
	v_mad_u64_u32 v[6:7], null, v3, s22, v[2:3]
	;; [unrolled: 1-line block ×3, first 2 shown]
	v_mov_b32_e32 v0, v5
	s_delay_alu instid0(VALU_DEP_2)
	v_dual_mov_b32 v2, v6 :: v_dual_mov_b32 v1, v7
.LBB127_397:
	v_and_b32_e64 v6, 0xff, s33
	s_delay_alu instid0(VALU_DEP_2) | instskip(NEXT) | instid1(VALU_DEP_1)
	v_add_co_u32 v2, s2, s6, v2
	v_add_co_ci_u32_e64 v3, null, s7, 0, s2
	s_delay_alu instid0(VALU_DEP_3)
	v_cmp_gt_i16_e32 vcc_lo, 11, v6
	s_mov_b32 s2, 0
	s_cbranch_vccnz .LBB127_404
; %bb.398:
	v_cmp_lt_i16_e32 vcc_lo, 25, v6
	s_cbranch_vccz .LBB127_413
; %bb.399:
	v_cmp_lt_i16_e32 vcc_lo, 28, v6
	s_cbranch_vccz .LBB127_415
	;; [unrolled: 3-line block ×4, first 2 shown]
; %bb.402:
	v_cmp_eq_u16_e32 vcc_lo, 46, v6
	s_mov_b32 s42, 0
	s_cbranch_vccz .LBB127_423
; %bb.403:
	global_load_b32 v5, v[2:3], off
	s_mov_b32 s2, -1
	s_mov_b32 s3, 0
	s_waitcnt vmcnt(0)
	v_lshlrev_b32_e32 v5, 16, v5
	s_branch .LBB127_425
.LBB127_404:
	s_mov_b32 s3, s40
                                        ; implicit-def: $vgpr5
	s_cbranch_execnz .LBB127_491
.LBB127_405:
	s_and_not1_b32 vcc_lo, exec_lo, s2
	s_cbranch_vccnz .LBB127_539
.LBB127_406:
	v_and_b32_e64 v3, 0xff, s31
	v_add_co_u32 v1, s2, s8, v1
	s_delay_alu instid0(VALU_DEP_1) | instskip(NEXT) | instid1(VALU_DEP_3)
	v_add_co_ci_u32_e64 v2, null, s9, 0, s2
	v_cmp_gt_i16_e32 vcc_lo, 11, v3
	s_mov_b32 s2, 0
	s_cbranch_vccnz .LBB127_414
; %bb.407:
	v_cmp_lt_i16_e32 vcc_lo, 25, v3
	s_cbranch_vccz .LBB127_416
; %bb.408:
	v_cmp_lt_i16_e32 vcc_lo, 28, v3
	s_cbranch_vccz .LBB127_418
	;; [unrolled: 3-line block ×4, first 2 shown]
; %bb.411:
	v_cmp_eq_u16_e32 vcc_lo, 46, v3
	s_mov_b32 s44, 0
	s_cbranch_vccz .LBB127_542
; %bb.412:
	global_load_b32 v6, v[1:2], off
	s_mov_b32 s42, 0
	s_mov_b32 s2, -1
	s_waitcnt vmcnt(0)
	v_and_b32_e32 v6, 0x7fff7fff, v6
	s_delay_alu instid0(VALU_DEP_1)
	v_cmp_ne_u32_e32 vcc_lo, 0, v6
	s_and_b32 s43, vcc_lo, exec_lo
	s_branch .LBB127_544
.LBB127_413:
	s_mov_b32 s42, -1
	s_mov_b32 s3, s40
                                        ; implicit-def: $vgpr5
	s_branch .LBB127_455
.LBB127_414:
	s_mov_b32 s44, -1
	s_mov_b32 s42, s39
                                        ; implicit-def: $sgpr43
	s_branch .LBB127_607
.LBB127_415:
	s_mov_b32 s42, -1
	s_mov_b32 s3, s40
                                        ; implicit-def: $vgpr5
	s_branch .LBB127_436
.LBB127_416:
	s_mov_b32 s44, -1
	s_mov_b32 s42, s39
                                        ; implicit-def: $sgpr43
	s_branch .LBB127_571
.LBB127_417:
	s_mov_b32 s42, -1
	s_mov_b32 s3, s40
                                        ; implicit-def: $vgpr5
	s_branch .LBB127_431
.LBB127_418:
	s_mov_b32 s44, -1
	s_mov_b32 s42, s39
                                        ; implicit-def: $sgpr43
	s_branch .LBB127_552
.LBB127_419:
	s_mov_b32 s42, -1
	s_mov_b32 s3, s40
	s_branch .LBB127_424
.LBB127_420:
	s_mov_b32 s44, -1
	s_mov_b32 s42, s39
                                        ; implicit-def: $sgpr43
	s_branch .LBB127_547
.LBB127_421:
	s_or_saveexec_b32 s40, s40
                                        ; implicit-def: $sgpr43
	s_delay_alu instid0(SALU_CYCLE_1)
	s_xor_b32 exec_lo, exec_lo, s40
	s_cbranch_execz .LBB127_59
.LBB127_422:
	v_add_f32_e64 v3, 0x46000000, |v2|
	s_and_not1_b32 s39, s39, exec_lo
	s_mov_b32 s43, 0
	s_delay_alu instid0(VALU_DEP_1) | instskip(NEXT) | instid1(VALU_DEP_1)
	v_and_b32_e32 v3, 0xff, v3
	v_cmp_ne_u32_e32 vcc_lo, 0, v3
	s_and_b32 s44, vcc_lo, exec_lo
	s_delay_alu instid0(SALU_CYCLE_1)
	s_or_b32 s39, s39, s44
	s_or_b32 exec_lo, exec_lo, s40
	v_mov_b32_e32 v5, s43
	s_and_saveexec_b32 s40, s39
	s_cbranch_execnz .LBB127_60
	s_branch .LBB127_61
.LBB127_423:
	s_mov_b32 s3, -1
.LBB127_424:
                                        ; implicit-def: $vgpr5
.LBB127_425:
	s_and_b32 vcc_lo, exec_lo, s42
	s_cbranch_vccz .LBB127_430
; %bb.426:
	v_cmp_eq_u16_e32 vcc_lo, 44, v6
	s_cbranch_vccz .LBB127_429
; %bb.427:
	global_load_u8 v5, v[2:3], off
	s_mov_b32 s3, 0
	s_mov_b32 s2, -1
	s_waitcnt vmcnt(0)
	v_lshlrev_b32_e32 v7, 23, v5
	v_cmp_ne_u32_e32 vcc_lo, 0xff, v5
	s_delay_alu instid0(VALU_DEP_2) | instskip(SKIP_1) | instid1(VALU_DEP_2)
	v_cndmask_b32_e32 v7, 0x7f800001, v7, vcc_lo
	v_cmp_ne_u32_e32 vcc_lo, 0, v5
	v_cndmask_b32_e32 v5, 0x400000, v7, vcc_lo
	s_branch .LBB127_430
.LBB127_428:
	s_mov_b32 s44, -1
	s_mov_b32 s42, s39
	s_branch .LBB127_543
.LBB127_429:
	s_mov_b32 s3, -1
                                        ; implicit-def: $vgpr5
.LBB127_430:
	s_mov_b32 s42, 0
.LBB127_431:
	s_delay_alu instid0(SALU_CYCLE_1)
	s_and_b32 vcc_lo, exec_lo, s42
	s_cbranch_vccz .LBB127_435
; %bb.432:
	v_cmp_eq_u16_e32 vcc_lo, 29, v6
	s_cbranch_vccz .LBB127_434
; %bb.433:
	global_load_b64 v[7:8], v[2:3], off
	s_mov_b32 s2, -1
	s_mov_b32 s3, 0
	s_mov_b32 s42, 0
	s_waitcnt vmcnt(0)
	v_clz_i32_u32_e32 v5, v8
	s_delay_alu instid0(VALU_DEP_1) | instskip(NEXT) | instid1(VALU_DEP_1)
	v_min_u32_e32 v5, 32, v5
	v_lshlrev_b64 v[7:8], v5, v[7:8]
	v_sub_nc_u32_e32 v5, 32, v5
	s_delay_alu instid0(VALU_DEP_2) | instskip(NEXT) | instid1(VALU_DEP_1)
	v_min_u32_e32 v7, 1, v7
	v_or_b32_e32 v7, v8, v7
	s_delay_alu instid0(VALU_DEP_1) | instskip(NEXT) | instid1(VALU_DEP_1)
	v_cvt_f32_u32_e32 v7, v7
	v_ldexp_f32 v5, v7, v5
	s_branch .LBB127_436
.LBB127_434:
	s_mov_b32 s3, -1
                                        ; implicit-def: $vgpr5
.LBB127_435:
	s_mov_b32 s42, 0
.LBB127_436:
	s_delay_alu instid0(SALU_CYCLE_1)
	s_and_b32 vcc_lo, exec_lo, s42
	s_cbranch_vccz .LBB127_454
; %bb.437:
	v_cmp_gt_i16_e32 vcc_lo, 27, v6
	s_cbranch_vccnz .LBB127_440
; %bb.438:
	v_cmp_lt_i16_e32 vcc_lo, 27, v6
	s_cbranch_vccz .LBB127_441
; %bb.439:
	global_load_b32 v5, v[2:3], off
	s_mov_b32 s2, 0
	s_waitcnt vmcnt(0)
	v_cvt_f32_u32_e32 v5, v5
	s_branch .LBB127_442
.LBB127_440:
	s_mov_b32 s2, -1
                                        ; implicit-def: $vgpr5
	s_branch .LBB127_445
.LBB127_441:
	s_mov_b32 s2, -1
                                        ; implicit-def: $vgpr5
.LBB127_442:
	s_delay_alu instid0(SALU_CYCLE_1)
	s_and_not1_b32 vcc_lo, exec_lo, s2
	s_cbranch_vccnz .LBB127_444
; %bb.443:
	global_load_u16 v5, v[2:3], off
	s_waitcnt vmcnt(0)
	v_cvt_f32_u32_e32 v5, v5
.LBB127_444:
	s_mov_b32 s2, 0
.LBB127_445:
	s_delay_alu instid0(SALU_CYCLE_1)
	s_and_not1_b32 vcc_lo, exec_lo, s2
	s_cbranch_vccnz .LBB127_453
; %bb.446:
	global_load_u8 v7, v[2:3], off
	s_mov_b32 s2, 0
	s_mov_b32 s43, exec_lo
                                        ; implicit-def: $sgpr42
	s_waitcnt vmcnt(0)
	v_cmpx_lt_i16_e32 0x7f, v7
	s_xor_b32 s43, exec_lo, s43
	s_cbranch_execz .LBB127_467
; %bb.447:
	s_mov_b32 s2, -1
	s_mov_b32 s44, exec_lo
                                        ; implicit-def: $sgpr42
	v_cmpx_eq_u16_e32 0x80, v7
; %bb.448:
	s_mov_b32 s42, 0x7f800001
	s_xor_b32 s2, exec_lo, -1
; %bb.449:
	s_or_b32 exec_lo, exec_lo, s44
	s_delay_alu instid0(SALU_CYCLE_1)
	s_and_b32 s2, s2, exec_lo
	s_or_saveexec_b32 s43, s43
	v_mov_b32_e32 v5, s42
	s_xor_b32 exec_lo, exec_lo, s43
	s_cbranch_execnz .LBB127_468
.LBB127_450:
	s_or_b32 exec_lo, exec_lo, s43
	s_and_saveexec_b32 s42, s2
	s_cbranch_execz .LBB127_452
.LBB127_451:
	v_and_b32_e32 v5, 0xffff, v7
	v_lshlrev_b32_e32 v7, 24, v7
	s_delay_alu instid0(VALU_DEP_2) | instskip(NEXT) | instid1(VALU_DEP_2)
	v_and_b32_e32 v8, 7, v5
	v_and_b32_e32 v7, 0x80000000, v7
	s_delay_alu instid0(VALU_DEP_2) | instskip(NEXT) | instid1(VALU_DEP_1)
	v_clz_i32_u32_e32 v9, v8
	v_min_u32_e32 v9, 32, v9
	s_delay_alu instid0(VALU_DEP_1) | instskip(SKIP_1) | instid1(VALU_DEP_2)
	v_subrev_nc_u32_e32 v10, 28, v9
	v_sub_nc_u32_e32 v9, 29, v9
	v_lshlrev_b32_e32 v10, v10, v5
	v_bfe_u32 v5, v5, 3, 4
	s_delay_alu instid0(VALU_DEP_1) | instskip(NEXT) | instid1(VALU_DEP_3)
	v_cmp_eq_u32_e32 vcc_lo, 0, v5
	v_dual_cndmask_b32 v5, v5, v9 :: v_dual_and_b32 v10, 7, v10
	s_delay_alu instid0(VALU_DEP_1) | instskip(NEXT) | instid1(VALU_DEP_2)
	v_cndmask_b32_e32 v8, v8, v10, vcc_lo
	v_lshl_add_u32 v5, v5, 23, 0x3b800000
	s_delay_alu instid0(VALU_DEP_2) | instskip(NEXT) | instid1(VALU_DEP_1)
	v_lshlrev_b32_e32 v8, 20, v8
	v_or3_b32 v5, v7, v5, v8
.LBB127_452:
	s_or_b32 exec_lo, exec_lo, s42
.LBB127_453:
	s_mov_b32 s2, -1
.LBB127_454:
	s_mov_b32 s42, 0
.LBB127_455:
	s_delay_alu instid0(SALU_CYCLE_1)
	s_and_b32 vcc_lo, exec_lo, s42
	s_cbranch_vccz .LBB127_490
; %bb.456:
	v_cmp_lt_i16_e32 vcc_lo, 22, v6
	s_cbranch_vccz .LBB127_466
; %bb.457:
	v_cmp_gt_i16_e32 vcc_lo, 24, v6
	s_cbranch_vccnz .LBB127_469
; %bb.458:
	v_cmp_lt_i16_e32 vcc_lo, 24, v6
	s_cbranch_vccz .LBB127_470
; %bb.459:
	global_load_u8 v7, v[2:3], off
	s_mov_b32 s2, 0
	s_mov_b32 s43, exec_lo
                                        ; implicit-def: $sgpr42
	s_waitcnt vmcnt(0)
	v_cmpx_lt_i16_e32 0x7f, v7
	s_xor_b32 s43, exec_lo, s43
	s_cbranch_execz .LBB127_482
; %bb.460:
	s_mov_b32 s2, -1
	s_mov_b32 s44, exec_lo
                                        ; implicit-def: $sgpr42
	v_cmpx_eq_u16_e32 0x80, v7
; %bb.461:
	s_mov_b32 s42, 0x7f800001
	s_xor_b32 s2, exec_lo, -1
; %bb.462:
	s_or_b32 exec_lo, exec_lo, s44
	s_delay_alu instid0(SALU_CYCLE_1)
	s_and_b32 s2, s2, exec_lo
	s_or_saveexec_b32 s43, s43
	v_mov_b32_e32 v5, s42
	s_xor_b32 exec_lo, exec_lo, s43
	s_cbranch_execnz .LBB127_483
.LBB127_463:
	s_or_b32 exec_lo, exec_lo, s43
	s_and_saveexec_b32 s42, s2
	s_cbranch_execz .LBB127_465
.LBB127_464:
	v_and_b32_e32 v5, 0xffff, v7
	v_lshlrev_b32_e32 v7, 24, v7
	s_delay_alu instid0(VALU_DEP_2) | instskip(NEXT) | instid1(VALU_DEP_2)
	v_and_b32_e32 v8, 3, v5
	v_and_b32_e32 v7, 0x80000000, v7
	s_delay_alu instid0(VALU_DEP_2) | instskip(NEXT) | instid1(VALU_DEP_1)
	v_clz_i32_u32_e32 v9, v8
	v_min_u32_e32 v9, 32, v9
	s_delay_alu instid0(VALU_DEP_1) | instskip(SKIP_1) | instid1(VALU_DEP_2)
	v_subrev_nc_u32_e32 v10, 29, v9
	v_sub_nc_u32_e32 v9, 30, v9
	v_lshlrev_b32_e32 v10, v10, v5
	v_bfe_u32 v5, v5, 2, 5
	s_delay_alu instid0(VALU_DEP_1) | instskip(NEXT) | instid1(VALU_DEP_3)
	v_cmp_eq_u32_e32 vcc_lo, 0, v5
	v_dual_cndmask_b32 v5, v5, v9 :: v_dual_and_b32 v10, 3, v10
	s_delay_alu instid0(VALU_DEP_1) | instskip(NEXT) | instid1(VALU_DEP_2)
	v_cndmask_b32_e32 v8, v8, v10, vcc_lo
	v_lshl_add_u32 v5, v5, 23, 0x37800000
	s_delay_alu instid0(VALU_DEP_2) | instskip(NEXT) | instid1(VALU_DEP_1)
	v_lshlrev_b32_e32 v8, 21, v8
	v_or3_b32 v5, v7, v5, v8
.LBB127_465:
	s_or_b32 exec_lo, exec_lo, s42
	s_mov_b32 s2, 0
	s_branch .LBB127_471
.LBB127_466:
	s_mov_b32 s42, -1
                                        ; implicit-def: $vgpr5
	s_branch .LBB127_477
.LBB127_467:
	s_or_saveexec_b32 s43, s43
	v_mov_b32_e32 v5, s42
	s_xor_b32 exec_lo, exec_lo, s43
	s_cbranch_execz .LBB127_450
.LBB127_468:
	v_cmp_ne_u16_e32 vcc_lo, 0, v7
	v_mov_b32_e32 v5, 0
	s_and_not1_b32 s2, s2, exec_lo
	s_and_b32 s42, vcc_lo, exec_lo
	s_delay_alu instid0(SALU_CYCLE_1)
	s_or_b32 s2, s2, s42
	s_or_b32 exec_lo, exec_lo, s43
	s_and_saveexec_b32 s42, s2
	s_cbranch_execnz .LBB127_451
	s_branch .LBB127_452
.LBB127_469:
	s_mov_b32 s2, -1
                                        ; implicit-def: $vgpr5
	s_branch .LBB127_474
.LBB127_470:
	s_mov_b32 s2, -1
                                        ; implicit-def: $vgpr5
.LBB127_471:
	s_delay_alu instid0(SALU_CYCLE_1)
	s_and_b32 vcc_lo, exec_lo, s2
	s_cbranch_vccz .LBB127_473
; %bb.472:
	global_load_u8 v5, v[2:3], off
	s_waitcnt vmcnt(0)
	v_lshlrev_b32_e32 v5, 24, v5
	s_delay_alu instid0(VALU_DEP_1) | instskip(NEXT) | instid1(VALU_DEP_1)
	v_and_b32_e32 v7, 0x7f000000, v5
	v_clz_i32_u32_e32 v8, v7
	v_cmp_ne_u32_e32 vcc_lo, 0, v7
	v_add_nc_u32_e32 v10, 0x1000000, v7
	s_delay_alu instid0(VALU_DEP_3) | instskip(NEXT) | instid1(VALU_DEP_1)
	v_min_u32_e32 v8, 32, v8
	v_sub_nc_u32_e64 v8, v8, 4 clamp
	s_delay_alu instid0(VALU_DEP_1) | instskip(SKIP_1) | instid1(VALU_DEP_2)
	v_lshlrev_b32_e32 v9, v8, v7
	v_lshlrev_b32_e32 v8, 23, v8
	v_lshrrev_b32_e32 v9, 4, v9
	s_delay_alu instid0(VALU_DEP_1) | instskip(SKIP_1) | instid1(VALU_DEP_2)
	v_sub_nc_u32_e32 v8, v9, v8
	v_ashrrev_i32_e32 v9, 8, v10
	v_add_nc_u32_e32 v8, 0x3c000000, v8
	s_delay_alu instid0(VALU_DEP_1) | instskip(NEXT) | instid1(VALU_DEP_1)
	v_and_or_b32 v8, 0x7f800000, v9, v8
	v_cndmask_b32_e32 v7, 0, v8, vcc_lo
	s_delay_alu instid0(VALU_DEP_1)
	v_and_or_b32 v5, 0x80000000, v5, v7
.LBB127_473:
	s_mov_b32 s2, 0
.LBB127_474:
	s_delay_alu instid0(SALU_CYCLE_1)
	s_and_not1_b32 vcc_lo, exec_lo, s2
	s_cbranch_vccnz .LBB127_476
; %bb.475:
	global_load_u8 v5, v[2:3], off
	s_waitcnt vmcnt(0)
	v_lshlrev_b32_e32 v7, 25, v5
	v_lshlrev_b16 v5, 8, v5
	s_delay_alu instid0(VALU_DEP_2) | instskip(NEXT) | instid1(VALU_DEP_2)
	v_lshrrev_b32_e32 v8, 4, v7
	v_and_or_b32 v9, 0x7f00, v5, 0.5
	v_bfe_i32 v5, v5, 0, 16
	s_delay_alu instid0(VALU_DEP_3) | instskip(NEXT) | instid1(VALU_DEP_1)
	v_or_b32_e32 v8, 0x70000000, v8
	v_dual_add_f32 v9, -0.5, v9 :: v_dual_mul_f32 v8, 0x7800000, v8
	v_cmp_gt_u32_e32 vcc_lo, 0x8000000, v7
	s_delay_alu instid0(VALU_DEP_2) | instskip(NEXT) | instid1(VALU_DEP_1)
	v_cndmask_b32_e32 v7, v8, v9, vcc_lo
	v_and_or_b32 v5, 0x80000000, v5, v7
.LBB127_476:
	s_mov_b32 s42, 0
	s_mov_b32 s2, -1
.LBB127_477:
	s_and_not1_b32 vcc_lo, exec_lo, s42
	s_cbranch_vccnz .LBB127_490
; %bb.478:
	v_cmp_lt_i16_e32 vcc_lo, 14, v6
	s_cbranch_vccz .LBB127_481
; %bb.479:
	v_cmp_eq_u16_e32 vcc_lo, 15, v6
	s_cbranch_vccz .LBB127_484
; %bb.480:
	global_load_u16 v5, v[2:3], off
	s_mov_b32 s2, -1
	s_mov_b32 s3, 0
	s_waitcnt vmcnt(0)
	v_lshlrev_b32_e32 v5, 16, v5
	s_branch .LBB127_485
.LBB127_481:
	s_mov_b32 s42, -1
                                        ; implicit-def: $vgpr5
	s_branch .LBB127_486
.LBB127_482:
	s_or_saveexec_b32 s43, s43
	v_mov_b32_e32 v5, s42
	s_xor_b32 exec_lo, exec_lo, s43
	s_cbranch_execz .LBB127_463
.LBB127_483:
	v_cmp_ne_u16_e32 vcc_lo, 0, v7
	v_mov_b32_e32 v5, 0
	s_and_not1_b32 s2, s2, exec_lo
	s_and_b32 s42, vcc_lo, exec_lo
	s_delay_alu instid0(SALU_CYCLE_1)
	s_or_b32 s2, s2, s42
	s_or_b32 exec_lo, exec_lo, s43
	s_and_saveexec_b32 s42, s2
	s_cbranch_execnz .LBB127_464
	s_branch .LBB127_465
.LBB127_484:
	s_mov_b32 s3, -1
                                        ; implicit-def: $vgpr5
.LBB127_485:
	s_mov_b32 s42, 0
.LBB127_486:
	s_delay_alu instid0(SALU_CYCLE_1)
	s_and_b32 vcc_lo, exec_lo, s42
	s_cbranch_vccz .LBB127_490
; %bb.487:
	v_cmp_eq_u16_e32 vcc_lo, 11, v6
	s_cbranch_vccz .LBB127_489
; %bb.488:
	global_load_u8 v5, v[2:3], off
	s_mov_b32 s3, 0
	s_mov_b32 s2, -1
	s_waitcnt vmcnt(0)
	v_cmp_ne_u16_e32 vcc_lo, 0, v5
	v_cndmask_b32_e64 v5, 0, 1.0, vcc_lo
	s_branch .LBB127_490
.LBB127_489:
	s_mov_b32 s3, -1
                                        ; implicit-def: $vgpr5
.LBB127_490:
	s_branch .LBB127_405
.LBB127_491:
	v_cmp_gt_i16_e32 vcc_lo, 5, v6
	s_cbranch_vccnz .LBB127_496
; %bb.492:
	v_cmp_gt_i16_e32 vcc_lo, 8, v6
	s_cbranch_vccnz .LBB127_497
; %bb.493:
	;; [unrolled: 3-line block ×3, first 2 shown]
	v_cmp_lt_i16_e32 vcc_lo, 9, v6
	s_cbranch_vccz .LBB127_499
; %bb.495:
	global_load_b64 v[7:8], v[2:3], off
	s_mov_b32 s2, 0
	s_waitcnt vmcnt(0)
	v_cvt_f32_f64_e32 v5, v[7:8]
	s_branch .LBB127_500
.LBB127_496:
	s_mov_b32 s2, -1
                                        ; implicit-def: $vgpr5
	s_branch .LBB127_518
.LBB127_497:
	s_mov_b32 s2, -1
                                        ; implicit-def: $vgpr5
	s_branch .LBB127_506
.LBB127_498:
	s_mov_b32 s2, -1
                                        ; implicit-def: $vgpr5
	s_branch .LBB127_503
.LBB127_499:
	s_mov_b32 s2, -1
                                        ; implicit-def: $vgpr5
.LBB127_500:
	s_delay_alu instid0(SALU_CYCLE_1)
	s_and_not1_b32 vcc_lo, exec_lo, s2
	s_cbranch_vccnz .LBB127_502
; %bb.501:
	global_load_b32 v5, v[2:3], off
.LBB127_502:
	s_mov_b32 s2, 0
.LBB127_503:
	s_delay_alu instid0(SALU_CYCLE_1)
	s_and_not1_b32 vcc_lo, exec_lo, s2
	s_cbranch_vccnz .LBB127_505
; %bb.504:
	global_load_b32 v5, v[2:3], off
	s_waitcnt vmcnt(0)
	v_cvt_f32_f16_e32 v5, v5
.LBB127_505:
	s_mov_b32 s2, 0
.LBB127_506:
	s_delay_alu instid0(SALU_CYCLE_1)
	s_and_not1_b32 vcc_lo, exec_lo, s2
	s_cbranch_vccnz .LBB127_517
; %bb.507:
	v_cmp_gt_i16_e32 vcc_lo, 6, v6
	s_cbranch_vccnz .LBB127_510
; %bb.508:
	v_cmp_lt_i16_e32 vcc_lo, 6, v6
	s_cbranch_vccz .LBB127_511
; %bb.509:
	global_load_b64 v[7:8], v[2:3], off
	s_mov_b32 s2, 0
	s_waitcnt vmcnt(0)
	v_cvt_f32_f64_e32 v5, v[7:8]
	s_branch .LBB127_512
.LBB127_510:
	s_mov_b32 s2, -1
                                        ; implicit-def: $vgpr5
	s_branch .LBB127_515
.LBB127_511:
	s_mov_b32 s2, -1
                                        ; implicit-def: $vgpr5
.LBB127_512:
	s_delay_alu instid0(SALU_CYCLE_1)
	s_and_not1_b32 vcc_lo, exec_lo, s2
	s_cbranch_vccnz .LBB127_514
; %bb.513:
	global_load_b32 v5, v[2:3], off
.LBB127_514:
	s_mov_b32 s2, 0
.LBB127_515:
	s_delay_alu instid0(SALU_CYCLE_1)
	s_and_not1_b32 vcc_lo, exec_lo, s2
	s_cbranch_vccnz .LBB127_517
; %bb.516:
	global_load_u16 v5, v[2:3], off
	s_waitcnt vmcnt(0)
	v_cvt_f32_f16_e32 v5, v5
.LBB127_517:
	s_mov_b32 s2, 0
.LBB127_518:
	s_delay_alu instid0(SALU_CYCLE_1)
	s_and_not1_b32 vcc_lo, exec_lo, s2
	s_cbranch_vccnz .LBB127_538
; %bb.519:
	v_cmp_gt_i16_e32 vcc_lo, 2, v6
	s_cbranch_vccnz .LBB127_523
; %bb.520:
	v_cmp_gt_i16_e32 vcc_lo, 3, v6
	s_cbranch_vccnz .LBB127_524
; %bb.521:
	v_cmp_lt_i16_e32 vcc_lo, 3, v6
	s_cbranch_vccz .LBB127_525
; %bb.522:
	global_load_b64 v[7:8], v[2:3], off
	s_mov_b32 s2, 0
	s_waitcnt vmcnt(0)
	v_xor_b32_e32 v5, v7, v8
	v_cls_i32_e32 v9, v8
	s_delay_alu instid0(VALU_DEP_2) | instskip(NEXT) | instid1(VALU_DEP_2)
	v_ashrrev_i32_e32 v5, 31, v5
	v_add_nc_u32_e32 v9, -1, v9
	s_delay_alu instid0(VALU_DEP_2) | instskip(NEXT) | instid1(VALU_DEP_1)
	v_add_nc_u32_e32 v5, 32, v5
	v_min_u32_e32 v5, v9, v5
	s_delay_alu instid0(VALU_DEP_1) | instskip(SKIP_1) | instid1(VALU_DEP_2)
	v_lshlrev_b64 v[7:8], v5, v[7:8]
	v_sub_nc_u32_e32 v5, 32, v5
	v_min_u32_e32 v7, 1, v7
	s_delay_alu instid0(VALU_DEP_1) | instskip(NEXT) | instid1(VALU_DEP_1)
	v_or_b32_e32 v7, v8, v7
	v_cvt_f32_i32_e32 v7, v7
	s_delay_alu instid0(VALU_DEP_1)
	v_ldexp_f32 v5, v7, v5
	s_branch .LBB127_526
.LBB127_523:
	s_mov_b32 s2, -1
                                        ; implicit-def: $vgpr5
	s_branch .LBB127_532
.LBB127_524:
	s_mov_b32 s2, -1
                                        ; implicit-def: $vgpr5
	s_branch .LBB127_529
.LBB127_525:
	s_mov_b32 s2, -1
                                        ; implicit-def: $vgpr5
.LBB127_526:
	s_delay_alu instid0(SALU_CYCLE_1)
	s_and_not1_b32 vcc_lo, exec_lo, s2
	s_cbranch_vccnz .LBB127_528
; %bb.527:
	global_load_b32 v5, v[2:3], off
	s_waitcnt vmcnt(0)
	v_cvt_f32_i32_e32 v5, v5
.LBB127_528:
	s_mov_b32 s2, 0
.LBB127_529:
	s_delay_alu instid0(SALU_CYCLE_1)
	s_and_not1_b32 vcc_lo, exec_lo, s2
	s_cbranch_vccnz .LBB127_531
; %bb.530:
	global_load_i16 v5, v[2:3], off
	s_waitcnt vmcnt(0)
	v_cvt_f32_i32_e32 v5, v5
.LBB127_531:
	s_mov_b32 s2, 0
.LBB127_532:
	s_delay_alu instid0(SALU_CYCLE_1)
	s_and_not1_b32 vcc_lo, exec_lo, s2
	s_cbranch_vccnz .LBB127_538
; %bb.533:
	v_cmp_lt_i16_e32 vcc_lo, 0, v6
	s_mov_b32 s2, 0
	s_cbranch_vccz .LBB127_535
; %bb.534:
	global_load_i8 v5, v[2:3], off
	s_waitcnt vmcnt(0)
	v_cvt_f32_i32_e32 v5, v5
	s_branch .LBB127_536
.LBB127_535:
	s_mov_b32 s2, -1
                                        ; implicit-def: $vgpr5
.LBB127_536:
	s_delay_alu instid0(SALU_CYCLE_1)
	s_and_not1_b32 vcc_lo, exec_lo, s2
	s_cbranch_vccnz .LBB127_538
; %bb.537:
	global_load_u8 v2, v[2:3], off
	s_waitcnt vmcnt(0)
	v_cvt_f32_ubyte0_e32 v5, v2
.LBB127_538:
	s_branch .LBB127_406
.LBB127_539:
	s_mov_b32 s46, 0
	s_mov_b32 s2, s38
	;; [unrolled: 1-line block ×3, first 2 shown]
	s_branch .LBB127_705
.LBB127_540:
	s_or_saveexec_b32 s40, s40
                                        ; implicit-def: $sgpr43
	s_delay_alu instid0(SALU_CYCLE_1)
	s_xor_b32 exec_lo, exec_lo, s40
	s_cbranch_execz .LBB127_72
.LBB127_541:
	v_add_f32_e64 v3, 0x42800000, |v2|
	s_and_not1_b32 s39, s39, exec_lo
	s_mov_b32 s43, 0
	s_delay_alu instid0(VALU_DEP_1) | instskip(NEXT) | instid1(VALU_DEP_1)
	v_and_b32_e32 v3, 0xff, v3
	v_cmp_ne_u32_e32 vcc_lo, 0, v3
	s_and_b32 s44, vcc_lo, exec_lo
	s_delay_alu instid0(SALU_CYCLE_1)
	s_or_b32 s39, s39, s44
	s_or_b32 exec_lo, exec_lo, s40
	v_mov_b32_e32 v5, s43
	s_and_saveexec_b32 s40, s39
	s_cbranch_execnz .LBB127_73
	s_branch .LBB127_74
.LBB127_542:
	s_mov_b32 s42, -1
.LBB127_543:
                                        ; implicit-def: $sgpr43
.LBB127_544:
	s_and_b32 vcc_lo, exec_lo, s44
	s_cbranch_vccz .LBB127_546
; %bb.545:
	v_cmp_eq_u16_e64 s2, 44, v3
	s_or_b32 s43, s43, exec_lo
	s_or_b32 s42, s42, exec_lo
.LBB127_546:
	s_mov_b32 s44, 0
.LBB127_547:
	s_delay_alu instid0(SALU_CYCLE_1)
	s_and_b32 vcc_lo, exec_lo, s44
	s_cbranch_vccz .LBB127_551
; %bb.548:
	v_cmp_eq_u16_e32 vcc_lo, 29, v3
	s_cbranch_vccz .LBB127_550
; %bb.549:
	global_load_b64 v[6:7], v[1:2], off
	s_mov_b32 s2, -1
	s_mov_b32 s42, 0
	s_mov_b32 s44, 0
	s_waitcnt vmcnt(0)
	v_cmp_ne_u64_e32 vcc_lo, 0, v[6:7]
	s_and_b32 s43, vcc_lo, exec_lo
	s_branch .LBB127_552
.LBB127_550:
	s_mov_b32 s42, -1
                                        ; implicit-def: $sgpr43
.LBB127_551:
	s_mov_b32 s44, 0
.LBB127_552:
	s_delay_alu instid0(SALU_CYCLE_1)
	s_and_b32 vcc_lo, exec_lo, s44
	s_cbranch_vccz .LBB127_570
; %bb.553:
	v_cmp_gt_i16_e32 vcc_lo, 27, v3
	s_cbranch_vccnz .LBB127_556
; %bb.554:
	v_cmp_lt_i16_e32 vcc_lo, 27, v3
	s_cbranch_vccz .LBB127_557
; %bb.555:
	global_load_b32 v6, v[1:2], off
	s_mov_b32 s2, 0
	s_waitcnt vmcnt(0)
	v_cmp_ne_u32_e32 vcc_lo, 0, v6
	s_and_b32 s43, vcc_lo, exec_lo
	s_branch .LBB127_558
.LBB127_556:
	s_mov_b32 s2, -1
                                        ; implicit-def: $sgpr43
	s_branch .LBB127_561
.LBB127_557:
	s_mov_b32 s2, -1
                                        ; implicit-def: $sgpr43
.LBB127_558:
	s_delay_alu instid0(SALU_CYCLE_1)
	s_and_not1_b32 vcc_lo, exec_lo, s2
	s_cbranch_vccnz .LBB127_560
; %bb.559:
	global_load_u16 v6, v[1:2], off
	s_and_not1_b32 s2, s43, exec_lo
	s_waitcnt vmcnt(0)
	v_cmp_ne_u16_e32 vcc_lo, 0, v6
	s_and_b32 s43, vcc_lo, exec_lo
	s_delay_alu instid0(SALU_CYCLE_1)
	s_or_b32 s43, s2, s43
.LBB127_560:
	s_mov_b32 s2, 0
.LBB127_561:
	s_delay_alu instid0(SALU_CYCLE_1)
	s_and_not1_b32 vcc_lo, exec_lo, s2
	s_cbranch_vccnz .LBB127_569
; %bb.562:
	global_load_u8 v6, v[1:2], off
	s_mov_b32 s2, 0
	s_mov_b32 s44, exec_lo
                                        ; implicit-def: $sgpr43
	s_waitcnt vmcnt(0)
	v_cmpx_lt_i16_e32 0x7f, v6
	s_xor_b32 s44, exec_lo, s44
	s_cbranch_execz .LBB127_583
; %bb.563:
	s_mov_b32 s2, -1
	s_mov_b32 s46, exec_lo
                                        ; implicit-def: $sgpr43
	v_cmpx_eq_u16_e32 0x80, v6
; %bb.564:
	s_mov_b32 s43, -1
	s_xor_b32 s2, exec_lo, -1
; %bb.565:
	s_or_b32 exec_lo, exec_lo, s46
	s_delay_alu instid0(SALU_CYCLE_1)
	s_and_b32 s2, s2, exec_lo
	s_and_not1_saveexec_b32 s44, s44
	s_cbranch_execnz .LBB127_584
.LBB127_566:
	s_or_b32 exec_lo, exec_lo, s44
	s_and_saveexec_b32 s44, s2
	s_cbranch_execz .LBB127_568
.LBB127_567:
	v_and_b32_e32 v6, 0xffff, v6
	s_and_not1_b32 s2, s43, exec_lo
	s_delay_alu instid0(VALU_DEP_1) | instskip(NEXT) | instid1(VALU_DEP_1)
	v_and_b32_e32 v7, 7, v6
	v_clz_i32_u32_e32 v8, v7
	s_delay_alu instid0(VALU_DEP_1) | instskip(NEXT) | instid1(VALU_DEP_1)
	v_min_u32_e32 v8, 32, v8
	v_subrev_nc_u32_e32 v9, 28, v8
	v_sub_nc_u32_e32 v8, 29, v8
	s_delay_alu instid0(VALU_DEP_2) | instskip(SKIP_1) | instid1(VALU_DEP_2)
	v_lshlrev_b32_e32 v9, v9, v6
	v_bfe_u32 v6, v6, 3, 4
	v_and_b32_e32 v9, 7, v9
	s_delay_alu instid0(VALU_DEP_2) | instskip(NEXT) | instid1(VALU_DEP_2)
	v_cmp_eq_u32_e32 vcc_lo, 0, v6
	v_dual_cndmask_b32 v6, v6, v8 :: v_dual_cndmask_b32 v7, v7, v9
	s_delay_alu instid0(VALU_DEP_1) | instskip(NEXT) | instid1(VALU_DEP_2)
	v_lshl_add_u32 v6, v6, 23, 0x3b800000
	v_lshlrev_b32_e32 v7, 20, v7
	s_delay_alu instid0(VALU_DEP_1) | instskip(NEXT) | instid1(VALU_DEP_1)
	v_and_or_b32 v6, 0x7f800000, v6, v7
	v_cmp_ne_u32_e32 vcc_lo, 0, v6
	s_and_b32 s43, vcc_lo, exec_lo
	s_delay_alu instid0(SALU_CYCLE_1)
	s_or_b32 s43, s2, s43
.LBB127_568:
	s_or_b32 exec_lo, exec_lo, s44
.LBB127_569:
	s_mov_b32 s2, -1
.LBB127_570:
	s_mov_b32 s44, 0
.LBB127_571:
	s_delay_alu instid0(SALU_CYCLE_1)
	s_and_b32 vcc_lo, exec_lo, s44
	s_cbranch_vccz .LBB127_606
; %bb.572:
	v_cmp_lt_i16_e32 vcc_lo, 22, v3
	s_cbranch_vccz .LBB127_582
; %bb.573:
	v_cmp_gt_i16_e32 vcc_lo, 24, v3
	s_cbranch_vccnz .LBB127_585
; %bb.574:
	v_cmp_lt_i16_e32 vcc_lo, 24, v3
	s_cbranch_vccz .LBB127_586
; %bb.575:
	global_load_u8 v6, v[1:2], off
	s_mov_b32 s2, 0
	s_mov_b32 s44, exec_lo
                                        ; implicit-def: $sgpr43
	s_waitcnt vmcnt(0)
	v_cmpx_lt_i16_e32 0x7f, v6
	s_xor_b32 s44, exec_lo, s44
	s_cbranch_execz .LBB127_598
; %bb.576:
	s_mov_b32 s2, -1
	s_mov_b32 s46, exec_lo
                                        ; implicit-def: $sgpr43
	v_cmpx_eq_u16_e32 0x80, v6
; %bb.577:
	s_mov_b32 s43, -1
	s_xor_b32 s2, exec_lo, -1
; %bb.578:
	s_or_b32 exec_lo, exec_lo, s46
	s_delay_alu instid0(SALU_CYCLE_1)
	s_and_b32 s2, s2, exec_lo
	s_and_not1_saveexec_b32 s44, s44
	s_cbranch_execnz .LBB127_599
.LBB127_579:
	s_or_b32 exec_lo, exec_lo, s44
	s_and_saveexec_b32 s44, s2
	s_cbranch_execz .LBB127_581
.LBB127_580:
	v_and_b32_e32 v6, 0xffff, v6
	s_and_not1_b32 s2, s43, exec_lo
	s_delay_alu instid0(VALU_DEP_1) | instskip(NEXT) | instid1(VALU_DEP_1)
	v_and_b32_e32 v7, 3, v6
	v_clz_i32_u32_e32 v8, v7
	s_delay_alu instid0(VALU_DEP_1) | instskip(NEXT) | instid1(VALU_DEP_1)
	v_min_u32_e32 v8, 32, v8
	v_subrev_nc_u32_e32 v9, 29, v8
	v_sub_nc_u32_e32 v8, 30, v8
	s_delay_alu instid0(VALU_DEP_2) | instskip(SKIP_1) | instid1(VALU_DEP_2)
	v_lshlrev_b32_e32 v9, v9, v6
	v_bfe_u32 v6, v6, 2, 5
	v_and_b32_e32 v9, 3, v9
	s_delay_alu instid0(VALU_DEP_2) | instskip(NEXT) | instid1(VALU_DEP_2)
	v_cmp_eq_u32_e32 vcc_lo, 0, v6
	v_dual_cndmask_b32 v6, v6, v8 :: v_dual_cndmask_b32 v7, v7, v9
	s_delay_alu instid0(VALU_DEP_1) | instskip(NEXT) | instid1(VALU_DEP_2)
	v_lshl_add_u32 v6, v6, 23, 0x37800000
	v_lshlrev_b32_e32 v7, 21, v7
	s_delay_alu instid0(VALU_DEP_1) | instskip(NEXT) | instid1(VALU_DEP_1)
	v_and_or_b32 v6, 0x7f800000, v6, v7
	v_cmp_ne_u32_e32 vcc_lo, 0, v6
	s_and_b32 s43, vcc_lo, exec_lo
	s_delay_alu instid0(SALU_CYCLE_1)
	s_or_b32 s43, s2, s43
.LBB127_581:
	s_or_b32 exec_lo, exec_lo, s44
	s_mov_b32 s2, 0
	s_branch .LBB127_587
.LBB127_582:
	s_mov_b32 s44, -1
                                        ; implicit-def: $sgpr43
	s_branch .LBB127_593
.LBB127_583:
	s_and_not1_saveexec_b32 s44, s44
	s_cbranch_execz .LBB127_566
.LBB127_584:
	v_cmp_ne_u16_e32 vcc_lo, 0, v6
	s_and_not1_b32 s2, s2, exec_lo
	s_and_not1_b32 s43, s43, exec_lo
	s_and_b32 s46, vcc_lo, exec_lo
	s_delay_alu instid0(SALU_CYCLE_1)
	s_or_b32 s2, s2, s46
	s_or_b32 exec_lo, exec_lo, s44
	s_and_saveexec_b32 s44, s2
	s_cbranch_execnz .LBB127_567
	s_branch .LBB127_568
.LBB127_585:
	s_mov_b32 s2, -1
                                        ; implicit-def: $sgpr43
	s_branch .LBB127_590
.LBB127_586:
	s_mov_b32 s2, -1
                                        ; implicit-def: $sgpr43
.LBB127_587:
	s_delay_alu instid0(SALU_CYCLE_1)
	s_and_b32 vcc_lo, exec_lo, s2
	s_cbranch_vccz .LBB127_589
; %bb.588:
	global_load_u8 v6, v[1:2], off
	s_and_not1_b32 s43, s43, exec_lo
	s_waitcnt vmcnt(0)
	v_lshlrev_b32_e32 v6, 24, v6
	s_delay_alu instid0(VALU_DEP_1) | instskip(NEXT) | instid1(VALU_DEP_1)
	v_and_b32_e32 v6, 0x7f000000, v6
	v_clz_i32_u32_e32 v7, v6
	v_add_nc_u32_e32 v9, 0x1000000, v6
	v_cmp_ne_u32_e32 vcc_lo, 0, v6
	s_delay_alu instid0(VALU_DEP_3) | instskip(NEXT) | instid1(VALU_DEP_3)
	v_min_u32_e32 v7, 32, v7
	v_ashrrev_i32_e32 v9, 8, v9
	s_delay_alu instid0(VALU_DEP_2) | instskip(NEXT) | instid1(VALU_DEP_1)
	v_sub_nc_u32_e64 v7, v7, 4 clamp
	v_lshlrev_b32_e32 v8, v7, v6
	v_lshlrev_b32_e32 v7, 23, v7
	s_delay_alu instid0(VALU_DEP_2) | instskip(NEXT) | instid1(VALU_DEP_1)
	v_lshrrev_b32_e32 v8, 4, v8
	v_sub_nc_u32_e32 v7, v8, v7
	v_and_b32_e32 v8, 0x7f800000, v9
	s_delay_alu instid0(VALU_DEP_2) | instskip(NEXT) | instid1(VALU_DEP_1)
	v_add_nc_u32_e32 v7, 0x3c000000, v7
	v_and_or_b32 v7, 0x7ff00000, v7, v8
	s_delay_alu instid0(VALU_DEP_1) | instskip(NEXT) | instid1(VALU_DEP_1)
	v_cmp_ne_u32_e64 s2, 0, v7
	s_and_b32 s2, vcc_lo, s2
	s_delay_alu instid0(SALU_CYCLE_1) | instskip(NEXT) | instid1(SALU_CYCLE_1)
	s_and_b32 s2, s2, exec_lo
	s_or_b32 s43, s43, s2
.LBB127_589:
	s_mov_b32 s2, 0
.LBB127_590:
	s_delay_alu instid0(SALU_CYCLE_1)
	s_and_not1_b32 vcc_lo, exec_lo, s2
	s_cbranch_vccnz .LBB127_592
; %bb.591:
	global_load_u8 v6, v[1:2], off
	s_and_not1_b32 s2, s43, exec_lo
	s_waitcnt vmcnt(0)
	v_lshlrev_b32_e32 v7, 25, v6
	v_lshlrev_b32_e32 v6, 8, v6
	s_delay_alu instid0(VALU_DEP_2) | instskip(NEXT) | instid1(VALU_DEP_2)
	v_lshrrev_b32_e32 v8, 4, v7
	v_and_or_b32 v6, 0x7f00, v6, 0.5
	s_delay_alu instid0(VALU_DEP_2) | instskip(NEXT) | instid1(VALU_DEP_2)
	v_or_b32_e32 v8, 0x70000000, v8
	v_add_f32_e32 v6, -0.5, v6
	s_delay_alu instid0(VALU_DEP_2) | instskip(SKIP_1) | instid1(VALU_DEP_2)
	v_mul_f32_e32 v8, 0x7800000, v8
	v_cmp_gt_u32_e32 vcc_lo, 0x8000000, v7
	v_cndmask_b32_e32 v6, v8, v6, vcc_lo
	s_delay_alu instid0(VALU_DEP_1) | instskip(SKIP_1) | instid1(SALU_CYCLE_1)
	v_cmp_neq_f32_e32 vcc_lo, 0, v6
	s_and_b32 s43, vcc_lo, exec_lo
	s_or_b32 s43, s2, s43
.LBB127_592:
	s_mov_b32 s44, 0
	s_mov_b32 s2, -1
.LBB127_593:
	s_and_not1_b32 vcc_lo, exec_lo, s44
	s_cbranch_vccnz .LBB127_606
; %bb.594:
	v_cmp_lt_i16_e32 vcc_lo, 14, v3
	s_cbranch_vccz .LBB127_597
; %bb.595:
	v_cmp_eq_u16_e32 vcc_lo, 15, v3
	s_cbranch_vccz .LBB127_600
; %bb.596:
	global_load_u16 v6, v[1:2], off
	s_mov_b32 s42, 0
	s_mov_b32 s2, -1
	s_waitcnt vmcnt(0)
	v_and_b32_e32 v6, 0x7fff, v6
	s_delay_alu instid0(VALU_DEP_1)
	v_cmp_ne_u16_e32 vcc_lo, 0, v6
	s_and_b32 s43, vcc_lo, exec_lo
	s_branch .LBB127_601
.LBB127_597:
	s_mov_b32 s44, -1
                                        ; implicit-def: $sgpr43
	s_branch .LBB127_602
.LBB127_598:
	s_and_not1_saveexec_b32 s44, s44
	s_cbranch_execz .LBB127_579
.LBB127_599:
	v_cmp_ne_u16_e32 vcc_lo, 0, v6
	s_and_not1_b32 s2, s2, exec_lo
	s_and_not1_b32 s43, s43, exec_lo
	s_and_b32 s46, vcc_lo, exec_lo
	s_delay_alu instid0(SALU_CYCLE_1)
	s_or_b32 s2, s2, s46
	s_or_b32 exec_lo, exec_lo, s44
	s_and_saveexec_b32 s44, s2
	s_cbranch_execnz .LBB127_580
	s_branch .LBB127_581
.LBB127_600:
	s_mov_b32 s42, -1
                                        ; implicit-def: $sgpr43
.LBB127_601:
	s_mov_b32 s44, 0
.LBB127_602:
	s_delay_alu instid0(SALU_CYCLE_1)
	s_and_b32 vcc_lo, exec_lo, s44
	s_cbranch_vccz .LBB127_606
; %bb.603:
	v_cmp_eq_u16_e32 vcc_lo, 11, v3
	s_cbranch_vccz .LBB127_605
; %bb.604:
	global_load_u8 v6, v[1:2], off
	s_mov_b32 s42, 0
	s_mov_b32 s2, -1
	s_waitcnt vmcnt(0)
	v_cmp_ne_u16_e32 vcc_lo, 0, v6
	s_and_b32 s43, vcc_lo, exec_lo
	s_branch .LBB127_606
.LBB127_605:
	s_mov_b32 s42, -1
                                        ; implicit-def: $sgpr43
.LBB127_606:
	s_mov_b32 s44, 0
.LBB127_607:
	s_delay_alu instid0(SALU_CYCLE_1)
	s_and_b32 vcc_lo, exec_lo, s44
	s_cbranch_vccz .LBB127_656
; %bb.608:
	v_cmp_gt_i16_e32 vcc_lo, 5, v3
	s_cbranch_vccnz .LBB127_613
; %bb.609:
	v_cmp_gt_i16_e32 vcc_lo, 8, v3
	s_cbranch_vccnz .LBB127_614
	;; [unrolled: 3-line block ×3, first 2 shown]
; %bb.611:
	v_cmp_lt_i16_e32 vcc_lo, 9, v3
	s_cbranch_vccz .LBB127_616
; %bb.612:
	global_load_b128 v[6:9], v[1:2], off
	s_waitcnt vmcnt(0)
	v_cmp_neq_f64_e32 vcc_lo, 0, v[6:7]
	v_cmp_neq_f64_e64 s2, 0, v[8:9]
	s_delay_alu instid0(VALU_DEP_1)
	s_or_b32 s43, vcc_lo, s2
	s_mov_b32 s2, 0
	s_and_b32 s43, s43, exec_lo
	s_branch .LBB127_617
.LBB127_613:
	s_mov_b32 s2, -1
                                        ; implicit-def: $sgpr43
	s_branch .LBB127_635
.LBB127_614:
	s_mov_b32 s2, -1
                                        ; implicit-def: $sgpr43
	s_branch .LBB127_623
.LBB127_615:
	s_mov_b32 s2, -1
                                        ; implicit-def: $sgpr43
	s_branch .LBB127_620
.LBB127_616:
	s_mov_b32 s2, -1
                                        ; implicit-def: $sgpr43
.LBB127_617:
	s_delay_alu instid0(SALU_CYCLE_1)
	s_and_not1_b32 vcc_lo, exec_lo, s2
	s_cbranch_vccnz .LBB127_619
; %bb.618:
	global_load_b64 v[6:7], v[1:2], off
	s_and_not1_b32 s2, s43, exec_lo
	s_waitcnt vmcnt(0)
	v_or_b32_e32 v6, v6, v7
	s_delay_alu instid0(VALU_DEP_1) | instskip(NEXT) | instid1(VALU_DEP_1)
	v_and_b32_e32 v6, 0x7fffffff, v6
	v_cmp_ne_u32_e32 vcc_lo, 0, v6
	s_and_b32 s43, vcc_lo, exec_lo
	s_delay_alu instid0(SALU_CYCLE_1)
	s_or_b32 s43, s2, s43
.LBB127_619:
	s_mov_b32 s2, 0
.LBB127_620:
	s_delay_alu instid0(SALU_CYCLE_1)
	s_and_not1_b32 vcc_lo, exec_lo, s2
	s_cbranch_vccnz .LBB127_622
; %bb.621:
	global_load_b32 v6, v[1:2], off
	s_and_not1_b32 s2, s43, exec_lo
	s_waitcnt vmcnt(0)
	v_and_b32_e32 v6, 0x7fff7fff, v6
	s_delay_alu instid0(VALU_DEP_1) | instskip(SKIP_1) | instid1(SALU_CYCLE_1)
	v_cmp_ne_u32_e32 vcc_lo, 0, v6
	s_and_b32 s43, vcc_lo, exec_lo
	s_or_b32 s43, s2, s43
.LBB127_622:
	s_mov_b32 s2, 0
.LBB127_623:
	s_delay_alu instid0(SALU_CYCLE_1)
	s_and_not1_b32 vcc_lo, exec_lo, s2
	s_cbranch_vccnz .LBB127_634
; %bb.624:
	v_cmp_gt_i16_e32 vcc_lo, 6, v3
	s_cbranch_vccnz .LBB127_627
; %bb.625:
	v_cmp_lt_i16_e32 vcc_lo, 6, v3
	s_cbranch_vccz .LBB127_628
; %bb.626:
	global_load_b64 v[6:7], v[1:2], off
	s_mov_b32 s2, 0
	s_waitcnt vmcnt(0)
	v_cmp_neq_f64_e32 vcc_lo, 0, v[6:7]
	s_and_b32 s43, vcc_lo, exec_lo
	s_branch .LBB127_629
.LBB127_627:
	s_mov_b32 s2, -1
                                        ; implicit-def: $sgpr43
	s_branch .LBB127_632
.LBB127_628:
	s_mov_b32 s2, -1
                                        ; implicit-def: $sgpr43
.LBB127_629:
	s_delay_alu instid0(SALU_CYCLE_1)
	s_and_not1_b32 vcc_lo, exec_lo, s2
	s_cbranch_vccnz .LBB127_631
; %bb.630:
	global_load_b32 v6, v[1:2], off
	s_and_not1_b32 s2, s43, exec_lo
	s_waitcnt vmcnt(0)
	v_cmp_neq_f32_e32 vcc_lo, 0, v6
	s_and_b32 s43, vcc_lo, exec_lo
	s_delay_alu instid0(SALU_CYCLE_1)
	s_or_b32 s43, s2, s43
.LBB127_631:
	s_mov_b32 s2, 0
.LBB127_632:
	s_delay_alu instid0(SALU_CYCLE_1)
	s_and_not1_b32 vcc_lo, exec_lo, s2
	s_cbranch_vccnz .LBB127_634
; %bb.633:
	global_load_u16 v6, v[1:2], off
	s_and_not1_b32 s2, s43, exec_lo
	s_waitcnt vmcnt(0)
	v_and_b32_e32 v6, 0x7fff, v6
	s_delay_alu instid0(VALU_DEP_1) | instskip(SKIP_1) | instid1(SALU_CYCLE_1)
	v_cmp_ne_u16_e32 vcc_lo, 0, v6
	s_and_b32 s43, vcc_lo, exec_lo
	s_or_b32 s43, s2, s43
.LBB127_634:
	s_mov_b32 s2, 0
.LBB127_635:
	s_delay_alu instid0(SALU_CYCLE_1)
	s_and_not1_b32 vcc_lo, exec_lo, s2
	s_cbranch_vccnz .LBB127_655
; %bb.636:
	v_cmp_gt_i16_e32 vcc_lo, 2, v3
	s_cbranch_vccnz .LBB127_640
; %bb.637:
	v_cmp_gt_i16_e32 vcc_lo, 3, v3
	s_cbranch_vccnz .LBB127_641
; %bb.638:
	v_cmp_lt_i16_e32 vcc_lo, 3, v3
	s_cbranch_vccz .LBB127_642
; %bb.639:
	global_load_b64 v[6:7], v[1:2], off
	s_mov_b32 s2, 0
	s_waitcnt vmcnt(0)
	v_cmp_ne_u64_e32 vcc_lo, 0, v[6:7]
	s_and_b32 s43, vcc_lo, exec_lo
	s_branch .LBB127_643
.LBB127_640:
	s_mov_b32 s2, -1
                                        ; implicit-def: $sgpr43
	s_branch .LBB127_649
.LBB127_641:
	s_mov_b32 s2, -1
                                        ; implicit-def: $sgpr43
	s_branch .LBB127_646
.LBB127_642:
	s_mov_b32 s2, -1
                                        ; implicit-def: $sgpr43
.LBB127_643:
	s_delay_alu instid0(SALU_CYCLE_1)
	s_and_not1_b32 vcc_lo, exec_lo, s2
	s_cbranch_vccnz .LBB127_645
; %bb.644:
	global_load_b32 v6, v[1:2], off
	s_and_not1_b32 s2, s43, exec_lo
	s_waitcnt vmcnt(0)
	v_cmp_ne_u32_e32 vcc_lo, 0, v6
	s_and_b32 s43, vcc_lo, exec_lo
	s_delay_alu instid0(SALU_CYCLE_1)
	s_or_b32 s43, s2, s43
.LBB127_645:
	s_mov_b32 s2, 0
.LBB127_646:
	s_delay_alu instid0(SALU_CYCLE_1)
	s_and_not1_b32 vcc_lo, exec_lo, s2
	s_cbranch_vccnz .LBB127_648
; %bb.647:
	global_load_u16 v6, v[1:2], off
	s_and_not1_b32 s2, s43, exec_lo
	s_waitcnt vmcnt(0)
	v_cmp_ne_u16_e32 vcc_lo, 0, v6
	s_and_b32 s43, vcc_lo, exec_lo
	s_delay_alu instid0(SALU_CYCLE_1)
	s_or_b32 s43, s2, s43
.LBB127_648:
	s_mov_b32 s2, 0
.LBB127_649:
	s_delay_alu instid0(SALU_CYCLE_1)
	s_and_not1_b32 vcc_lo, exec_lo, s2
	s_cbranch_vccnz .LBB127_655
; %bb.650:
	v_cmp_lt_i16_e32 vcc_lo, 0, v3
	s_mov_b32 s2, 0
	s_cbranch_vccz .LBB127_652
; %bb.651:
	global_load_u8 v3, v[1:2], off
	s_waitcnt vmcnt(0)
	v_cmp_ne_u16_e32 vcc_lo, 0, v3
	s_and_b32 s43, vcc_lo, exec_lo
	s_branch .LBB127_653
.LBB127_652:
	s_mov_b32 s2, -1
                                        ; implicit-def: $sgpr43
.LBB127_653:
	s_delay_alu instid0(SALU_CYCLE_1)
	s_and_not1_b32 vcc_lo, exec_lo, s2
	s_cbranch_vccnz .LBB127_655
; %bb.654:
	global_load_u8 v1, v[1:2], off
	s_and_not1_b32 s2, s43, exec_lo
	s_waitcnt vmcnt(0)
	v_cmp_ne_u16_e32 vcc_lo, 0, v1
	s_and_b32 s43, vcc_lo, exec_lo
	s_delay_alu instid0(SALU_CYCLE_1)
	s_or_b32 s43, s2, s43
.LBB127_655:
	s_mov_b32 s2, -1
.LBB127_656:
	s_delay_alu instid0(SALU_CYCLE_1)
	s_and_not1_b32 vcc_lo, exec_lo, s2
	s_cbranch_vccnz .LBB127_664
; %bb.657:
	v_cndmask_b32_e64 v1, 0, 1.0, s43
	v_and_b32_e64 v6, 0xff, s11
	v_add_co_u32 v0, s2, s4, v0
	s_mov_b32 s42, 0
	s_waitcnt vmcnt(0)
	v_mul_f32_e32 v2, v5, v1
	v_cmp_gt_i16_e32 vcc_lo, 11, v6
	v_add_co_ci_u32_e64 v1, null, s5, 0, s2
	s_mov_b32 s43, -1
	s_delay_alu instid0(VALU_DEP_3)
	v_mul_f32_e32 v2, s10, v2
	s_mov_b32 s2, s38
	s_cbranch_vccnz .LBB127_665
; %bb.658:
	v_cmp_lt_i16_e32 vcc_lo, 25, v6
	s_cbranch_vccz .LBB127_728
; %bb.659:
	v_cmp_lt_i16_e32 vcc_lo, 28, v6
	s_cbranch_vccz .LBB127_730
	;; [unrolled: 3-line block ×4, first 2 shown]
; %bb.662:
	v_cmp_eq_u16_e32 vcc_lo, 46, v6
	s_mov_b32 s43, 0
	s_mov_b32 s2, -1
	s_cbranch_vccz .LBB127_735
; %bb.663:
	v_bfe_u32 v3, v2, 16, 1
	v_cmp_o_f32_e32 vcc_lo, v2, v2
	s_mov_b32 s42, -1
	s_mov_b32 s2, 0
	s_delay_alu instid0(VALU_DEP_2) | instskip(NEXT) | instid1(VALU_DEP_1)
	v_add3_u32 v3, v2, v3, 0x7fff
	v_lshrrev_b32_e32 v3, 16, v3
	s_delay_alu instid0(VALU_DEP_1)
	v_cndmask_b32_e32 v3, 0x7fc0, v3, vcc_lo
	global_store_b32 v[0:1], v3, off
	s_branch .LBB127_735
.LBB127_664:
	s_mov_b32 s46, 0
	s_mov_b32 s2, s38
	s_branch .LBB127_705
.LBB127_665:
	s_and_b32 vcc_lo, exec_lo, s43
	s_cbranch_vccz .LBB127_804
; %bb.666:
	v_cmp_gt_i16_e32 vcc_lo, 5, v6
	s_mov_b32 s42, -1
	s_cbranch_vccnz .LBB127_687
; %bb.667:
	v_cmp_gt_i16_e32 vcc_lo, 8, v6
	s_cbranch_vccnz .LBB127_677
; %bb.668:
	v_cmp_gt_i16_e32 vcc_lo, 9, v6
	s_cbranch_vccnz .LBB127_674
; %bb.669:
	v_cmp_lt_i16_e32 vcc_lo, 9, v6
	s_cbranch_vccz .LBB127_671
; %bb.670:
	v_cvt_f64_f32_e32 v[7:8], v2
	v_mov_b32_e32 v9, 0
	s_mov_b32 s42, 0
	s_delay_alu instid0(VALU_DEP_1)
	v_mov_b32_e32 v10, v9
	global_store_b128 v[0:1], v[7:10], off
.LBB127_671:
	s_and_not1_b32 vcc_lo, exec_lo, s42
	s_cbranch_vccnz .LBB127_673
; %bb.672:
	v_mov_b32_e32 v3, 0
	global_store_b64 v[0:1], v[2:3], off
.LBB127_673:
	s_mov_b32 s42, 0
.LBB127_674:
	s_delay_alu instid0(SALU_CYCLE_1)
	s_and_not1_b32 vcc_lo, exec_lo, s42
	s_cbranch_vccnz .LBB127_676
; %bb.675:
	v_cvt_f16_f32_e32 v3, v2
	s_delay_alu instid0(VALU_DEP_1)
	v_and_b32_e32 v3, 0xffff, v3
	global_store_b32 v[0:1], v3, off
.LBB127_676:
	s_mov_b32 s42, 0
.LBB127_677:
	s_delay_alu instid0(SALU_CYCLE_1)
	s_and_not1_b32 vcc_lo, exec_lo, s42
	s_cbranch_vccnz .LBB127_686
; %bb.678:
	v_cmp_gt_i16_e32 vcc_lo, 6, v6
	s_mov_b32 s42, -1
	s_cbranch_vccnz .LBB127_684
; %bb.679:
	v_cmp_lt_i16_e32 vcc_lo, 6, v6
	s_cbranch_vccz .LBB127_681
; %bb.680:
	v_cvt_f64_f32_e32 v[7:8], v2
	s_mov_b32 s42, 0
	global_store_b64 v[0:1], v[7:8], off
.LBB127_681:
	s_and_not1_b32 vcc_lo, exec_lo, s42
	s_cbranch_vccnz .LBB127_683
; %bb.682:
	global_store_b32 v[0:1], v2, off
.LBB127_683:
	s_mov_b32 s42, 0
.LBB127_684:
	s_delay_alu instid0(SALU_CYCLE_1)
	s_and_not1_b32 vcc_lo, exec_lo, s42
	s_cbranch_vccnz .LBB127_686
; %bb.685:
	v_cvt_f16_f32_e32 v3, v2
	global_store_b16 v[0:1], v3, off
.LBB127_686:
	s_mov_b32 s42, 0
.LBB127_687:
	s_delay_alu instid0(SALU_CYCLE_1)
	s_and_not1_b32 vcc_lo, exec_lo, s42
	s_cbranch_vccnz .LBB127_703
; %bb.688:
	v_cmp_gt_i16_e32 vcc_lo, 2, v6
	s_mov_b32 s42, -1
	s_cbranch_vccnz .LBB127_698
; %bb.689:
	v_cmp_gt_i16_e32 vcc_lo, 3, v6
	s_cbranch_vccnz .LBB127_695
; %bb.690:
	v_cmp_lt_i16_e32 vcc_lo, 3, v6
	s_cbranch_vccz .LBB127_692
; %bb.691:
	v_trunc_f32_e32 v3, v2
	s_mov_b32 s42, 0
	s_delay_alu instid0(VALU_DEP_1) | instskip(NEXT) | instid1(VALU_DEP_1)
	v_mul_f32_e64 v5, 0x2f800000, |v3|
	v_floor_f32_e32 v5, v5
	s_delay_alu instid0(VALU_DEP_1) | instskip(SKIP_2) | instid1(VALU_DEP_3)
	v_fma_f32 v7, 0xcf800000, v5, |v3|
	v_ashrrev_i32_e32 v3, 31, v3
	v_cvt_u32_f32_e32 v5, v5
	v_cvt_u32_f32_e32 v7, v7
	s_delay_alu instid0(VALU_DEP_2) | instskip(NEXT) | instid1(VALU_DEP_2)
	v_xor_b32_e32 v5, v5, v3
	v_xor_b32_e32 v7, v7, v3
	s_delay_alu instid0(VALU_DEP_1) | instskip(NEXT) | instid1(VALU_DEP_3)
	v_sub_co_u32 v7, vcc_lo, v7, v3
	v_sub_co_ci_u32_e32 v8, vcc_lo, v5, v3, vcc_lo
	global_store_b64 v[0:1], v[7:8], off
.LBB127_692:
	s_and_not1_b32 vcc_lo, exec_lo, s42
	s_cbranch_vccnz .LBB127_694
; %bb.693:
	v_cvt_i32_f32_e32 v3, v2
	global_store_b32 v[0:1], v3, off
.LBB127_694:
	s_mov_b32 s42, 0
.LBB127_695:
	s_delay_alu instid0(SALU_CYCLE_1)
	s_and_not1_b32 vcc_lo, exec_lo, s42
	s_cbranch_vccnz .LBB127_697
; %bb.696:
	v_cvt_i32_f32_e32 v3, v2
	global_store_b16 v[0:1], v3, off
.LBB127_697:
	s_mov_b32 s42, 0
.LBB127_698:
	s_delay_alu instid0(SALU_CYCLE_1)
	s_and_not1_b32 vcc_lo, exec_lo, s42
	s_cbranch_vccnz .LBB127_703
; %bb.699:
	v_cmp_lt_i16_e32 vcc_lo, 0, v6
	s_mov_b32 s42, -1
	s_cbranch_vccz .LBB127_701
; %bb.700:
	v_cvt_i32_f32_e32 v3, v2
	s_mov_b32 s42, 0
	global_store_b8 v[0:1], v3, off
.LBB127_701:
	s_and_not1_b32 vcc_lo, exec_lo, s42
	s_cbranch_vccnz .LBB127_703
; %bb.702:
	v_trunc_f32_e32 v2, v2
	s_delay_alu instid0(VALU_DEP_1) | instskip(NEXT) | instid1(VALU_DEP_1)
	v_mul_f32_e64 v3, 0x2f800000, |v2|
	v_floor_f32_e32 v3, v3
	s_delay_alu instid0(VALU_DEP_1) | instskip(SKIP_1) | instid1(VALU_DEP_2)
	v_fma_f32 v3, 0xcf800000, v3, |v2|
	v_ashrrev_i32_e32 v2, 31, v2
	v_cvt_u32_f32_e32 v3, v3
	s_delay_alu instid0(VALU_DEP_1) | instskip(NEXT) | instid1(VALU_DEP_1)
	v_xor_b32_e32 v3, v3, v2
	v_sub_nc_u32_e32 v2, v3, v2
	global_store_b8 v[0:1], v2, off
.LBB127_703:
	s_mov_b32 s42, 0
	s_branch .LBB127_805
.LBB127_704:
	s_mov_b32 s46, 0
.LBB127_705:
                                        ; implicit-def: $vgpr4
.LBB127_706:
	s_and_not1_b32 s43, s38, exec_lo
	s_and_b32 s2, s2, exec_lo
	s_and_b32 s42, s42, exec_lo
	s_or_b32 s43, s43, s2
	s_and_not1_b32 s2, s39, exec_lo
	s_and_not1_b32 s47, s40, exec_lo
	s_and_b32 s3, s3, exec_lo
	s_or_b32 s44, s2, s42
	s_or_b32 s42, s47, s3
	s_or_not1_b32 s47, s46, exec_lo
.LBB127_707:
	s_or_b32 exec_lo, exec_lo, s45
	s_mov_b32 s3, 0
	s_mov_b32 s46, 0
	;; [unrolled: 1-line block ×3, first 2 shown]
                                        ; implicit-def: $vgpr6
                                        ; implicit-def: $vgpr2_vgpr3
                                        ; implicit-def: $vgpr0
                                        ; implicit-def: $vgpr1
                                        ; implicit-def: $vgpr5
	s_and_saveexec_b32 s45, s47
	s_cbranch_execz .LBB127_1274
; %bb.708:
	s_mov_b32 s51, -1
	s_mov_b32 s47, s42
	s_mov_b32 s49, s44
	;; [unrolled: 1-line block ×3, first 2 shown]
	s_mov_b32 s46, exec_lo
	v_cmpx_gt_i32_e64 s36, v4
	s_cbranch_execz .LBB127_1105
; %bb.709:
	s_and_not1_b32 vcc_lo, exec_lo, s29
	s_cbranch_vccnz .LBB127_715
; %bb.710:
	v_dual_mov_b32 v0, 0 :: v_dual_mov_b32 v1, 0
	v_mov_b32_e32 v2, 0
	s_and_not1_b32 vcc_lo, exec_lo, s37
	s_mov_b32 s47, 0
	s_cbranch_vccnz .LBB127_716
; %bb.711:
	s_add_i32 s2, s35, 1
	v_dual_mov_b32 v1, 0 :: v_dual_mov_b32 v2, 0
	v_dual_mov_b32 v0, 0 :: v_dual_mov_b32 v3, v4
	s_and_b32 s48, s2, 30
	s_add_u32 s2, s20, 0xffffffec
	s_addc_u32 s3, s21, -1
	s_set_inst_prefetch_distance 0x1
	.p2align	6
.LBB127_712:                            ; =>This Inner Loop Header: Depth=1
	s_clause 0x2
	s_load_b128 s[52:55], s[2:3], 0x18
	s_load_b64 s[50:51], s[2:3], 0x28
	s_load_b128 s[56:59], s[2:3], 0xd8
	s_waitcnt vmcnt(0) lgkmcnt(0)
	v_mul_hi_u32 v5, s53, v3
	s_delay_alu instid0(VALU_DEP_1) | instskip(NEXT) | instid1(VALU_DEP_1)
	v_add_nc_u32_e32 v5, v3, v5
	v_lshrrev_b32_e32 v5, s54, v5
	s_delay_alu instid0(VALU_DEP_1)
	v_mul_hi_u32 v6, s50, v5
	v_mul_lo_u32 v7, v5, s52
	s_load_b64 s[52:53], s[2:3], 0xe8
	s_add_u32 s2, s2, 24
	s_addc_u32 s3, s3, 0
	s_add_i32 s48, s48, -2
	s_delay_alu instid0(SALU_CYCLE_1) | instskip(NEXT) | instid1(VALU_DEP_2)
	s_cmp_eq_u32 s48, 0
	v_add_nc_u32_e32 v6, v5, v6
	s_delay_alu instid0(VALU_DEP_2) | instskip(NEXT) | instid1(VALU_DEP_2)
	v_sub_nc_u32_e32 v7, v3, v7
	v_lshrrev_b32_e32 v3, s51, v6
	s_delay_alu instid0(VALU_DEP_2) | instskip(NEXT) | instid1(VALU_DEP_2)
	v_mul_lo_u32 v8, v7, s56
	v_mul_lo_u32 v6, v3, s55
	s_delay_alu instid0(VALU_DEP_1) | instskip(SKIP_2) | instid1(VALU_DEP_3)
	v_sub_nc_u32_e32 v5, v5, v6
	v_mul_lo_u32 v6, v7, s57
	v_mul_lo_u32 v7, v7, s58
	;; [unrolled: 1-line block ×3, first 2 shown]
	s_waitcnt lgkmcnt(0)
	v_mul_lo_u32 v10, v5, s52
	v_mul_lo_u32 v5, v5, s53
	s_delay_alu instid0(VALU_DEP_3) | instskip(NEXT) | instid1(VALU_DEP_3)
	v_add3_u32 v0, v8, v0, v9
	v_add3_u32 v2, v6, v2, v10
	s_delay_alu instid0(VALU_DEP_3)
	v_add3_u32 v1, v7, v1, v5
	s_cbranch_scc0 .LBB127_712
; %bb.713:
	s_set_inst_prefetch_distance 0x2
	s_bitcmp1_b32 s35, 0
	s_cselect_b32 s48, -1, 0
	s_delay_alu instid0(SALU_CYCLE_1)
	s_and_b32 vcc_lo, exec_lo, s48
	s_cbranch_vccnz .LBB127_716
; %bb.714:
	s_clause 0x3
	s_load_b64 s[48:49], s[2:3], 0x18
	s_load_b32 s52, s[2:3], 0x20
	s_load_b64 s[50:51], s[2:3], 0xd8
	s_load_b32 s2, s[2:3], 0xe0
	s_waitcnt lgkmcnt(0)
	v_mul_hi_u32 v5, s49, v3
	s_delay_alu instid0(VALU_DEP_1) | instskip(NEXT) | instid1(VALU_DEP_1)
	v_add_nc_u32_e32 v5, v3, v5
	v_lshrrev_b32_e32 v5, s52, v5
	s_delay_alu instid0(VALU_DEP_1) | instskip(NEXT) | instid1(VALU_DEP_1)
	v_mul_lo_u32 v5, v5, s48
	v_sub_nc_u32_e32 v3, v3, v5
	s_delay_alu instid0(VALU_DEP_1) | instskip(SKIP_2) | instid1(VALU_DEP_3)
	v_mad_u64_u32 v[5:6], null, v3, s50, v[0:1]
	v_mad_u64_u32 v[6:7], null, v3, s51, v[2:3]
	;; [unrolled: 1-line block ×3, first 2 shown]
	v_mov_b32_e32 v0, v5
	s_delay_alu instid0(VALU_DEP_2)
	v_dual_mov_b32 v2, v6 :: v_dual_mov_b32 v1, v7
	s_branch .LBB127_716
.LBB127_715:
	s_mov_b32 s47, -1
                                        ; implicit-def: $vgpr0
                                        ; implicit-def: $vgpr2
                                        ; implicit-def: $vgpr1
.LBB127_716:
	s_delay_alu instid0(SALU_CYCLE_1)
	s_and_not1_b32 vcc_lo, exec_lo, s47
	s_cbranch_vccnz .LBB127_719
; %bb.717:
	v_mul_hi_u32 v0, s17, v4
	s_and_not1_b32 vcc_lo, exec_lo, s34
	s_delay_alu instid0(VALU_DEP_1) | instskip(NEXT) | instid1(VALU_DEP_1)
	v_add_nc_u32_e32 v0, v4, v0
	v_lshrrev_b32_e32 v3, s18, v0
	s_delay_alu instid0(VALU_DEP_1) | instskip(NEXT) | instid1(VALU_DEP_1)
	v_mul_lo_u32 v0, v3, s16
	v_sub_nc_u32_e32 v1, v4, v0
	s_delay_alu instid0(VALU_DEP_1)
	v_mul_lo_u32 v0, v1, s12
	v_mul_lo_u32 v2, v1, s13
	;; [unrolled: 1-line block ×3, first 2 shown]
	s_cbranch_vccnz .LBB127_719
; %bb.718:
	s_waitcnt vmcnt(0)
	v_mul_hi_u32 v5, s24, v3
	s_delay_alu instid0(VALU_DEP_1) | instskip(NEXT) | instid1(VALU_DEP_1)
	v_add_nc_u32_e32 v5, v3, v5
	v_lshrrev_b32_e32 v5, s25, v5
	s_delay_alu instid0(VALU_DEP_1) | instskip(NEXT) | instid1(VALU_DEP_1)
	v_mul_lo_u32 v5, v5, s19
	v_sub_nc_u32_e32 v3, v3, v5
	s_delay_alu instid0(VALU_DEP_1) | instskip(SKIP_2) | instid1(VALU_DEP_3)
	v_mad_u64_u32 v[5:6], null, v3, s15, v[0:1]
	v_mad_u64_u32 v[6:7], null, v3, s22, v[2:3]
	;; [unrolled: 1-line block ×3, first 2 shown]
	v_mov_b32_e32 v0, v5
	s_delay_alu instid0(VALU_DEP_2)
	v_dual_mov_b32 v2, v6 :: v_dual_mov_b32 v1, v7
.LBB127_719:
	v_and_b32_e64 v6, 0xff, s33
	s_delay_alu instid0(VALU_DEP_2) | instskip(NEXT) | instid1(VALU_DEP_1)
	v_add_co_u32 v2, s2, s6, v2
	v_add_co_ci_u32_e64 v3, null, s7, 0, s2
	s_delay_alu instid0(VALU_DEP_3)
	v_cmp_gt_i16_e32 vcc_lo, 11, v6
	s_mov_b32 s2, 0
	s_cbranch_vccnz .LBB127_726
; %bb.720:
	v_cmp_lt_i16_e32 vcc_lo, 25, v6
	s_cbranch_vccz .LBB127_727
; %bb.721:
	v_cmp_lt_i16_e32 vcc_lo, 28, v6
	s_cbranch_vccz .LBB127_729
	;; [unrolled: 3-line block ×4, first 2 shown]
; %bb.724:
	v_cmp_eq_u16_e32 vcc_lo, 46, v6
	s_mov_b32 s47, 0
	s_cbranch_vccz .LBB127_806
; %bb.725:
	global_load_b32 v5, v[2:3], off
	s_mov_b32 s2, -1
	s_mov_b32 s3, 0
	s_waitcnt vmcnt(0)
	v_lshlrev_b32_e32 v5, 16, v5
	s_branch .LBB127_808
.LBB127_726:
	s_mov_b32 s47, -1
	s_mov_b32 s3, s42
                                        ; implicit-def: $vgpr5
	s_branch .LBB127_875
.LBB127_727:
	s_mov_b32 s47, -1
	s_mov_b32 s3, s42
                                        ; implicit-def: $vgpr5
	s_branch .LBB127_839
.LBB127_728:
	s_mov_b32 s2, s38
	s_branch .LBB127_762
.LBB127_729:
	s_mov_b32 s47, -1
	s_mov_b32 s3, s42
                                        ; implicit-def: $vgpr5
	s_branch .LBB127_820
.LBB127_730:
	s_mov_b32 s2, s38
	s_branch .LBB127_745
.LBB127_731:
	s_mov_b32 s47, -1
	s_mov_b32 s3, s42
                                        ; implicit-def: $vgpr5
	s_branch .LBB127_815
.LBB127_732:
	s_mov_b32 s2, s38
	s_branch .LBB127_741
.LBB127_733:
	s_mov_b32 s47, -1
	s_mov_b32 s3, s42
	s_branch .LBB127_807
.LBB127_734:
	s_mov_b32 s2, s38
.LBB127_735:
	s_and_b32 vcc_lo, exec_lo, s43
	s_cbranch_vccz .LBB127_740
; %bb.736:
	v_cmp_eq_u16_e32 vcc_lo, 44, v6
	s_mov_b32 s2, -1
	s_cbranch_vccz .LBB127_740
; %bb.737:
	v_bfe_u32 v5, v2, 23, 8
	v_mov_b32_e32 v3, 0xff
	s_mov_b32 s42, exec_lo
	s_delay_alu instid0(VALU_DEP_2)
	v_cmpx_ne_u32_e32 0xff, v5
; %bb.738:
	v_and_b32_e32 v3, 0x400000, v2
	v_and_or_b32 v5, 0x3fffff, v2, v5
	s_delay_alu instid0(VALU_DEP_2) | instskip(NEXT) | instid1(VALU_DEP_2)
	v_cmp_ne_u32_e32 vcc_lo, 0, v3
	v_cmp_ne_u32_e64 s2, 0, v5
	v_lshrrev_b32_e32 v3, 23, v2
	s_delay_alu instid0(VALU_DEP_2) | instskip(NEXT) | instid1(SALU_CYCLE_1)
	s_and_b32 s2, vcc_lo, s2
	v_cndmask_b32_e64 v5, 0, 1, s2
	s_delay_alu instid0(VALU_DEP_1)
	v_add_nc_u32_e32 v3, v3, v5
; %bb.739:
	s_or_b32 exec_lo, exec_lo, s42
	s_mov_b32 s42, -1
	s_mov_b32 s2, 0
	global_store_b8 v[0:1], v3, off
.LBB127_740:
	s_mov_b32 s43, 0
.LBB127_741:
	s_delay_alu instid0(SALU_CYCLE_1)
	s_and_b32 vcc_lo, exec_lo, s43
	s_cbranch_vccz .LBB127_744
; %bb.742:
	v_cmp_eq_u16_e32 vcc_lo, 29, v6
	s_mov_b32 s2, -1
	s_cbranch_vccz .LBB127_744
; %bb.743:
	v_trunc_f32_e32 v3, v2
	s_mov_b32 s42, -1
	s_mov_b32 s2, 0
	s_mov_b32 s43, 0
	s_delay_alu instid0(VALU_DEP_1) | instskip(NEXT) | instid1(VALU_DEP_1)
	v_mul_f32_e32 v5, 0x2f800000, v3
	v_floor_f32_e32 v5, v5
	s_delay_alu instid0(VALU_DEP_1) | instskip(SKIP_1) | instid1(VALU_DEP_2)
	v_fmamk_f32 v3, v5, 0xcf800000, v3
	v_cvt_u32_f32_e32 v8, v5
	v_cvt_u32_f32_e32 v7, v3
	global_store_b64 v[0:1], v[7:8], off
	s_branch .LBB127_745
.LBB127_744:
	s_mov_b32 s43, 0
.LBB127_745:
	s_delay_alu instid0(SALU_CYCLE_1)
	s_and_b32 vcc_lo, exec_lo, s43
	s_cbranch_vccz .LBB127_761
; %bb.746:
	v_cmp_gt_i16_e32 vcc_lo, 27, v6
	s_mov_b32 s42, -1
	s_cbranch_vccnz .LBB127_752
; %bb.747:
	v_cmp_lt_i16_e32 vcc_lo, 27, v6
	s_cbranch_vccz .LBB127_749
; %bb.748:
	v_cvt_u32_f32_e32 v3, v2
	s_mov_b32 s42, 0
	global_store_b32 v[0:1], v3, off
.LBB127_749:
	s_and_not1_b32 vcc_lo, exec_lo, s42
	s_cbranch_vccnz .LBB127_751
; %bb.750:
	v_cvt_u32_f32_e32 v3, v2
	global_store_b16 v[0:1], v3, off
.LBB127_751:
	s_mov_b32 s42, 0
.LBB127_752:
	s_delay_alu instid0(SALU_CYCLE_1)
	s_and_not1_b32 vcc_lo, exec_lo, s42
	s_cbranch_vccnz .LBB127_760
; %bb.753:
	v_and_b32_e32 v3, 0x7fffffff, v2
	v_mov_b32_e32 v5, 0x80
	s_mov_b32 s42, exec_lo
	s_delay_alu instid0(VALU_DEP_2)
	v_cmpx_gt_u32_e32 0x43800000, v3
	s_cbranch_execz .LBB127_759
; %bb.754:
	v_cmp_lt_u32_e32 vcc_lo, 0x3bffffff, v3
	s_mov_b32 s43, 0
                                        ; implicit-def: $vgpr3
	s_and_saveexec_b32 s44, vcc_lo
	s_delay_alu instid0(SALU_CYCLE_1)
	s_xor_b32 s44, exec_lo, s44
	s_cbranch_execz .LBB127_811
; %bb.755:
	v_bfe_u32 v3, v2, 20, 1
	s_mov_b32 s43, exec_lo
	s_delay_alu instid0(VALU_DEP_1) | instskip(NEXT) | instid1(VALU_DEP_1)
	v_add3_u32 v3, v2, v3, 0x487ffff
	v_lshrrev_b32_e32 v3, 20, v3
	s_or_saveexec_b32 s44, s44
                                        ; implicit-def: $sgpr46
	s_delay_alu instid0(SALU_CYCLE_1)
	s_xor_b32 exec_lo, exec_lo, s44
	s_cbranch_execnz .LBB127_812
.LBB127_756:
	s_or_b32 exec_lo, exec_lo, s44
	v_mov_b32_e32 v5, s46
	s_and_saveexec_b32 s44, s43
.LBB127_757:
	v_lshrrev_b32_e32 v5, 24, v2
	s_delay_alu instid0(VALU_DEP_1)
	v_and_or_b32 v5, 0x80, v5, v3
.LBB127_758:
	s_or_b32 exec_lo, exec_lo, s44
.LBB127_759:
	s_delay_alu instid0(SALU_CYCLE_1)
	s_or_b32 exec_lo, exec_lo, s42
	global_store_b8 v[0:1], v5, off
.LBB127_760:
	s_mov_b32 s42, -1
.LBB127_761:
	s_mov_b32 s43, 0
.LBB127_762:
	s_delay_alu instid0(SALU_CYCLE_1)
	s_and_b32 vcc_lo, exec_lo, s43
	s_cbranch_vccz .LBB127_803
; %bb.763:
	v_cmp_lt_i16_e32 vcc_lo, 22, v6
	s_mov_b32 s43, -1
	s_cbranch_vccz .LBB127_795
; %bb.764:
	v_cmp_gt_i16_e32 vcc_lo, 24, v6
	s_mov_b32 s42, -1
	s_cbranch_vccnz .LBB127_784
; %bb.765:
	v_cmp_lt_i16_e32 vcc_lo, 24, v6
	s_cbranch_vccz .LBB127_773
; %bb.766:
	v_and_b32_e32 v3, 0x7fffffff, v2
	v_mov_b32_e32 v5, 0x80
	s_mov_b32 s42, exec_lo
	s_delay_alu instid0(VALU_DEP_2)
	v_cmpx_gt_u32_e32 0x47800000, v3
	s_cbranch_execz .LBB127_772
; %bb.767:
	v_cmp_lt_u32_e32 vcc_lo, 0x37ffffff, v3
	s_mov_b32 s43, 0
                                        ; implicit-def: $vgpr3
	s_and_saveexec_b32 s44, vcc_lo
	s_delay_alu instid0(SALU_CYCLE_1)
	s_xor_b32 s44, exec_lo, s44
	s_cbranch_execz .LBB127_938
; %bb.768:
	v_bfe_u32 v3, v2, 21, 1
	s_mov_b32 s43, exec_lo
	s_delay_alu instid0(VALU_DEP_1) | instskip(NEXT) | instid1(VALU_DEP_1)
	v_add3_u32 v3, v2, v3, 0x88fffff
	v_lshrrev_b32_e32 v3, 21, v3
	s_or_saveexec_b32 s44, s44
                                        ; implicit-def: $sgpr46
	s_delay_alu instid0(SALU_CYCLE_1)
	s_xor_b32 exec_lo, exec_lo, s44
	s_cbranch_execnz .LBB127_939
.LBB127_769:
	s_or_b32 exec_lo, exec_lo, s44
	v_mov_b32_e32 v5, s46
	s_and_saveexec_b32 s44, s43
.LBB127_770:
	v_lshrrev_b32_e32 v5, 24, v2
	s_delay_alu instid0(VALU_DEP_1)
	v_and_or_b32 v5, 0x80, v5, v3
.LBB127_771:
	s_or_b32 exec_lo, exec_lo, s44
.LBB127_772:
	s_delay_alu instid0(SALU_CYCLE_1)
	s_or_b32 exec_lo, exec_lo, s42
	s_mov_b32 s42, 0
	global_store_b8 v[0:1], v5, off
.LBB127_773:
	s_and_b32 vcc_lo, exec_lo, s42
	s_cbranch_vccz .LBB127_783
; %bb.774:
	v_and_b32_e32 v5, 0x7fffffff, v2
	s_mov_b32 s42, exec_lo
                                        ; implicit-def: $vgpr3
	s_delay_alu instid0(VALU_DEP_1)
	v_cmpx_gt_u32_e32 0x43f00000, v5
	s_xor_b32 s42, exec_lo, s42
	s_cbranch_execz .LBB127_780
; %bb.775:
	s_mov_b32 s43, exec_lo
                                        ; implicit-def: $vgpr3
	v_cmpx_lt_u32_e32 0x3c7fffff, v5
	s_xor_b32 s43, exec_lo, s43
; %bb.776:
	v_bfe_u32 v3, v2, 20, 1
	s_delay_alu instid0(VALU_DEP_1) | instskip(NEXT) | instid1(VALU_DEP_1)
	v_add3_u32 v3, v2, v3, 0x407ffff
	v_and_b32_e32 v5, 0xff00000, v3
	v_lshrrev_b32_e32 v3, 20, v3
	s_delay_alu instid0(VALU_DEP_2) | instskip(NEXT) | instid1(VALU_DEP_2)
	v_cmp_ne_u32_e32 vcc_lo, 0x7f00000, v5
	v_cndmask_b32_e32 v3, 0x7e, v3, vcc_lo
; %bb.777:
	s_and_not1_saveexec_b32 s43, s43
; %bb.778:
	v_add_f32_e64 v3, 0x46800000, |v2|
; %bb.779:
	s_or_b32 exec_lo, exec_lo, s43
                                        ; implicit-def: $vgpr5
.LBB127_780:
	s_and_not1_saveexec_b32 s42, s42
; %bb.781:
	v_mov_b32_e32 v3, 0x7f
	v_cmp_lt_u32_e32 vcc_lo, 0x7f800000, v5
	s_delay_alu instid0(VALU_DEP_2)
	v_cndmask_b32_e32 v3, 0x7e, v3, vcc_lo
; %bb.782:
	s_or_b32 exec_lo, exec_lo, s42
	v_lshrrev_b32_e32 v5, 24, v2
	s_delay_alu instid0(VALU_DEP_1)
	v_and_or_b32 v3, 0x80, v5, v3
	global_store_b8 v[0:1], v3, off
.LBB127_783:
	s_mov_b32 s42, 0
.LBB127_784:
	s_delay_alu instid0(SALU_CYCLE_1)
	s_and_not1_b32 vcc_lo, exec_lo, s42
	s_cbranch_vccnz .LBB127_794
; %bb.785:
	v_and_b32_e32 v5, 0x7fffffff, v2
	s_mov_b32 s42, exec_lo
                                        ; implicit-def: $vgpr3
	s_delay_alu instid0(VALU_DEP_1)
	v_cmpx_gt_u32_e32 0x47800000, v5
	s_xor_b32 s42, exec_lo, s42
	s_cbranch_execz .LBB127_791
; %bb.786:
	s_mov_b32 s43, exec_lo
                                        ; implicit-def: $vgpr3
	v_cmpx_lt_u32_e32 0x387fffff, v5
	s_xor_b32 s43, exec_lo, s43
; %bb.787:
	v_bfe_u32 v3, v2, 21, 1
	s_delay_alu instid0(VALU_DEP_1) | instskip(NEXT) | instid1(VALU_DEP_1)
	v_add3_u32 v3, v2, v3, 0x80fffff
	v_lshrrev_b32_e32 v3, 21, v3
; %bb.788:
	s_and_not1_saveexec_b32 s43, s43
; %bb.789:
	v_add_f32_e64 v3, 0x43000000, |v2|
; %bb.790:
	s_or_b32 exec_lo, exec_lo, s43
                                        ; implicit-def: $vgpr5
.LBB127_791:
	s_and_not1_saveexec_b32 s42, s42
; %bb.792:
	v_mov_b32_e32 v3, 0x7f
	v_cmp_lt_u32_e32 vcc_lo, 0x7f800000, v5
	s_delay_alu instid0(VALU_DEP_2)
	v_cndmask_b32_e32 v3, 0x7c, v3, vcc_lo
; %bb.793:
	s_or_b32 exec_lo, exec_lo, s42
	v_lshrrev_b32_e32 v5, 24, v2
	s_delay_alu instid0(VALU_DEP_1)
	v_and_or_b32 v3, 0x80, v5, v3
	global_store_b8 v[0:1], v3, off
.LBB127_794:
	s_mov_b32 s43, 0
	s_mov_b32 s42, -1
.LBB127_795:
	s_and_not1_b32 vcc_lo, exec_lo, s43
	s_cbranch_vccnz .LBB127_803
; %bb.796:
	v_cmp_lt_i16_e32 vcc_lo, 14, v6
	s_mov_b32 s43, -1
	s_cbranch_vccz .LBB127_800
; %bb.797:
	v_cmp_eq_u16_e32 vcc_lo, 15, v6
	s_mov_b32 s2, -1
	s_cbranch_vccz .LBB127_799
; %bb.798:
	v_bfe_u32 v3, v2, 16, 1
	v_cmp_o_f32_e32 vcc_lo, v2, v2
	s_mov_b32 s42, -1
	s_mov_b32 s2, 0
	s_delay_alu instid0(VALU_DEP_2) | instskip(NEXT) | instid1(VALU_DEP_1)
	v_add3_u32 v3, v2, v3, 0x7fff
	v_lshrrev_b32_e32 v3, 16, v3
	s_delay_alu instid0(VALU_DEP_1)
	v_cndmask_b32_e32 v3, 0x7fc0, v3, vcc_lo
	global_store_b16 v[0:1], v3, off
.LBB127_799:
	s_mov_b32 s43, 0
.LBB127_800:
	s_delay_alu instid0(SALU_CYCLE_1)
	s_and_b32 vcc_lo, exec_lo, s43
	s_cbranch_vccz .LBB127_803
; %bb.801:
	v_cmp_eq_u16_e32 vcc_lo, 11, v6
	s_mov_b32 s2, -1
	s_cbranch_vccz .LBB127_803
; %bb.802:
	v_cmp_neq_f32_e32 vcc_lo, 0, v2
	s_mov_b32 s2, 0
	s_mov_b32 s42, -1
	v_cndmask_b32_e64 v3, 0, 1, vcc_lo
	global_store_b8 v[0:1], v3, off
.LBB127_803:
.LBB127_804:
	s_and_not1_b32 vcc_lo, exec_lo, s42
	s_mov_b32 s42, 0
	s_cbranch_vccnz .LBB127_704
.LBB127_805:
	v_add_nc_u32_e32 v4, 0x80, v4
	s_mov_b32 s46, -1
	s_branch .LBB127_706
.LBB127_806:
	s_mov_b32 s3, -1
.LBB127_807:
                                        ; implicit-def: $vgpr5
.LBB127_808:
	s_and_b32 vcc_lo, exec_lo, s47
	s_cbranch_vccz .LBB127_814
; %bb.809:
	v_cmp_eq_u16_e32 vcc_lo, 44, v6
	s_cbranch_vccz .LBB127_813
; %bb.810:
	global_load_u8 v5, v[2:3], off
	s_mov_b32 s3, 0
	s_mov_b32 s2, -1
	s_waitcnt vmcnt(0)
	v_lshlrev_b32_e32 v7, 23, v5
	v_cmp_ne_u32_e32 vcc_lo, 0xff, v5
	s_delay_alu instid0(VALU_DEP_2) | instskip(SKIP_1) | instid1(VALU_DEP_2)
	v_cndmask_b32_e32 v7, 0x7f800001, v7, vcc_lo
	v_cmp_ne_u32_e32 vcc_lo, 0, v5
	v_cndmask_b32_e32 v5, 0x400000, v7, vcc_lo
	s_branch .LBB127_814
.LBB127_811:
	s_or_saveexec_b32 s44, s44
                                        ; implicit-def: $sgpr46
	s_delay_alu instid0(SALU_CYCLE_1)
	s_xor_b32 exec_lo, exec_lo, s44
	s_cbranch_execz .LBB127_756
.LBB127_812:
	v_add_f32_e64 v3, 0x46000000, |v2|
	s_and_not1_b32 s43, s43, exec_lo
	s_mov_b32 s46, 0
	s_delay_alu instid0(VALU_DEP_1) | instskip(NEXT) | instid1(VALU_DEP_1)
	v_and_b32_e32 v3, 0xff, v3
	v_cmp_ne_u32_e32 vcc_lo, 0, v3
	s_and_b32 s47, vcc_lo, exec_lo
	s_delay_alu instid0(SALU_CYCLE_1)
	s_or_b32 s43, s43, s47
	s_or_b32 exec_lo, exec_lo, s44
	v_mov_b32_e32 v5, s46
	s_and_saveexec_b32 s44, s43
	s_cbranch_execnz .LBB127_757
	s_branch .LBB127_758
.LBB127_813:
	s_mov_b32 s3, -1
                                        ; implicit-def: $vgpr5
.LBB127_814:
	s_mov_b32 s47, 0
.LBB127_815:
	s_delay_alu instid0(SALU_CYCLE_1)
	s_and_b32 vcc_lo, exec_lo, s47
	s_cbranch_vccz .LBB127_819
; %bb.816:
	v_cmp_eq_u16_e32 vcc_lo, 29, v6
	s_cbranch_vccz .LBB127_818
; %bb.817:
	global_load_b64 v[7:8], v[2:3], off
	s_mov_b32 s2, -1
	s_mov_b32 s3, 0
	s_mov_b32 s47, 0
	s_waitcnt vmcnt(0)
	v_clz_i32_u32_e32 v5, v8
	s_delay_alu instid0(VALU_DEP_1) | instskip(NEXT) | instid1(VALU_DEP_1)
	v_min_u32_e32 v5, 32, v5
	v_lshlrev_b64 v[7:8], v5, v[7:8]
	v_sub_nc_u32_e32 v5, 32, v5
	s_delay_alu instid0(VALU_DEP_2) | instskip(NEXT) | instid1(VALU_DEP_1)
	v_min_u32_e32 v7, 1, v7
	v_or_b32_e32 v7, v8, v7
	s_delay_alu instid0(VALU_DEP_1) | instskip(NEXT) | instid1(VALU_DEP_1)
	v_cvt_f32_u32_e32 v7, v7
	v_ldexp_f32 v5, v7, v5
	s_branch .LBB127_820
.LBB127_818:
	s_mov_b32 s3, -1
                                        ; implicit-def: $vgpr5
.LBB127_819:
	s_mov_b32 s47, 0
.LBB127_820:
	s_delay_alu instid0(SALU_CYCLE_1)
	s_and_b32 vcc_lo, exec_lo, s47
	s_cbranch_vccz .LBB127_838
; %bb.821:
	v_cmp_gt_i16_e32 vcc_lo, 27, v6
	s_cbranch_vccnz .LBB127_824
; %bb.822:
	v_cmp_lt_i16_e32 vcc_lo, 27, v6
	s_cbranch_vccz .LBB127_825
; %bb.823:
	global_load_b32 v5, v[2:3], off
	s_mov_b32 s2, 0
	s_waitcnt vmcnt(0)
	v_cvt_f32_u32_e32 v5, v5
	s_branch .LBB127_826
.LBB127_824:
	s_mov_b32 s2, -1
                                        ; implicit-def: $vgpr5
	s_branch .LBB127_829
.LBB127_825:
	s_mov_b32 s2, -1
                                        ; implicit-def: $vgpr5
.LBB127_826:
	s_delay_alu instid0(SALU_CYCLE_1)
	s_and_not1_b32 vcc_lo, exec_lo, s2
	s_cbranch_vccnz .LBB127_828
; %bb.827:
	global_load_u16 v5, v[2:3], off
	s_waitcnt vmcnt(0)
	v_cvt_f32_u32_e32 v5, v5
.LBB127_828:
	s_mov_b32 s2, 0
.LBB127_829:
	s_delay_alu instid0(SALU_CYCLE_1)
	s_and_not1_b32 vcc_lo, exec_lo, s2
	s_cbranch_vccnz .LBB127_837
; %bb.830:
	global_load_u8 v7, v[2:3], off
	s_mov_b32 s2, 0
	s_mov_b32 s48, exec_lo
                                        ; implicit-def: $sgpr47
	s_waitcnt vmcnt(0)
	v_cmpx_lt_i16_e32 0x7f, v7
	s_xor_b32 s48, exec_lo, s48
	s_cbranch_execz .LBB127_851
; %bb.831:
	s_mov_b32 s2, -1
	s_mov_b32 s49, exec_lo
                                        ; implicit-def: $sgpr47
	v_cmpx_eq_u16_e32 0x80, v7
; %bb.832:
	s_mov_b32 s47, 0x7f800001
	s_xor_b32 s2, exec_lo, -1
; %bb.833:
	s_or_b32 exec_lo, exec_lo, s49
	s_delay_alu instid0(SALU_CYCLE_1)
	s_and_b32 s2, s2, exec_lo
	s_or_saveexec_b32 s48, s48
	v_mov_b32_e32 v5, s47
	s_xor_b32 exec_lo, exec_lo, s48
	s_cbranch_execnz .LBB127_852
.LBB127_834:
	s_or_b32 exec_lo, exec_lo, s48
	s_and_saveexec_b32 s47, s2
	s_cbranch_execz .LBB127_836
.LBB127_835:
	v_and_b32_e32 v5, 0xffff, v7
	v_lshlrev_b32_e32 v7, 24, v7
	s_delay_alu instid0(VALU_DEP_2) | instskip(NEXT) | instid1(VALU_DEP_2)
	v_and_b32_e32 v8, 7, v5
	v_and_b32_e32 v7, 0x80000000, v7
	s_delay_alu instid0(VALU_DEP_2) | instskip(NEXT) | instid1(VALU_DEP_1)
	v_clz_i32_u32_e32 v9, v8
	v_min_u32_e32 v9, 32, v9
	s_delay_alu instid0(VALU_DEP_1) | instskip(SKIP_1) | instid1(VALU_DEP_2)
	v_subrev_nc_u32_e32 v10, 28, v9
	v_sub_nc_u32_e32 v9, 29, v9
	v_lshlrev_b32_e32 v10, v10, v5
	v_bfe_u32 v5, v5, 3, 4
	s_delay_alu instid0(VALU_DEP_1) | instskip(NEXT) | instid1(VALU_DEP_3)
	v_cmp_eq_u32_e32 vcc_lo, 0, v5
	v_dual_cndmask_b32 v5, v5, v9 :: v_dual_and_b32 v10, 7, v10
	s_delay_alu instid0(VALU_DEP_1) | instskip(NEXT) | instid1(VALU_DEP_2)
	v_cndmask_b32_e32 v8, v8, v10, vcc_lo
	v_lshl_add_u32 v5, v5, 23, 0x3b800000
	s_delay_alu instid0(VALU_DEP_2) | instskip(NEXT) | instid1(VALU_DEP_1)
	v_lshlrev_b32_e32 v8, 20, v8
	v_or3_b32 v5, v7, v5, v8
.LBB127_836:
	s_or_b32 exec_lo, exec_lo, s47
.LBB127_837:
	s_mov_b32 s2, -1
.LBB127_838:
	s_mov_b32 s47, 0
.LBB127_839:
	s_delay_alu instid0(SALU_CYCLE_1)
	s_and_b32 vcc_lo, exec_lo, s47
	s_cbranch_vccz .LBB127_874
; %bb.840:
	v_cmp_lt_i16_e32 vcc_lo, 22, v6
	s_cbranch_vccz .LBB127_850
; %bb.841:
	v_cmp_gt_i16_e32 vcc_lo, 24, v6
	s_cbranch_vccnz .LBB127_853
; %bb.842:
	v_cmp_lt_i16_e32 vcc_lo, 24, v6
	s_cbranch_vccz .LBB127_854
; %bb.843:
	global_load_u8 v7, v[2:3], off
	s_mov_b32 s2, 0
	s_mov_b32 s48, exec_lo
                                        ; implicit-def: $sgpr47
	s_waitcnt vmcnt(0)
	v_cmpx_lt_i16_e32 0x7f, v7
	s_xor_b32 s48, exec_lo, s48
	s_cbranch_execz .LBB127_866
; %bb.844:
	s_mov_b32 s2, -1
	s_mov_b32 s49, exec_lo
                                        ; implicit-def: $sgpr47
	v_cmpx_eq_u16_e32 0x80, v7
; %bb.845:
	s_mov_b32 s47, 0x7f800001
	s_xor_b32 s2, exec_lo, -1
; %bb.846:
	s_or_b32 exec_lo, exec_lo, s49
	s_delay_alu instid0(SALU_CYCLE_1)
	s_and_b32 s2, s2, exec_lo
	s_or_saveexec_b32 s48, s48
	v_mov_b32_e32 v5, s47
	s_xor_b32 exec_lo, exec_lo, s48
	s_cbranch_execnz .LBB127_867
.LBB127_847:
	s_or_b32 exec_lo, exec_lo, s48
	s_and_saveexec_b32 s47, s2
	s_cbranch_execz .LBB127_849
.LBB127_848:
	v_and_b32_e32 v5, 0xffff, v7
	v_lshlrev_b32_e32 v7, 24, v7
	s_delay_alu instid0(VALU_DEP_2) | instskip(NEXT) | instid1(VALU_DEP_2)
	v_and_b32_e32 v8, 3, v5
	v_and_b32_e32 v7, 0x80000000, v7
	s_delay_alu instid0(VALU_DEP_2) | instskip(NEXT) | instid1(VALU_DEP_1)
	v_clz_i32_u32_e32 v9, v8
	v_min_u32_e32 v9, 32, v9
	s_delay_alu instid0(VALU_DEP_1) | instskip(SKIP_1) | instid1(VALU_DEP_2)
	v_subrev_nc_u32_e32 v10, 29, v9
	v_sub_nc_u32_e32 v9, 30, v9
	v_lshlrev_b32_e32 v10, v10, v5
	v_bfe_u32 v5, v5, 2, 5
	s_delay_alu instid0(VALU_DEP_1) | instskip(NEXT) | instid1(VALU_DEP_3)
	v_cmp_eq_u32_e32 vcc_lo, 0, v5
	v_dual_cndmask_b32 v5, v5, v9 :: v_dual_and_b32 v10, 3, v10
	s_delay_alu instid0(VALU_DEP_1) | instskip(NEXT) | instid1(VALU_DEP_2)
	v_cndmask_b32_e32 v8, v8, v10, vcc_lo
	v_lshl_add_u32 v5, v5, 23, 0x37800000
	s_delay_alu instid0(VALU_DEP_2) | instskip(NEXT) | instid1(VALU_DEP_1)
	v_lshlrev_b32_e32 v8, 21, v8
	v_or3_b32 v5, v7, v5, v8
.LBB127_849:
	s_or_b32 exec_lo, exec_lo, s47
	s_mov_b32 s2, 0
	s_branch .LBB127_855
.LBB127_850:
	s_mov_b32 s47, -1
                                        ; implicit-def: $vgpr5
	s_branch .LBB127_861
.LBB127_851:
	s_or_saveexec_b32 s48, s48
	v_mov_b32_e32 v5, s47
	s_xor_b32 exec_lo, exec_lo, s48
	s_cbranch_execz .LBB127_834
.LBB127_852:
	v_cmp_ne_u16_e32 vcc_lo, 0, v7
	v_mov_b32_e32 v5, 0
	s_and_not1_b32 s2, s2, exec_lo
	s_and_b32 s47, vcc_lo, exec_lo
	s_delay_alu instid0(SALU_CYCLE_1)
	s_or_b32 s2, s2, s47
	s_or_b32 exec_lo, exec_lo, s48
	s_and_saveexec_b32 s47, s2
	s_cbranch_execnz .LBB127_835
	s_branch .LBB127_836
.LBB127_853:
	s_mov_b32 s2, -1
                                        ; implicit-def: $vgpr5
	s_branch .LBB127_858
.LBB127_854:
	s_mov_b32 s2, -1
                                        ; implicit-def: $vgpr5
.LBB127_855:
	s_delay_alu instid0(SALU_CYCLE_1)
	s_and_b32 vcc_lo, exec_lo, s2
	s_cbranch_vccz .LBB127_857
; %bb.856:
	global_load_u8 v5, v[2:3], off
	s_waitcnt vmcnt(0)
	v_lshlrev_b32_e32 v5, 24, v5
	s_delay_alu instid0(VALU_DEP_1) | instskip(NEXT) | instid1(VALU_DEP_1)
	v_and_b32_e32 v7, 0x7f000000, v5
	v_clz_i32_u32_e32 v8, v7
	v_cmp_ne_u32_e32 vcc_lo, 0, v7
	v_add_nc_u32_e32 v10, 0x1000000, v7
	s_delay_alu instid0(VALU_DEP_3) | instskip(NEXT) | instid1(VALU_DEP_1)
	v_min_u32_e32 v8, 32, v8
	v_sub_nc_u32_e64 v8, v8, 4 clamp
	s_delay_alu instid0(VALU_DEP_1) | instskip(SKIP_1) | instid1(VALU_DEP_2)
	v_lshlrev_b32_e32 v9, v8, v7
	v_lshlrev_b32_e32 v8, 23, v8
	v_lshrrev_b32_e32 v9, 4, v9
	s_delay_alu instid0(VALU_DEP_1) | instskip(SKIP_1) | instid1(VALU_DEP_2)
	v_sub_nc_u32_e32 v8, v9, v8
	v_ashrrev_i32_e32 v9, 8, v10
	v_add_nc_u32_e32 v8, 0x3c000000, v8
	s_delay_alu instid0(VALU_DEP_1) | instskip(NEXT) | instid1(VALU_DEP_1)
	v_and_or_b32 v8, 0x7f800000, v9, v8
	v_cndmask_b32_e32 v7, 0, v8, vcc_lo
	s_delay_alu instid0(VALU_DEP_1)
	v_and_or_b32 v5, 0x80000000, v5, v7
.LBB127_857:
	s_mov_b32 s2, 0
.LBB127_858:
	s_delay_alu instid0(SALU_CYCLE_1)
	s_and_not1_b32 vcc_lo, exec_lo, s2
	s_cbranch_vccnz .LBB127_860
; %bb.859:
	global_load_u8 v5, v[2:3], off
	s_waitcnt vmcnt(0)
	v_lshlrev_b32_e32 v7, 25, v5
	v_lshlrev_b16 v5, 8, v5
	s_delay_alu instid0(VALU_DEP_2) | instskip(NEXT) | instid1(VALU_DEP_2)
	v_lshrrev_b32_e32 v8, 4, v7
	v_and_or_b32 v9, 0x7f00, v5, 0.5
	v_bfe_i32 v5, v5, 0, 16
	s_delay_alu instid0(VALU_DEP_3) | instskip(NEXT) | instid1(VALU_DEP_1)
	v_or_b32_e32 v8, 0x70000000, v8
	v_dual_add_f32 v9, -0.5, v9 :: v_dual_mul_f32 v8, 0x7800000, v8
	v_cmp_gt_u32_e32 vcc_lo, 0x8000000, v7
	s_delay_alu instid0(VALU_DEP_2) | instskip(NEXT) | instid1(VALU_DEP_1)
	v_cndmask_b32_e32 v7, v8, v9, vcc_lo
	v_and_or_b32 v5, 0x80000000, v5, v7
.LBB127_860:
	s_mov_b32 s47, 0
	s_mov_b32 s2, -1
.LBB127_861:
	s_and_not1_b32 vcc_lo, exec_lo, s47
	s_cbranch_vccnz .LBB127_874
; %bb.862:
	v_cmp_lt_i16_e32 vcc_lo, 14, v6
	s_cbranch_vccz .LBB127_865
; %bb.863:
	v_cmp_eq_u16_e32 vcc_lo, 15, v6
	s_cbranch_vccz .LBB127_868
; %bb.864:
	global_load_u16 v5, v[2:3], off
	s_mov_b32 s2, -1
	s_mov_b32 s3, 0
	s_waitcnt vmcnt(0)
	v_lshlrev_b32_e32 v5, 16, v5
	s_branch .LBB127_869
.LBB127_865:
	s_mov_b32 s47, -1
                                        ; implicit-def: $vgpr5
	s_branch .LBB127_870
.LBB127_866:
	s_or_saveexec_b32 s48, s48
	v_mov_b32_e32 v5, s47
	s_xor_b32 exec_lo, exec_lo, s48
	s_cbranch_execz .LBB127_847
.LBB127_867:
	v_cmp_ne_u16_e32 vcc_lo, 0, v7
	v_mov_b32_e32 v5, 0
	s_and_not1_b32 s2, s2, exec_lo
	s_and_b32 s47, vcc_lo, exec_lo
	s_delay_alu instid0(SALU_CYCLE_1)
	s_or_b32 s2, s2, s47
	s_or_b32 exec_lo, exec_lo, s48
	s_and_saveexec_b32 s47, s2
	s_cbranch_execnz .LBB127_848
	s_branch .LBB127_849
.LBB127_868:
	s_mov_b32 s3, -1
                                        ; implicit-def: $vgpr5
.LBB127_869:
	s_mov_b32 s47, 0
.LBB127_870:
	s_delay_alu instid0(SALU_CYCLE_1)
	s_and_b32 vcc_lo, exec_lo, s47
	s_cbranch_vccz .LBB127_874
; %bb.871:
	v_cmp_eq_u16_e32 vcc_lo, 11, v6
	s_cbranch_vccz .LBB127_873
; %bb.872:
	global_load_u8 v5, v[2:3], off
	s_mov_b32 s3, 0
	s_mov_b32 s2, -1
	s_waitcnt vmcnt(0)
	v_cmp_ne_u16_e32 vcc_lo, 0, v5
	v_cndmask_b32_e64 v5, 0, 1.0, vcc_lo
	s_branch .LBB127_874
.LBB127_873:
	s_mov_b32 s3, -1
                                        ; implicit-def: $vgpr5
.LBB127_874:
	s_mov_b32 s47, 0
.LBB127_875:
	s_delay_alu instid0(SALU_CYCLE_1)
	s_and_b32 vcc_lo, exec_lo, s47
	s_cbranch_vccz .LBB127_924
; %bb.876:
	v_cmp_gt_i16_e32 vcc_lo, 5, v6
	s_cbranch_vccnz .LBB127_881
; %bb.877:
	v_cmp_gt_i16_e32 vcc_lo, 8, v6
	s_cbranch_vccnz .LBB127_882
	;; [unrolled: 3-line block ×3, first 2 shown]
; %bb.879:
	v_cmp_lt_i16_e32 vcc_lo, 9, v6
	s_cbranch_vccz .LBB127_884
; %bb.880:
	global_load_b64 v[7:8], v[2:3], off
	s_mov_b32 s2, 0
	s_waitcnt vmcnt(0)
	v_cvt_f32_f64_e32 v5, v[7:8]
	s_branch .LBB127_885
.LBB127_881:
	s_mov_b32 s2, -1
                                        ; implicit-def: $vgpr5
	s_branch .LBB127_903
.LBB127_882:
	s_mov_b32 s2, -1
                                        ; implicit-def: $vgpr5
	s_branch .LBB127_891
.LBB127_883:
	s_mov_b32 s2, -1
                                        ; implicit-def: $vgpr5
	s_branch .LBB127_888
.LBB127_884:
	s_mov_b32 s2, -1
                                        ; implicit-def: $vgpr5
.LBB127_885:
	s_delay_alu instid0(SALU_CYCLE_1)
	s_and_not1_b32 vcc_lo, exec_lo, s2
	s_cbranch_vccnz .LBB127_887
; %bb.886:
	global_load_b32 v5, v[2:3], off
.LBB127_887:
	s_mov_b32 s2, 0
.LBB127_888:
	s_delay_alu instid0(SALU_CYCLE_1)
	s_and_not1_b32 vcc_lo, exec_lo, s2
	s_cbranch_vccnz .LBB127_890
; %bb.889:
	global_load_b32 v5, v[2:3], off
	s_waitcnt vmcnt(0)
	v_cvt_f32_f16_e32 v5, v5
.LBB127_890:
	s_mov_b32 s2, 0
.LBB127_891:
	s_delay_alu instid0(SALU_CYCLE_1)
	s_and_not1_b32 vcc_lo, exec_lo, s2
	s_cbranch_vccnz .LBB127_902
; %bb.892:
	v_cmp_gt_i16_e32 vcc_lo, 6, v6
	s_cbranch_vccnz .LBB127_895
; %bb.893:
	v_cmp_lt_i16_e32 vcc_lo, 6, v6
	s_cbranch_vccz .LBB127_896
; %bb.894:
	global_load_b64 v[7:8], v[2:3], off
	s_mov_b32 s2, 0
	s_waitcnt vmcnt(0)
	v_cvt_f32_f64_e32 v5, v[7:8]
	s_branch .LBB127_897
.LBB127_895:
	s_mov_b32 s2, -1
                                        ; implicit-def: $vgpr5
	s_branch .LBB127_900
.LBB127_896:
	s_mov_b32 s2, -1
                                        ; implicit-def: $vgpr5
.LBB127_897:
	s_delay_alu instid0(SALU_CYCLE_1)
	s_and_not1_b32 vcc_lo, exec_lo, s2
	s_cbranch_vccnz .LBB127_899
; %bb.898:
	global_load_b32 v5, v[2:3], off
.LBB127_899:
	s_mov_b32 s2, 0
.LBB127_900:
	s_delay_alu instid0(SALU_CYCLE_1)
	s_and_not1_b32 vcc_lo, exec_lo, s2
	s_cbranch_vccnz .LBB127_902
; %bb.901:
	global_load_u16 v5, v[2:3], off
	s_waitcnt vmcnt(0)
	v_cvt_f32_f16_e32 v5, v5
.LBB127_902:
	s_mov_b32 s2, 0
.LBB127_903:
	s_delay_alu instid0(SALU_CYCLE_1)
	s_and_not1_b32 vcc_lo, exec_lo, s2
	s_cbranch_vccnz .LBB127_923
; %bb.904:
	v_cmp_gt_i16_e32 vcc_lo, 2, v6
	s_cbranch_vccnz .LBB127_908
; %bb.905:
	v_cmp_gt_i16_e32 vcc_lo, 3, v6
	s_cbranch_vccnz .LBB127_909
; %bb.906:
	v_cmp_lt_i16_e32 vcc_lo, 3, v6
	s_cbranch_vccz .LBB127_910
; %bb.907:
	global_load_b64 v[7:8], v[2:3], off
	s_mov_b32 s2, 0
	s_waitcnt vmcnt(0)
	v_xor_b32_e32 v5, v7, v8
	v_cls_i32_e32 v9, v8
	s_delay_alu instid0(VALU_DEP_2) | instskip(NEXT) | instid1(VALU_DEP_2)
	v_ashrrev_i32_e32 v5, 31, v5
	v_add_nc_u32_e32 v9, -1, v9
	s_delay_alu instid0(VALU_DEP_2) | instskip(NEXT) | instid1(VALU_DEP_1)
	v_add_nc_u32_e32 v5, 32, v5
	v_min_u32_e32 v5, v9, v5
	s_delay_alu instid0(VALU_DEP_1) | instskip(SKIP_1) | instid1(VALU_DEP_2)
	v_lshlrev_b64 v[7:8], v5, v[7:8]
	v_sub_nc_u32_e32 v5, 32, v5
	v_min_u32_e32 v7, 1, v7
	s_delay_alu instid0(VALU_DEP_1) | instskip(NEXT) | instid1(VALU_DEP_1)
	v_or_b32_e32 v7, v8, v7
	v_cvt_f32_i32_e32 v7, v7
	s_delay_alu instid0(VALU_DEP_1)
	v_ldexp_f32 v5, v7, v5
	s_branch .LBB127_911
.LBB127_908:
	s_mov_b32 s2, -1
                                        ; implicit-def: $vgpr5
	s_branch .LBB127_917
.LBB127_909:
	s_mov_b32 s2, -1
                                        ; implicit-def: $vgpr5
	s_branch .LBB127_914
.LBB127_910:
	s_mov_b32 s2, -1
                                        ; implicit-def: $vgpr5
.LBB127_911:
	s_delay_alu instid0(SALU_CYCLE_1)
	s_and_not1_b32 vcc_lo, exec_lo, s2
	s_cbranch_vccnz .LBB127_913
; %bb.912:
	global_load_b32 v5, v[2:3], off
	s_waitcnt vmcnt(0)
	v_cvt_f32_i32_e32 v5, v5
.LBB127_913:
	s_mov_b32 s2, 0
.LBB127_914:
	s_delay_alu instid0(SALU_CYCLE_1)
	s_and_not1_b32 vcc_lo, exec_lo, s2
	s_cbranch_vccnz .LBB127_916
; %bb.915:
	global_load_i16 v5, v[2:3], off
	s_waitcnt vmcnt(0)
	v_cvt_f32_i32_e32 v5, v5
.LBB127_916:
	s_mov_b32 s2, 0
.LBB127_917:
	s_delay_alu instid0(SALU_CYCLE_1)
	s_and_not1_b32 vcc_lo, exec_lo, s2
	s_cbranch_vccnz .LBB127_923
; %bb.918:
	v_cmp_lt_i16_e32 vcc_lo, 0, v6
	s_mov_b32 s2, 0
	s_cbranch_vccz .LBB127_920
; %bb.919:
	global_load_i8 v5, v[2:3], off
	s_waitcnt vmcnt(0)
	v_cvt_f32_i32_e32 v5, v5
	s_branch .LBB127_921
.LBB127_920:
	s_mov_b32 s2, -1
                                        ; implicit-def: $vgpr5
.LBB127_921:
	s_delay_alu instid0(SALU_CYCLE_1)
	s_and_not1_b32 vcc_lo, exec_lo, s2
	s_cbranch_vccnz .LBB127_923
; %bb.922:
	global_load_u8 v2, v[2:3], off
	s_waitcnt vmcnt(0)
	v_cvt_f32_ubyte0_e32 v5, v2
.LBB127_923:
	s_mov_b32 s2, -1
.LBB127_924:
	s_delay_alu instid0(SALU_CYCLE_1)
	s_and_not1_b32 vcc_lo, exec_lo, s2
	s_cbranch_vccnz .LBB127_932
; %bb.925:
	v_and_b32_e64 v3, 0xff, s31
	v_add_co_u32 v1, s2, s8, v1
	s_delay_alu instid0(VALU_DEP_1) | instskip(NEXT) | instid1(VALU_DEP_3)
	v_add_co_ci_u32_e64 v2, null, s9, 0, s2
	v_cmp_gt_i16_e32 vcc_lo, 11, v3
	s_mov_b32 s2, 0
	s_cbranch_vccnz .LBB127_933
; %bb.926:
	v_cmp_lt_i16_e32 vcc_lo, 25, v3
	s_cbranch_vccz .LBB127_934
; %bb.927:
	v_cmp_lt_i16_e32 vcc_lo, 28, v3
	s_cbranch_vccz .LBB127_935
	;; [unrolled: 3-line block ×4, first 2 shown]
; %bb.930:
	v_cmp_eq_u16_e32 vcc_lo, 46, v3
	s_mov_b32 s49, 0
	s_cbranch_vccz .LBB127_940
; %bb.931:
	global_load_b32 v6, v[1:2], off
	s_mov_b32 s47, 0
	s_mov_b32 s2, -1
	s_waitcnt vmcnt(0)
	v_and_b32_e32 v6, 0x7fff7fff, v6
	s_delay_alu instid0(VALU_DEP_1)
	v_cmp_ne_u32_e32 vcc_lo, 0, v6
	s_and_b32 s48, vcc_lo, exec_lo
	s_branch .LBB127_942
.LBB127_932:
	s_mov_b32 s50, 0
	s_mov_b32 s2, s43
	;; [unrolled: 1-line block ×3, first 2 shown]
	s_branch .LBB127_1103
.LBB127_933:
	s_mov_b32 s49, -1
	s_mov_b32 s47, s44
                                        ; implicit-def: $sgpr48
	s_branch .LBB127_1005
.LBB127_934:
	s_mov_b32 s49, -1
	s_mov_b32 s47, s44
                                        ; implicit-def: $sgpr48
	s_branch .LBB127_969
.LBB127_935:
	s_mov_b32 s49, -1
	s_mov_b32 s47, s44
                                        ; implicit-def: $sgpr48
	s_branch .LBB127_950
.LBB127_936:
	s_mov_b32 s49, -1
	s_mov_b32 s47, s44
                                        ; implicit-def: $sgpr48
	s_branch .LBB127_945
.LBB127_937:
	s_mov_b32 s49, -1
	s_mov_b32 s47, s44
	s_branch .LBB127_941
.LBB127_938:
	s_or_saveexec_b32 s44, s44
                                        ; implicit-def: $sgpr46
	s_delay_alu instid0(SALU_CYCLE_1)
	s_xor_b32 exec_lo, exec_lo, s44
	s_cbranch_execz .LBB127_769
.LBB127_939:
	v_add_f32_e64 v3, 0x42800000, |v2|
	s_and_not1_b32 s43, s43, exec_lo
	s_mov_b32 s46, 0
	s_delay_alu instid0(VALU_DEP_1) | instskip(NEXT) | instid1(VALU_DEP_1)
	v_and_b32_e32 v3, 0xff, v3
	v_cmp_ne_u32_e32 vcc_lo, 0, v3
	s_and_b32 s47, vcc_lo, exec_lo
	s_delay_alu instid0(SALU_CYCLE_1)
	s_or_b32 s43, s43, s47
	s_or_b32 exec_lo, exec_lo, s44
	v_mov_b32_e32 v5, s46
	s_and_saveexec_b32 s44, s43
	s_cbranch_execnz .LBB127_770
	s_branch .LBB127_771
.LBB127_940:
	s_mov_b32 s47, -1
.LBB127_941:
                                        ; implicit-def: $sgpr48
.LBB127_942:
	s_and_b32 vcc_lo, exec_lo, s49
	s_cbranch_vccz .LBB127_944
; %bb.943:
	v_cmp_eq_u16_e64 s2, 44, v3
	s_or_b32 s48, s48, exec_lo
	s_or_b32 s47, s47, exec_lo
.LBB127_944:
	s_mov_b32 s49, 0
.LBB127_945:
	s_delay_alu instid0(SALU_CYCLE_1)
	s_and_b32 vcc_lo, exec_lo, s49
	s_cbranch_vccz .LBB127_949
; %bb.946:
	v_cmp_eq_u16_e32 vcc_lo, 29, v3
	s_cbranch_vccz .LBB127_948
; %bb.947:
	global_load_b64 v[6:7], v[1:2], off
	s_mov_b32 s2, -1
	s_mov_b32 s47, 0
	s_mov_b32 s49, 0
	s_waitcnt vmcnt(0)
	v_cmp_ne_u64_e32 vcc_lo, 0, v[6:7]
	s_and_b32 s48, vcc_lo, exec_lo
	s_branch .LBB127_950
.LBB127_948:
	s_mov_b32 s47, -1
                                        ; implicit-def: $sgpr48
.LBB127_949:
	s_mov_b32 s49, 0
.LBB127_950:
	s_delay_alu instid0(SALU_CYCLE_1)
	s_and_b32 vcc_lo, exec_lo, s49
	s_cbranch_vccz .LBB127_968
; %bb.951:
	v_cmp_gt_i16_e32 vcc_lo, 27, v3
	s_cbranch_vccnz .LBB127_954
; %bb.952:
	v_cmp_lt_i16_e32 vcc_lo, 27, v3
	s_cbranch_vccz .LBB127_955
; %bb.953:
	global_load_b32 v6, v[1:2], off
	s_mov_b32 s2, 0
	s_waitcnt vmcnt(0)
	v_cmp_ne_u32_e32 vcc_lo, 0, v6
	s_and_b32 s48, vcc_lo, exec_lo
	s_branch .LBB127_956
.LBB127_954:
	s_mov_b32 s2, -1
                                        ; implicit-def: $sgpr48
	s_branch .LBB127_959
.LBB127_955:
	s_mov_b32 s2, -1
                                        ; implicit-def: $sgpr48
.LBB127_956:
	s_delay_alu instid0(SALU_CYCLE_1)
	s_and_not1_b32 vcc_lo, exec_lo, s2
	s_cbranch_vccnz .LBB127_958
; %bb.957:
	global_load_u16 v6, v[1:2], off
	s_and_not1_b32 s2, s48, exec_lo
	s_waitcnt vmcnt(0)
	v_cmp_ne_u16_e32 vcc_lo, 0, v6
	s_and_b32 s48, vcc_lo, exec_lo
	s_delay_alu instid0(SALU_CYCLE_1)
	s_or_b32 s48, s2, s48
.LBB127_958:
	s_mov_b32 s2, 0
.LBB127_959:
	s_delay_alu instid0(SALU_CYCLE_1)
	s_and_not1_b32 vcc_lo, exec_lo, s2
	s_cbranch_vccnz .LBB127_967
; %bb.960:
	global_load_u8 v6, v[1:2], off
	s_mov_b32 s2, 0
	s_mov_b32 s49, exec_lo
                                        ; implicit-def: $sgpr48
	s_waitcnt vmcnt(0)
	v_cmpx_lt_i16_e32 0x7f, v6
	s_xor_b32 s49, exec_lo, s49
	s_cbranch_execz .LBB127_981
; %bb.961:
	s_mov_b32 s2, -1
	s_mov_b32 s50, exec_lo
                                        ; implicit-def: $sgpr48
	v_cmpx_eq_u16_e32 0x80, v6
; %bb.962:
	s_mov_b32 s48, -1
	s_xor_b32 s2, exec_lo, -1
; %bb.963:
	s_or_b32 exec_lo, exec_lo, s50
	s_delay_alu instid0(SALU_CYCLE_1)
	s_and_b32 s2, s2, exec_lo
	s_and_not1_saveexec_b32 s49, s49
	s_cbranch_execnz .LBB127_982
.LBB127_964:
	s_or_b32 exec_lo, exec_lo, s49
	s_and_saveexec_b32 s49, s2
	s_cbranch_execz .LBB127_966
.LBB127_965:
	v_and_b32_e32 v6, 0xffff, v6
	s_and_not1_b32 s2, s48, exec_lo
	s_delay_alu instid0(VALU_DEP_1) | instskip(NEXT) | instid1(VALU_DEP_1)
	v_and_b32_e32 v7, 7, v6
	v_clz_i32_u32_e32 v8, v7
	s_delay_alu instid0(VALU_DEP_1) | instskip(NEXT) | instid1(VALU_DEP_1)
	v_min_u32_e32 v8, 32, v8
	v_subrev_nc_u32_e32 v9, 28, v8
	v_sub_nc_u32_e32 v8, 29, v8
	s_delay_alu instid0(VALU_DEP_2) | instskip(SKIP_1) | instid1(VALU_DEP_2)
	v_lshlrev_b32_e32 v9, v9, v6
	v_bfe_u32 v6, v6, 3, 4
	v_and_b32_e32 v9, 7, v9
	s_delay_alu instid0(VALU_DEP_2) | instskip(NEXT) | instid1(VALU_DEP_2)
	v_cmp_eq_u32_e32 vcc_lo, 0, v6
	v_dual_cndmask_b32 v6, v6, v8 :: v_dual_cndmask_b32 v7, v7, v9
	s_delay_alu instid0(VALU_DEP_1) | instskip(NEXT) | instid1(VALU_DEP_2)
	v_lshl_add_u32 v6, v6, 23, 0x3b800000
	v_lshlrev_b32_e32 v7, 20, v7
	s_delay_alu instid0(VALU_DEP_1) | instskip(NEXT) | instid1(VALU_DEP_1)
	v_and_or_b32 v6, 0x7f800000, v6, v7
	v_cmp_ne_u32_e32 vcc_lo, 0, v6
	s_and_b32 s48, vcc_lo, exec_lo
	s_delay_alu instid0(SALU_CYCLE_1)
	s_or_b32 s48, s2, s48
.LBB127_966:
	s_or_b32 exec_lo, exec_lo, s49
.LBB127_967:
	s_mov_b32 s2, -1
.LBB127_968:
	s_mov_b32 s49, 0
.LBB127_969:
	s_delay_alu instid0(SALU_CYCLE_1)
	s_and_b32 vcc_lo, exec_lo, s49
	s_cbranch_vccz .LBB127_1004
; %bb.970:
	v_cmp_lt_i16_e32 vcc_lo, 22, v3
	s_cbranch_vccz .LBB127_980
; %bb.971:
	v_cmp_gt_i16_e32 vcc_lo, 24, v3
	s_cbranch_vccnz .LBB127_983
; %bb.972:
	v_cmp_lt_i16_e32 vcc_lo, 24, v3
	s_cbranch_vccz .LBB127_984
; %bb.973:
	global_load_u8 v6, v[1:2], off
	s_mov_b32 s2, 0
	s_mov_b32 s49, exec_lo
                                        ; implicit-def: $sgpr48
	s_waitcnt vmcnt(0)
	v_cmpx_lt_i16_e32 0x7f, v6
	s_xor_b32 s49, exec_lo, s49
	s_cbranch_execz .LBB127_996
; %bb.974:
	s_mov_b32 s2, -1
	s_mov_b32 s50, exec_lo
                                        ; implicit-def: $sgpr48
	v_cmpx_eq_u16_e32 0x80, v6
; %bb.975:
	s_mov_b32 s48, -1
	s_xor_b32 s2, exec_lo, -1
; %bb.976:
	s_or_b32 exec_lo, exec_lo, s50
	s_delay_alu instid0(SALU_CYCLE_1)
	s_and_b32 s2, s2, exec_lo
	s_and_not1_saveexec_b32 s49, s49
	s_cbranch_execnz .LBB127_997
.LBB127_977:
	s_or_b32 exec_lo, exec_lo, s49
	s_and_saveexec_b32 s49, s2
	s_cbranch_execz .LBB127_979
.LBB127_978:
	v_and_b32_e32 v6, 0xffff, v6
	s_and_not1_b32 s2, s48, exec_lo
	s_delay_alu instid0(VALU_DEP_1) | instskip(NEXT) | instid1(VALU_DEP_1)
	v_and_b32_e32 v7, 3, v6
	v_clz_i32_u32_e32 v8, v7
	s_delay_alu instid0(VALU_DEP_1) | instskip(NEXT) | instid1(VALU_DEP_1)
	v_min_u32_e32 v8, 32, v8
	v_subrev_nc_u32_e32 v9, 29, v8
	v_sub_nc_u32_e32 v8, 30, v8
	s_delay_alu instid0(VALU_DEP_2) | instskip(SKIP_1) | instid1(VALU_DEP_2)
	v_lshlrev_b32_e32 v9, v9, v6
	v_bfe_u32 v6, v6, 2, 5
	v_and_b32_e32 v9, 3, v9
	s_delay_alu instid0(VALU_DEP_2) | instskip(NEXT) | instid1(VALU_DEP_2)
	v_cmp_eq_u32_e32 vcc_lo, 0, v6
	v_dual_cndmask_b32 v6, v6, v8 :: v_dual_cndmask_b32 v7, v7, v9
	s_delay_alu instid0(VALU_DEP_1) | instskip(NEXT) | instid1(VALU_DEP_2)
	v_lshl_add_u32 v6, v6, 23, 0x37800000
	v_lshlrev_b32_e32 v7, 21, v7
	s_delay_alu instid0(VALU_DEP_1) | instskip(NEXT) | instid1(VALU_DEP_1)
	v_and_or_b32 v6, 0x7f800000, v6, v7
	v_cmp_ne_u32_e32 vcc_lo, 0, v6
	s_and_b32 s48, vcc_lo, exec_lo
	s_delay_alu instid0(SALU_CYCLE_1)
	s_or_b32 s48, s2, s48
.LBB127_979:
	s_or_b32 exec_lo, exec_lo, s49
	s_mov_b32 s2, 0
	s_branch .LBB127_985
.LBB127_980:
	s_mov_b32 s49, -1
                                        ; implicit-def: $sgpr48
	s_branch .LBB127_991
.LBB127_981:
	s_and_not1_saveexec_b32 s49, s49
	s_cbranch_execz .LBB127_964
.LBB127_982:
	v_cmp_ne_u16_e32 vcc_lo, 0, v6
	s_and_not1_b32 s2, s2, exec_lo
	s_and_not1_b32 s48, s48, exec_lo
	s_and_b32 s50, vcc_lo, exec_lo
	s_delay_alu instid0(SALU_CYCLE_1)
	s_or_b32 s2, s2, s50
	s_or_b32 exec_lo, exec_lo, s49
	s_and_saveexec_b32 s49, s2
	s_cbranch_execnz .LBB127_965
	s_branch .LBB127_966
.LBB127_983:
	s_mov_b32 s2, -1
                                        ; implicit-def: $sgpr48
	s_branch .LBB127_988
.LBB127_984:
	s_mov_b32 s2, -1
                                        ; implicit-def: $sgpr48
.LBB127_985:
	s_delay_alu instid0(SALU_CYCLE_1)
	s_and_b32 vcc_lo, exec_lo, s2
	s_cbranch_vccz .LBB127_987
; %bb.986:
	global_load_u8 v6, v[1:2], off
	s_and_not1_b32 s48, s48, exec_lo
	s_waitcnt vmcnt(0)
	v_lshlrev_b32_e32 v6, 24, v6
	s_delay_alu instid0(VALU_DEP_1) | instskip(NEXT) | instid1(VALU_DEP_1)
	v_and_b32_e32 v6, 0x7f000000, v6
	v_clz_i32_u32_e32 v7, v6
	v_add_nc_u32_e32 v9, 0x1000000, v6
	v_cmp_ne_u32_e32 vcc_lo, 0, v6
	s_delay_alu instid0(VALU_DEP_3) | instskip(NEXT) | instid1(VALU_DEP_3)
	v_min_u32_e32 v7, 32, v7
	v_ashrrev_i32_e32 v9, 8, v9
	s_delay_alu instid0(VALU_DEP_2) | instskip(NEXT) | instid1(VALU_DEP_1)
	v_sub_nc_u32_e64 v7, v7, 4 clamp
	v_lshlrev_b32_e32 v8, v7, v6
	v_lshlrev_b32_e32 v7, 23, v7
	s_delay_alu instid0(VALU_DEP_2) | instskip(NEXT) | instid1(VALU_DEP_1)
	v_lshrrev_b32_e32 v8, 4, v8
	v_sub_nc_u32_e32 v7, v8, v7
	v_and_b32_e32 v8, 0x7f800000, v9
	s_delay_alu instid0(VALU_DEP_2) | instskip(NEXT) | instid1(VALU_DEP_1)
	v_add_nc_u32_e32 v7, 0x3c000000, v7
	v_and_or_b32 v7, 0x7ff00000, v7, v8
	s_delay_alu instid0(VALU_DEP_1) | instskip(NEXT) | instid1(VALU_DEP_1)
	v_cmp_ne_u32_e64 s2, 0, v7
	s_and_b32 s2, vcc_lo, s2
	s_delay_alu instid0(SALU_CYCLE_1) | instskip(NEXT) | instid1(SALU_CYCLE_1)
	s_and_b32 s2, s2, exec_lo
	s_or_b32 s48, s48, s2
.LBB127_987:
	s_mov_b32 s2, 0
.LBB127_988:
	s_delay_alu instid0(SALU_CYCLE_1)
	s_and_not1_b32 vcc_lo, exec_lo, s2
	s_cbranch_vccnz .LBB127_990
; %bb.989:
	global_load_u8 v6, v[1:2], off
	s_and_not1_b32 s2, s48, exec_lo
	s_waitcnt vmcnt(0)
	v_lshlrev_b32_e32 v7, 25, v6
	v_lshlrev_b32_e32 v6, 8, v6
	s_delay_alu instid0(VALU_DEP_2) | instskip(NEXT) | instid1(VALU_DEP_2)
	v_lshrrev_b32_e32 v8, 4, v7
	v_and_or_b32 v6, 0x7f00, v6, 0.5
	s_delay_alu instid0(VALU_DEP_2) | instskip(NEXT) | instid1(VALU_DEP_2)
	v_or_b32_e32 v8, 0x70000000, v8
	v_add_f32_e32 v6, -0.5, v6
	s_delay_alu instid0(VALU_DEP_2) | instskip(SKIP_1) | instid1(VALU_DEP_2)
	v_mul_f32_e32 v8, 0x7800000, v8
	v_cmp_gt_u32_e32 vcc_lo, 0x8000000, v7
	v_cndmask_b32_e32 v6, v8, v6, vcc_lo
	s_delay_alu instid0(VALU_DEP_1) | instskip(SKIP_1) | instid1(SALU_CYCLE_1)
	v_cmp_neq_f32_e32 vcc_lo, 0, v6
	s_and_b32 s48, vcc_lo, exec_lo
	s_or_b32 s48, s2, s48
.LBB127_990:
	s_mov_b32 s49, 0
	s_mov_b32 s2, -1
.LBB127_991:
	s_and_not1_b32 vcc_lo, exec_lo, s49
	s_cbranch_vccnz .LBB127_1004
; %bb.992:
	v_cmp_lt_i16_e32 vcc_lo, 14, v3
	s_cbranch_vccz .LBB127_995
; %bb.993:
	v_cmp_eq_u16_e32 vcc_lo, 15, v3
	s_cbranch_vccz .LBB127_998
; %bb.994:
	global_load_u16 v6, v[1:2], off
	s_mov_b32 s47, 0
	s_mov_b32 s2, -1
	s_waitcnt vmcnt(0)
	v_and_b32_e32 v6, 0x7fff, v6
	s_delay_alu instid0(VALU_DEP_1)
	v_cmp_ne_u16_e32 vcc_lo, 0, v6
	s_and_b32 s48, vcc_lo, exec_lo
	s_branch .LBB127_999
.LBB127_995:
	s_mov_b32 s49, -1
                                        ; implicit-def: $sgpr48
	s_branch .LBB127_1000
.LBB127_996:
	s_and_not1_saveexec_b32 s49, s49
	s_cbranch_execz .LBB127_977
.LBB127_997:
	v_cmp_ne_u16_e32 vcc_lo, 0, v6
	s_and_not1_b32 s2, s2, exec_lo
	s_and_not1_b32 s48, s48, exec_lo
	s_and_b32 s50, vcc_lo, exec_lo
	s_delay_alu instid0(SALU_CYCLE_1)
	s_or_b32 s2, s2, s50
	s_or_b32 exec_lo, exec_lo, s49
	s_and_saveexec_b32 s49, s2
	s_cbranch_execnz .LBB127_978
	s_branch .LBB127_979
.LBB127_998:
	s_mov_b32 s47, -1
                                        ; implicit-def: $sgpr48
.LBB127_999:
	s_mov_b32 s49, 0
.LBB127_1000:
	s_delay_alu instid0(SALU_CYCLE_1)
	s_and_b32 vcc_lo, exec_lo, s49
	s_cbranch_vccz .LBB127_1004
; %bb.1001:
	v_cmp_eq_u16_e32 vcc_lo, 11, v3
	s_cbranch_vccz .LBB127_1003
; %bb.1002:
	global_load_u8 v6, v[1:2], off
	s_mov_b32 s47, 0
	s_mov_b32 s2, -1
	s_waitcnt vmcnt(0)
	v_cmp_ne_u16_e32 vcc_lo, 0, v6
	s_and_b32 s48, vcc_lo, exec_lo
	s_branch .LBB127_1004
.LBB127_1003:
	s_mov_b32 s47, -1
                                        ; implicit-def: $sgpr48
.LBB127_1004:
	s_mov_b32 s49, 0
.LBB127_1005:
	s_delay_alu instid0(SALU_CYCLE_1)
	s_and_b32 vcc_lo, exec_lo, s49
	s_cbranch_vccz .LBB127_1054
; %bb.1006:
	v_cmp_gt_i16_e32 vcc_lo, 5, v3
	s_cbranch_vccnz .LBB127_1011
; %bb.1007:
	v_cmp_gt_i16_e32 vcc_lo, 8, v3
	s_cbranch_vccnz .LBB127_1012
	;; [unrolled: 3-line block ×3, first 2 shown]
; %bb.1009:
	v_cmp_lt_i16_e32 vcc_lo, 9, v3
	s_cbranch_vccz .LBB127_1014
; %bb.1010:
	global_load_b128 v[6:9], v[1:2], off
	s_waitcnt vmcnt(0)
	v_cmp_neq_f64_e32 vcc_lo, 0, v[6:7]
	v_cmp_neq_f64_e64 s2, 0, v[8:9]
	s_delay_alu instid0(VALU_DEP_1)
	s_or_b32 s48, vcc_lo, s2
	s_mov_b32 s2, 0
	s_and_b32 s48, s48, exec_lo
	s_branch .LBB127_1015
.LBB127_1011:
	s_mov_b32 s2, -1
                                        ; implicit-def: $sgpr48
	s_branch .LBB127_1033
.LBB127_1012:
	s_mov_b32 s2, -1
                                        ; implicit-def: $sgpr48
	s_branch .LBB127_1021
.LBB127_1013:
	s_mov_b32 s2, -1
                                        ; implicit-def: $sgpr48
	s_branch .LBB127_1018
.LBB127_1014:
	s_mov_b32 s2, -1
                                        ; implicit-def: $sgpr48
.LBB127_1015:
	s_delay_alu instid0(SALU_CYCLE_1)
	s_and_not1_b32 vcc_lo, exec_lo, s2
	s_cbranch_vccnz .LBB127_1017
; %bb.1016:
	global_load_b64 v[6:7], v[1:2], off
	s_and_not1_b32 s2, s48, exec_lo
	s_waitcnt vmcnt(0)
	v_or_b32_e32 v6, v6, v7
	s_delay_alu instid0(VALU_DEP_1) | instskip(NEXT) | instid1(VALU_DEP_1)
	v_and_b32_e32 v6, 0x7fffffff, v6
	v_cmp_ne_u32_e32 vcc_lo, 0, v6
	s_and_b32 s48, vcc_lo, exec_lo
	s_delay_alu instid0(SALU_CYCLE_1)
	s_or_b32 s48, s2, s48
.LBB127_1017:
	s_mov_b32 s2, 0
.LBB127_1018:
	s_delay_alu instid0(SALU_CYCLE_1)
	s_and_not1_b32 vcc_lo, exec_lo, s2
	s_cbranch_vccnz .LBB127_1020
; %bb.1019:
	global_load_b32 v6, v[1:2], off
	s_and_not1_b32 s2, s48, exec_lo
	s_waitcnt vmcnt(0)
	v_and_b32_e32 v6, 0x7fff7fff, v6
	s_delay_alu instid0(VALU_DEP_1) | instskip(SKIP_1) | instid1(SALU_CYCLE_1)
	v_cmp_ne_u32_e32 vcc_lo, 0, v6
	s_and_b32 s48, vcc_lo, exec_lo
	s_or_b32 s48, s2, s48
.LBB127_1020:
	s_mov_b32 s2, 0
.LBB127_1021:
	s_delay_alu instid0(SALU_CYCLE_1)
	s_and_not1_b32 vcc_lo, exec_lo, s2
	s_cbranch_vccnz .LBB127_1032
; %bb.1022:
	v_cmp_gt_i16_e32 vcc_lo, 6, v3
	s_cbranch_vccnz .LBB127_1025
; %bb.1023:
	v_cmp_lt_i16_e32 vcc_lo, 6, v3
	s_cbranch_vccz .LBB127_1026
; %bb.1024:
	global_load_b64 v[6:7], v[1:2], off
	s_mov_b32 s2, 0
	s_waitcnt vmcnt(0)
	v_cmp_neq_f64_e32 vcc_lo, 0, v[6:7]
	s_and_b32 s48, vcc_lo, exec_lo
	s_branch .LBB127_1027
.LBB127_1025:
	s_mov_b32 s2, -1
                                        ; implicit-def: $sgpr48
	s_branch .LBB127_1030
.LBB127_1026:
	s_mov_b32 s2, -1
                                        ; implicit-def: $sgpr48
.LBB127_1027:
	s_delay_alu instid0(SALU_CYCLE_1)
	s_and_not1_b32 vcc_lo, exec_lo, s2
	s_cbranch_vccnz .LBB127_1029
; %bb.1028:
	global_load_b32 v6, v[1:2], off
	s_and_not1_b32 s2, s48, exec_lo
	s_waitcnt vmcnt(0)
	v_cmp_neq_f32_e32 vcc_lo, 0, v6
	s_and_b32 s48, vcc_lo, exec_lo
	s_delay_alu instid0(SALU_CYCLE_1)
	s_or_b32 s48, s2, s48
.LBB127_1029:
	s_mov_b32 s2, 0
.LBB127_1030:
	s_delay_alu instid0(SALU_CYCLE_1)
	s_and_not1_b32 vcc_lo, exec_lo, s2
	s_cbranch_vccnz .LBB127_1032
; %bb.1031:
	global_load_u16 v6, v[1:2], off
	s_and_not1_b32 s2, s48, exec_lo
	s_waitcnt vmcnt(0)
	v_and_b32_e32 v6, 0x7fff, v6
	s_delay_alu instid0(VALU_DEP_1) | instskip(SKIP_1) | instid1(SALU_CYCLE_1)
	v_cmp_ne_u16_e32 vcc_lo, 0, v6
	s_and_b32 s48, vcc_lo, exec_lo
	s_or_b32 s48, s2, s48
.LBB127_1032:
	s_mov_b32 s2, 0
.LBB127_1033:
	s_delay_alu instid0(SALU_CYCLE_1)
	s_and_not1_b32 vcc_lo, exec_lo, s2
	s_cbranch_vccnz .LBB127_1053
; %bb.1034:
	v_cmp_gt_i16_e32 vcc_lo, 2, v3
	s_cbranch_vccnz .LBB127_1038
; %bb.1035:
	v_cmp_gt_i16_e32 vcc_lo, 3, v3
	s_cbranch_vccnz .LBB127_1039
; %bb.1036:
	v_cmp_lt_i16_e32 vcc_lo, 3, v3
	s_cbranch_vccz .LBB127_1040
; %bb.1037:
	global_load_b64 v[6:7], v[1:2], off
	s_mov_b32 s2, 0
	s_waitcnt vmcnt(0)
	v_cmp_ne_u64_e32 vcc_lo, 0, v[6:7]
	s_and_b32 s48, vcc_lo, exec_lo
	s_branch .LBB127_1041
.LBB127_1038:
	s_mov_b32 s2, -1
                                        ; implicit-def: $sgpr48
	s_branch .LBB127_1047
.LBB127_1039:
	s_mov_b32 s2, -1
                                        ; implicit-def: $sgpr48
	s_branch .LBB127_1044
.LBB127_1040:
	s_mov_b32 s2, -1
                                        ; implicit-def: $sgpr48
.LBB127_1041:
	s_delay_alu instid0(SALU_CYCLE_1)
	s_and_not1_b32 vcc_lo, exec_lo, s2
	s_cbranch_vccnz .LBB127_1043
; %bb.1042:
	global_load_b32 v6, v[1:2], off
	s_and_not1_b32 s2, s48, exec_lo
	s_waitcnt vmcnt(0)
	v_cmp_ne_u32_e32 vcc_lo, 0, v6
	s_and_b32 s48, vcc_lo, exec_lo
	s_delay_alu instid0(SALU_CYCLE_1)
	s_or_b32 s48, s2, s48
.LBB127_1043:
	s_mov_b32 s2, 0
.LBB127_1044:
	s_delay_alu instid0(SALU_CYCLE_1)
	s_and_not1_b32 vcc_lo, exec_lo, s2
	s_cbranch_vccnz .LBB127_1046
; %bb.1045:
	global_load_u16 v6, v[1:2], off
	s_and_not1_b32 s2, s48, exec_lo
	s_waitcnt vmcnt(0)
	v_cmp_ne_u16_e32 vcc_lo, 0, v6
	s_and_b32 s48, vcc_lo, exec_lo
	s_delay_alu instid0(SALU_CYCLE_1)
	s_or_b32 s48, s2, s48
.LBB127_1046:
	s_mov_b32 s2, 0
.LBB127_1047:
	s_delay_alu instid0(SALU_CYCLE_1)
	s_and_not1_b32 vcc_lo, exec_lo, s2
	s_cbranch_vccnz .LBB127_1053
; %bb.1048:
	v_cmp_lt_i16_e32 vcc_lo, 0, v3
	s_mov_b32 s2, 0
	s_cbranch_vccz .LBB127_1050
; %bb.1049:
	global_load_u8 v3, v[1:2], off
	s_waitcnt vmcnt(0)
	v_cmp_ne_u16_e32 vcc_lo, 0, v3
	s_and_b32 s48, vcc_lo, exec_lo
	s_branch .LBB127_1051
.LBB127_1050:
	s_mov_b32 s2, -1
                                        ; implicit-def: $sgpr48
.LBB127_1051:
	s_delay_alu instid0(SALU_CYCLE_1)
	s_and_not1_b32 vcc_lo, exec_lo, s2
	s_cbranch_vccnz .LBB127_1053
; %bb.1052:
	global_load_u8 v1, v[1:2], off
	s_and_not1_b32 s2, s48, exec_lo
	s_waitcnt vmcnt(0)
	v_cmp_ne_u16_e32 vcc_lo, 0, v1
	s_and_b32 s48, vcc_lo, exec_lo
	s_delay_alu instid0(SALU_CYCLE_1)
	s_or_b32 s48, s2, s48
.LBB127_1053:
	s_mov_b32 s2, -1
.LBB127_1054:
	s_delay_alu instid0(SALU_CYCLE_1)
	s_and_not1_b32 vcc_lo, exec_lo, s2
	s_cbranch_vccnz .LBB127_1062
; %bb.1055:
	v_cndmask_b32_e64 v1, 0, 1.0, s48
	v_and_b32_e64 v6, 0xff, s11
	v_add_co_u32 v0, s2, s4, v0
	s_mov_b32 s47, 0
	s_waitcnt vmcnt(0)
	v_mul_f32_e32 v2, v5, v1
	v_cmp_gt_i16_e32 vcc_lo, 11, v6
	v_add_co_ci_u32_e64 v1, null, s5, 0, s2
	s_mov_b32 s48, -1
	s_delay_alu instid0(VALU_DEP_3)
	v_mul_f32_e32 v2, s10, v2
	s_mov_b32 s2, s43
	s_cbranch_vccnz .LBB127_1063
; %bb.1056:
	v_cmp_lt_i16_e32 vcc_lo, 25, v6
	s_cbranch_vccz .LBB127_1126
; %bb.1057:
	v_cmp_lt_i16_e32 vcc_lo, 28, v6
	s_cbranch_vccz .LBB127_1128
	;; [unrolled: 3-line block ×4, first 2 shown]
; %bb.1060:
	v_cmp_eq_u16_e32 vcc_lo, 46, v6
	s_mov_b32 s48, 0
	s_mov_b32 s2, -1
	s_cbranch_vccz .LBB127_1133
; %bb.1061:
	v_bfe_u32 v3, v2, 16, 1
	v_cmp_o_f32_e32 vcc_lo, v2, v2
	s_mov_b32 s47, -1
	s_mov_b32 s2, 0
	s_delay_alu instid0(VALU_DEP_2) | instskip(NEXT) | instid1(VALU_DEP_1)
	v_add3_u32 v3, v2, v3, 0x7fff
	v_lshrrev_b32_e32 v3, 16, v3
	s_delay_alu instid0(VALU_DEP_1)
	v_cndmask_b32_e32 v3, 0x7fc0, v3, vcc_lo
	global_store_b32 v[0:1], v3, off
	s_branch .LBB127_1133
.LBB127_1062:
	s_mov_b32 s50, 0
	s_mov_b32 s2, s43
	s_branch .LBB127_1103
.LBB127_1063:
	s_and_b32 vcc_lo, exec_lo, s48
	s_cbranch_vccz .LBB127_1202
; %bb.1064:
	v_cmp_gt_i16_e32 vcc_lo, 5, v6
	s_mov_b32 s47, -1
	s_cbranch_vccnz .LBB127_1085
; %bb.1065:
	v_cmp_gt_i16_e32 vcc_lo, 8, v6
	s_cbranch_vccnz .LBB127_1075
; %bb.1066:
	v_cmp_gt_i16_e32 vcc_lo, 9, v6
	s_cbranch_vccnz .LBB127_1072
; %bb.1067:
	v_cmp_lt_i16_e32 vcc_lo, 9, v6
	s_cbranch_vccz .LBB127_1069
; %bb.1068:
	v_cvt_f64_f32_e32 v[7:8], v2
	v_mov_b32_e32 v9, 0
	s_mov_b32 s47, 0
	s_delay_alu instid0(VALU_DEP_1)
	v_mov_b32_e32 v10, v9
	global_store_b128 v[0:1], v[7:10], off
.LBB127_1069:
	s_and_not1_b32 vcc_lo, exec_lo, s47
	s_cbranch_vccnz .LBB127_1071
; %bb.1070:
	v_mov_b32_e32 v3, 0
	global_store_b64 v[0:1], v[2:3], off
.LBB127_1071:
	s_mov_b32 s47, 0
.LBB127_1072:
	s_delay_alu instid0(SALU_CYCLE_1)
	s_and_not1_b32 vcc_lo, exec_lo, s47
	s_cbranch_vccnz .LBB127_1074
; %bb.1073:
	v_cvt_f16_f32_e32 v3, v2
	s_delay_alu instid0(VALU_DEP_1)
	v_and_b32_e32 v3, 0xffff, v3
	global_store_b32 v[0:1], v3, off
.LBB127_1074:
	s_mov_b32 s47, 0
.LBB127_1075:
	s_delay_alu instid0(SALU_CYCLE_1)
	s_and_not1_b32 vcc_lo, exec_lo, s47
	s_cbranch_vccnz .LBB127_1084
; %bb.1076:
	v_cmp_gt_i16_e32 vcc_lo, 6, v6
	s_mov_b32 s47, -1
	s_cbranch_vccnz .LBB127_1082
; %bb.1077:
	v_cmp_lt_i16_e32 vcc_lo, 6, v6
	s_cbranch_vccz .LBB127_1079
; %bb.1078:
	v_cvt_f64_f32_e32 v[7:8], v2
	s_mov_b32 s47, 0
	global_store_b64 v[0:1], v[7:8], off
.LBB127_1079:
	s_and_not1_b32 vcc_lo, exec_lo, s47
	s_cbranch_vccnz .LBB127_1081
; %bb.1080:
	global_store_b32 v[0:1], v2, off
.LBB127_1081:
	s_mov_b32 s47, 0
.LBB127_1082:
	s_delay_alu instid0(SALU_CYCLE_1)
	s_and_not1_b32 vcc_lo, exec_lo, s47
	s_cbranch_vccnz .LBB127_1084
; %bb.1083:
	v_cvt_f16_f32_e32 v3, v2
	global_store_b16 v[0:1], v3, off
.LBB127_1084:
	s_mov_b32 s47, 0
.LBB127_1085:
	s_delay_alu instid0(SALU_CYCLE_1)
	s_and_not1_b32 vcc_lo, exec_lo, s47
	s_cbranch_vccnz .LBB127_1101
; %bb.1086:
	v_cmp_gt_i16_e32 vcc_lo, 2, v6
	s_mov_b32 s47, -1
	s_cbranch_vccnz .LBB127_1096
; %bb.1087:
	v_cmp_gt_i16_e32 vcc_lo, 3, v6
	s_cbranch_vccnz .LBB127_1093
; %bb.1088:
	v_cmp_lt_i16_e32 vcc_lo, 3, v6
	s_cbranch_vccz .LBB127_1090
; %bb.1089:
	v_trunc_f32_e32 v3, v2
	s_mov_b32 s47, 0
	s_delay_alu instid0(VALU_DEP_1) | instskip(NEXT) | instid1(VALU_DEP_1)
	v_mul_f32_e64 v5, 0x2f800000, |v3|
	v_floor_f32_e32 v5, v5
	s_delay_alu instid0(VALU_DEP_1) | instskip(SKIP_2) | instid1(VALU_DEP_3)
	v_fma_f32 v7, 0xcf800000, v5, |v3|
	v_ashrrev_i32_e32 v3, 31, v3
	v_cvt_u32_f32_e32 v5, v5
	v_cvt_u32_f32_e32 v7, v7
	s_delay_alu instid0(VALU_DEP_2) | instskip(NEXT) | instid1(VALU_DEP_2)
	v_xor_b32_e32 v5, v5, v3
	v_xor_b32_e32 v7, v7, v3
	s_delay_alu instid0(VALU_DEP_1) | instskip(NEXT) | instid1(VALU_DEP_3)
	v_sub_co_u32 v7, vcc_lo, v7, v3
	v_sub_co_ci_u32_e32 v8, vcc_lo, v5, v3, vcc_lo
	global_store_b64 v[0:1], v[7:8], off
.LBB127_1090:
	s_and_not1_b32 vcc_lo, exec_lo, s47
	s_cbranch_vccnz .LBB127_1092
; %bb.1091:
	v_cvt_i32_f32_e32 v3, v2
	global_store_b32 v[0:1], v3, off
.LBB127_1092:
	s_mov_b32 s47, 0
.LBB127_1093:
	s_delay_alu instid0(SALU_CYCLE_1)
	s_and_not1_b32 vcc_lo, exec_lo, s47
	s_cbranch_vccnz .LBB127_1095
; %bb.1094:
	v_cvt_i32_f32_e32 v3, v2
	global_store_b16 v[0:1], v3, off
.LBB127_1095:
	s_mov_b32 s47, 0
.LBB127_1096:
	s_delay_alu instid0(SALU_CYCLE_1)
	s_and_not1_b32 vcc_lo, exec_lo, s47
	s_cbranch_vccnz .LBB127_1101
; %bb.1097:
	v_cmp_lt_i16_e32 vcc_lo, 0, v6
	s_mov_b32 s47, -1
	s_cbranch_vccz .LBB127_1099
; %bb.1098:
	v_cvt_i32_f32_e32 v3, v2
	s_mov_b32 s47, 0
	global_store_b8 v[0:1], v3, off
.LBB127_1099:
	s_and_not1_b32 vcc_lo, exec_lo, s47
	s_cbranch_vccnz .LBB127_1101
; %bb.1100:
	v_trunc_f32_e32 v2, v2
	s_delay_alu instid0(VALU_DEP_1) | instskip(NEXT) | instid1(VALU_DEP_1)
	v_mul_f32_e64 v3, 0x2f800000, |v2|
	v_floor_f32_e32 v3, v3
	s_delay_alu instid0(VALU_DEP_1) | instskip(SKIP_1) | instid1(VALU_DEP_2)
	v_fma_f32 v3, 0xcf800000, v3, |v2|
	v_ashrrev_i32_e32 v2, 31, v2
	v_cvt_u32_f32_e32 v3, v3
	s_delay_alu instid0(VALU_DEP_1) | instskip(NEXT) | instid1(VALU_DEP_1)
	v_xor_b32_e32 v3, v3, v2
	v_sub_nc_u32_e32 v2, v3, v2
	global_store_b8 v[0:1], v2, off
.LBB127_1101:
	s_mov_b32 s47, 0
	s_branch .LBB127_1203
.LBB127_1102:
	s_mov_b32 s50, 0
.LBB127_1103:
                                        ; implicit-def: $vgpr4
.LBB127_1104:
	s_and_not1_b32 s48, s43, exec_lo
	s_and_b32 s2, s2, exec_lo
	s_and_b32 s47, s47, exec_lo
	s_or_b32 s48, s48, s2
	s_and_not1_b32 s2, s44, exec_lo
	s_and_not1_b32 s51, s42, exec_lo
	s_and_b32 s3, s3, exec_lo
	s_or_b32 s49, s2, s47
	s_or_b32 s47, s51, s3
	s_or_not1_b32 s51, s50, exec_lo
.LBB127_1105:
	s_or_b32 exec_lo, exec_lo, s46
	s_mov_b32 s3, 0
	s_mov_b32 s50, 0
	;; [unrolled: 1-line block ×3, first 2 shown]
                                        ; implicit-def: $vgpr6
                                        ; implicit-def: $vgpr2_vgpr3
                                        ; implicit-def: $vgpr0
                                        ; implicit-def: $vgpr1
                                        ; implicit-def: $vgpr5
	s_and_saveexec_b32 s46, s51
	s_cbranch_execz .LBB127_1273
; %bb.1106:
	v_cmp_gt_i32_e32 vcc_lo, s36, v4
	s_mov_b32 s51, s47
	s_mov_b32 s52, 0
                                        ; implicit-def: $vgpr6
                                        ; implicit-def: $vgpr2_vgpr3
                                        ; implicit-def: $vgpr0
                                        ; implicit-def: $vgpr1
                                        ; implicit-def: $vgpr5
	s_and_saveexec_b32 s36, vcc_lo
	s_cbranch_execz .LBB127_1272
; %bb.1107:
	s_and_not1_b32 vcc_lo, exec_lo, s29
	s_cbranch_vccnz .LBB127_1113
; %bb.1108:
	v_dual_mov_b32 v0, 0 :: v_dual_mov_b32 v1, 0
	v_mov_b32_e32 v2, 0
	s_and_not1_b32 vcc_lo, exec_lo, s37
	s_mov_b32 s37, 0
	s_cbranch_vccnz .LBB127_1114
; %bb.1109:
	s_add_i32 s2, s35, 1
	v_dual_mov_b32 v1, 0 :: v_dual_mov_b32 v2, 0
	v_dual_mov_b32 v0, 0 :: v_dual_mov_b32 v3, v4
	s_and_b32 s50, s2, 30
	s_add_u32 s2, s20, 0xffffffec
	s_addc_u32 s3, s21, -1
	s_set_inst_prefetch_distance 0x1
	.p2align	6
.LBB127_1110:                           ; =>This Inner Loop Header: Depth=1
	s_clause 0x2
	s_load_b128 s[52:55], s[2:3], 0x18
	s_load_b64 s[60:61], s[2:3], 0x28
	s_load_b128 s[56:59], s[2:3], 0xd8
	s_waitcnt vmcnt(0) lgkmcnt(0)
	v_mul_hi_u32 v5, s53, v3
	s_delay_alu instid0(VALU_DEP_1) | instskip(NEXT) | instid1(VALU_DEP_1)
	v_add_nc_u32_e32 v5, v3, v5
	v_lshrrev_b32_e32 v5, s54, v5
	s_delay_alu instid0(VALU_DEP_1)
	v_mul_hi_u32 v6, s60, v5
	v_mul_lo_u32 v7, v5, s52
	s_load_b64 s[52:53], s[2:3], 0xe8
	s_add_u32 s2, s2, 24
	s_addc_u32 s3, s3, 0
	s_add_i32 s50, s50, -2
	s_delay_alu instid0(SALU_CYCLE_1) | instskip(NEXT) | instid1(VALU_DEP_2)
	s_cmp_eq_u32 s50, 0
	v_add_nc_u32_e32 v6, v5, v6
	s_delay_alu instid0(VALU_DEP_2) | instskip(NEXT) | instid1(VALU_DEP_2)
	v_sub_nc_u32_e32 v7, v3, v7
	v_lshrrev_b32_e32 v3, s61, v6
	s_delay_alu instid0(VALU_DEP_2) | instskip(NEXT) | instid1(VALU_DEP_2)
	v_mul_lo_u32 v8, v7, s56
	v_mul_lo_u32 v6, v3, s55
	s_delay_alu instid0(VALU_DEP_1) | instskip(SKIP_2) | instid1(VALU_DEP_3)
	v_sub_nc_u32_e32 v5, v5, v6
	v_mul_lo_u32 v6, v7, s57
	v_mul_lo_u32 v7, v7, s58
	;; [unrolled: 1-line block ×3, first 2 shown]
	s_waitcnt lgkmcnt(0)
	v_mul_lo_u32 v10, v5, s52
	v_mul_lo_u32 v5, v5, s53
	s_delay_alu instid0(VALU_DEP_3) | instskip(NEXT) | instid1(VALU_DEP_3)
	v_add3_u32 v0, v8, v0, v9
	v_add3_u32 v2, v6, v2, v10
	s_delay_alu instid0(VALU_DEP_3)
	v_add3_u32 v1, v7, v1, v5
	s_cbranch_scc0 .LBB127_1110
; %bb.1111:
	s_set_inst_prefetch_distance 0x2
	s_bitcmp1_b32 s35, 0
	s_cselect_b32 s35, -1, 0
	s_delay_alu instid0(SALU_CYCLE_1)
	s_and_b32 vcc_lo, exec_lo, s35
	s_cbranch_vccnz .LBB127_1114
; %bb.1112:
	s_clause 0x3
	s_load_b64 s[50:51], s[2:3], 0x18
	s_load_b32 s35, s[2:3], 0x20
	s_load_b64 s[52:53], s[2:3], 0xd8
	s_load_b32 s2, s[2:3], 0xe0
	s_waitcnt lgkmcnt(0)
	v_mul_hi_u32 v5, s51, v3
	s_delay_alu instid0(VALU_DEP_1) | instskip(NEXT) | instid1(VALU_DEP_1)
	v_add_nc_u32_e32 v5, v3, v5
	v_lshrrev_b32_e32 v5, s35, v5
	s_delay_alu instid0(VALU_DEP_1) | instskip(NEXT) | instid1(VALU_DEP_1)
	v_mul_lo_u32 v5, v5, s50
	v_sub_nc_u32_e32 v3, v3, v5
	s_delay_alu instid0(VALU_DEP_1) | instskip(SKIP_2) | instid1(VALU_DEP_3)
	v_mad_u64_u32 v[5:6], null, v3, s52, v[0:1]
	v_mad_u64_u32 v[6:7], null, v3, s53, v[2:3]
	v_mad_u64_u32 v[7:8], null, v3, s2, v[1:2]
	v_mov_b32_e32 v0, v5
	s_delay_alu instid0(VALU_DEP_2)
	v_dual_mov_b32 v2, v6 :: v_dual_mov_b32 v1, v7
	s_branch .LBB127_1114
.LBB127_1113:
	s_mov_b32 s37, -1
                                        ; implicit-def: $vgpr0
                                        ; implicit-def: $vgpr2
                                        ; implicit-def: $vgpr1
.LBB127_1114:
	s_delay_alu instid0(SALU_CYCLE_1)
	s_and_not1_b32 vcc_lo, exec_lo, s37
	s_cbranch_vccnz .LBB127_1117
; %bb.1115:
	v_mul_hi_u32 v0, s17, v4
	s_and_not1_b32 vcc_lo, exec_lo, s34
	s_delay_alu instid0(VALU_DEP_1) | instskip(NEXT) | instid1(VALU_DEP_1)
	v_add_nc_u32_e32 v0, v4, v0
	v_lshrrev_b32_e32 v3, s18, v0
	s_delay_alu instid0(VALU_DEP_1) | instskip(NEXT) | instid1(VALU_DEP_1)
	v_mul_lo_u32 v0, v3, s16
	v_sub_nc_u32_e32 v1, v4, v0
	s_delay_alu instid0(VALU_DEP_1)
	v_mul_lo_u32 v0, v1, s12
	v_mul_lo_u32 v2, v1, s13
	;; [unrolled: 1-line block ×3, first 2 shown]
	s_cbranch_vccnz .LBB127_1117
; %bb.1116:
	v_mul_hi_u32 v4, s24, v3
	s_delay_alu instid0(VALU_DEP_1) | instskip(NEXT) | instid1(VALU_DEP_1)
	v_add_nc_u32_e32 v4, v3, v4
	v_lshrrev_b32_e32 v4, s25, v4
	s_delay_alu instid0(VALU_DEP_1) | instskip(NEXT) | instid1(VALU_DEP_1)
	v_mul_lo_u32 v4, v4, s19
	v_sub_nc_u32_e32 v7, v3, v4
	s_delay_alu instid0(VALU_DEP_1) | instskip(SKIP_1) | instid1(VALU_DEP_1)
	v_mad_u64_u32 v[3:4], null, v7, s15, v[0:1]
	s_waitcnt vmcnt(0)
	v_mad_u64_u32 v[4:5], null, v7, s22, v[2:3]
	v_mad_u64_u32 v[5:6], null, v7, s23, v[1:2]
	v_mov_b32_e32 v0, v3
	s_delay_alu instid0(VALU_DEP_2)
	v_dual_mov_b32 v2, v4 :: v_dual_mov_b32 v1, v5
.LBB127_1117:
	v_and_b32_e64 v6, 0xff, s33
	s_delay_alu instid0(VALU_DEP_2) | instskip(NEXT) | instid1(VALU_DEP_1)
	v_add_co_u32 v2, s2, s6, v2
	v_add_co_ci_u32_e64 v3, null, s7, 0, s2
	s_delay_alu instid0(VALU_DEP_3)
	v_cmp_gt_i16_e32 vcc_lo, 11, v6
	s_mov_b32 s6, 0
	s_cbranch_vccnz .LBB127_1124
; %bb.1118:
	v_cmp_lt_i16_e32 vcc_lo, 25, v6
	s_mov_b32 s3, 0
	s_cbranch_vccz .LBB127_1125
; %bb.1119:
	v_cmp_lt_i16_e32 vcc_lo, 28, v6
	s_cbranch_vccz .LBB127_1127
; %bb.1120:
	v_cmp_lt_i16_e32 vcc_lo, 43, v6
	;; [unrolled: 3-line block ×3, first 2 shown]
	s_cbranch_vccz .LBB127_1131
; %bb.1122:
	v_cmp_eq_u16_e32 vcc_lo, 46, v6
	s_mov_b32 s7, 0
	s_cbranch_vccz .LBB127_1204
; %bb.1123:
	global_load_b32 v4, v[2:3], off
	s_mov_b32 s2, 0
	s_mov_b32 s6, -1
	s_waitcnt vmcnt(0)
	v_lshlrev_b32_e32 v5, 16, v4
	s_branch .LBB127_1206
.LBB127_1124:
	s_mov_b32 s7, -1
	s_mov_b32 s3, 0
	s_mov_b32 s2, s47
                                        ; implicit-def: $vgpr5
	s_branch .LBB127_1271
.LBB127_1125:
	s_mov_b32 s7, -1
	s_mov_b32 s2, s47
                                        ; implicit-def: $vgpr5
	s_branch .LBB127_1237
.LBB127_1126:
	s_mov_b32 s2, s43
	s_branch .LBB127_1160
.LBB127_1127:
	s_mov_b32 s7, -1
	s_mov_b32 s2, s47
                                        ; implicit-def: $vgpr5
	s_branch .LBB127_1218
.LBB127_1128:
	s_mov_b32 s2, s43
	s_branch .LBB127_1143
.LBB127_1129:
	s_mov_b32 s7, -1
	s_mov_b32 s2, s47
                                        ; implicit-def: $vgpr5
	s_branch .LBB127_1213
.LBB127_1130:
	s_mov_b32 s2, s43
	s_branch .LBB127_1139
.LBB127_1131:
	s_mov_b32 s7, -1
	s_mov_b32 s2, s47
	s_branch .LBB127_1205
.LBB127_1132:
	s_mov_b32 s2, s43
.LBB127_1133:
	s_and_b32 vcc_lo, exec_lo, s48
	s_cbranch_vccz .LBB127_1138
; %bb.1134:
	v_cmp_eq_u16_e32 vcc_lo, 44, v6
	s_mov_b32 s2, -1
	s_cbranch_vccz .LBB127_1138
; %bb.1135:
	v_bfe_u32 v5, v2, 23, 8
	v_mov_b32_e32 v3, 0xff
	s_mov_b32 s47, exec_lo
	s_delay_alu instid0(VALU_DEP_2)
	v_cmpx_ne_u32_e32 0xff, v5
; %bb.1136:
	v_and_b32_e32 v3, 0x400000, v2
	v_and_or_b32 v5, 0x3fffff, v2, v5
	s_delay_alu instid0(VALU_DEP_2) | instskip(NEXT) | instid1(VALU_DEP_2)
	v_cmp_ne_u32_e32 vcc_lo, 0, v3
	v_cmp_ne_u32_e64 s2, 0, v5
	v_lshrrev_b32_e32 v3, 23, v2
	s_delay_alu instid0(VALU_DEP_2) | instskip(NEXT) | instid1(SALU_CYCLE_1)
	s_and_b32 s2, vcc_lo, s2
	v_cndmask_b32_e64 v5, 0, 1, s2
	s_delay_alu instid0(VALU_DEP_1)
	v_add_nc_u32_e32 v3, v3, v5
; %bb.1137:
	s_or_b32 exec_lo, exec_lo, s47
	s_mov_b32 s47, -1
	s_mov_b32 s2, 0
	global_store_b8 v[0:1], v3, off
.LBB127_1138:
	s_mov_b32 s48, 0
.LBB127_1139:
	s_delay_alu instid0(SALU_CYCLE_1)
	s_and_b32 vcc_lo, exec_lo, s48
	s_cbranch_vccz .LBB127_1142
; %bb.1140:
	v_cmp_eq_u16_e32 vcc_lo, 29, v6
	s_mov_b32 s2, -1
	s_cbranch_vccz .LBB127_1142
; %bb.1141:
	v_trunc_f32_e32 v3, v2
	s_mov_b32 s47, -1
	s_mov_b32 s2, 0
	s_mov_b32 s48, 0
	s_delay_alu instid0(VALU_DEP_1) | instskip(NEXT) | instid1(VALU_DEP_1)
	v_mul_f32_e32 v5, 0x2f800000, v3
	v_floor_f32_e32 v5, v5
	s_delay_alu instid0(VALU_DEP_1) | instskip(SKIP_1) | instid1(VALU_DEP_2)
	v_fmamk_f32 v3, v5, 0xcf800000, v3
	v_cvt_u32_f32_e32 v8, v5
	v_cvt_u32_f32_e32 v7, v3
	global_store_b64 v[0:1], v[7:8], off
	s_branch .LBB127_1143
.LBB127_1142:
	s_mov_b32 s48, 0
.LBB127_1143:
	s_delay_alu instid0(SALU_CYCLE_1)
	s_and_b32 vcc_lo, exec_lo, s48
	s_cbranch_vccz .LBB127_1159
; %bb.1144:
	v_cmp_gt_i16_e32 vcc_lo, 27, v6
	s_mov_b32 s47, -1
	s_cbranch_vccnz .LBB127_1150
; %bb.1145:
	v_cmp_lt_i16_e32 vcc_lo, 27, v6
	v_cvt_u32_f32_e32 v3, v2
	s_cbranch_vccz .LBB127_1147
; %bb.1146:
	s_mov_b32 s47, 0
	global_store_b32 v[0:1], v3, off
.LBB127_1147:
	s_and_not1_b32 vcc_lo, exec_lo, s47
	s_cbranch_vccnz .LBB127_1149
; %bb.1148:
	global_store_b16 v[0:1], v3, off
.LBB127_1149:
	s_mov_b32 s47, 0
.LBB127_1150:
	s_delay_alu instid0(SALU_CYCLE_1)
	s_and_not1_b32 vcc_lo, exec_lo, s47
	s_cbranch_vccnz .LBB127_1158
; %bb.1151:
	v_and_b32_e32 v3, 0x7fffffff, v2
	v_mov_b32_e32 v5, 0x80
	s_mov_b32 s47, exec_lo
	s_delay_alu instid0(VALU_DEP_2)
	v_cmpx_gt_u32_e32 0x43800000, v3
	s_cbranch_execz .LBB127_1157
; %bb.1152:
	v_cmp_lt_u32_e32 vcc_lo, 0x3bffffff, v3
	s_mov_b32 s48, 0
                                        ; implicit-def: $vgpr3
	s_and_saveexec_b32 s49, vcc_lo
	s_delay_alu instid0(SALU_CYCLE_1)
	s_xor_b32 s49, exec_lo, s49
	s_cbranch_execz .LBB127_1209
; %bb.1153:
	v_bfe_u32 v3, v2, 20, 1
	s_mov_b32 s48, exec_lo
	s_delay_alu instid0(VALU_DEP_1) | instskip(NEXT) | instid1(VALU_DEP_1)
	v_add3_u32 v3, v2, v3, 0x487ffff
	v_lshrrev_b32_e32 v3, 20, v3
	s_or_saveexec_b32 s49, s49
                                        ; implicit-def: $sgpr50
	s_delay_alu instid0(SALU_CYCLE_1)
	s_xor_b32 exec_lo, exec_lo, s49
	s_cbranch_execnz .LBB127_1210
.LBB127_1154:
	s_or_b32 exec_lo, exec_lo, s49
	v_mov_b32_e32 v5, s50
	s_and_saveexec_b32 s49, s48
.LBB127_1155:
	v_lshrrev_b32_e32 v5, 24, v2
	s_delay_alu instid0(VALU_DEP_1)
	v_and_or_b32 v5, 0x80, v5, v3
.LBB127_1156:
	s_or_b32 exec_lo, exec_lo, s49
.LBB127_1157:
	s_delay_alu instid0(SALU_CYCLE_1)
	s_or_b32 exec_lo, exec_lo, s47
	global_store_b8 v[0:1], v5, off
.LBB127_1158:
	s_mov_b32 s47, -1
.LBB127_1159:
	s_mov_b32 s48, 0
.LBB127_1160:
	s_delay_alu instid0(SALU_CYCLE_1)
	s_and_b32 vcc_lo, exec_lo, s48
	s_cbranch_vccz .LBB127_1201
; %bb.1161:
	v_cmp_lt_i16_e32 vcc_lo, 22, v6
	s_mov_b32 s48, -1
	s_cbranch_vccz .LBB127_1193
; %bb.1162:
	v_cmp_gt_i16_e32 vcc_lo, 24, v6
	s_mov_b32 s47, -1
	s_cbranch_vccnz .LBB127_1182
; %bb.1163:
	v_cmp_lt_i16_e32 vcc_lo, 24, v6
	s_cbranch_vccz .LBB127_1171
; %bb.1164:
	v_and_b32_e32 v3, 0x7fffffff, v2
	v_mov_b32_e32 v5, 0x80
	s_mov_b32 s47, exec_lo
	s_delay_alu instid0(VALU_DEP_2)
	v_cmpx_gt_u32_e32 0x47800000, v3
	s_cbranch_execz .LBB127_1170
; %bb.1165:
	v_cmp_lt_u32_e32 vcc_lo, 0x37ffffff, v3
	s_mov_b32 s48, 0
                                        ; implicit-def: $vgpr3
	s_and_saveexec_b32 s49, vcc_lo
	s_delay_alu instid0(SALU_CYCLE_1)
	s_xor_b32 s49, exec_lo, s49
	s_cbranch_execz .LBB127_2291
; %bb.1166:
	v_bfe_u32 v3, v2, 21, 1
	s_mov_b32 s48, exec_lo
	s_delay_alu instid0(VALU_DEP_1) | instskip(NEXT) | instid1(VALU_DEP_1)
	v_add3_u32 v3, v2, v3, 0x88fffff
	v_lshrrev_b32_e32 v3, 21, v3
	s_or_saveexec_b32 s49, s49
                                        ; implicit-def: $sgpr50
	s_delay_alu instid0(SALU_CYCLE_1)
	s_xor_b32 exec_lo, exec_lo, s49
	s_cbranch_execnz .LBB127_2292
.LBB127_1167:
	s_or_b32 exec_lo, exec_lo, s49
	v_mov_b32_e32 v5, s50
	s_and_saveexec_b32 s49, s48
.LBB127_1168:
	v_lshrrev_b32_e32 v5, 24, v2
	s_delay_alu instid0(VALU_DEP_1)
	v_and_or_b32 v5, 0x80, v5, v3
.LBB127_1169:
	s_or_b32 exec_lo, exec_lo, s49
.LBB127_1170:
	s_delay_alu instid0(SALU_CYCLE_1)
	s_or_b32 exec_lo, exec_lo, s47
	s_mov_b32 s47, 0
	global_store_b8 v[0:1], v5, off
.LBB127_1171:
	s_and_b32 vcc_lo, exec_lo, s47
	s_cbranch_vccz .LBB127_1181
; %bb.1172:
	v_and_b32_e32 v5, 0x7fffffff, v2
	s_mov_b32 s47, exec_lo
                                        ; implicit-def: $vgpr3
	s_delay_alu instid0(VALU_DEP_1)
	v_cmpx_gt_u32_e32 0x43f00000, v5
	s_xor_b32 s47, exec_lo, s47
	s_cbranch_execz .LBB127_1178
; %bb.1173:
	s_mov_b32 s48, exec_lo
                                        ; implicit-def: $vgpr3
	v_cmpx_lt_u32_e32 0x3c7fffff, v5
	s_xor_b32 s48, exec_lo, s48
; %bb.1174:
	v_bfe_u32 v3, v2, 20, 1
	s_delay_alu instid0(VALU_DEP_1) | instskip(NEXT) | instid1(VALU_DEP_1)
	v_add3_u32 v3, v2, v3, 0x407ffff
	v_and_b32_e32 v5, 0xff00000, v3
	v_lshrrev_b32_e32 v3, 20, v3
	s_delay_alu instid0(VALU_DEP_2) | instskip(NEXT) | instid1(VALU_DEP_2)
	v_cmp_ne_u32_e32 vcc_lo, 0x7f00000, v5
	v_cndmask_b32_e32 v3, 0x7e, v3, vcc_lo
; %bb.1175:
	s_and_not1_saveexec_b32 s48, s48
; %bb.1176:
	v_add_f32_e64 v3, 0x46800000, |v2|
; %bb.1177:
	s_or_b32 exec_lo, exec_lo, s48
                                        ; implicit-def: $vgpr5
.LBB127_1178:
	s_and_not1_saveexec_b32 s47, s47
; %bb.1179:
	v_mov_b32_e32 v3, 0x7f
	v_cmp_lt_u32_e32 vcc_lo, 0x7f800000, v5
	s_delay_alu instid0(VALU_DEP_2)
	v_cndmask_b32_e32 v3, 0x7e, v3, vcc_lo
; %bb.1180:
	s_or_b32 exec_lo, exec_lo, s47
	v_lshrrev_b32_e32 v5, 24, v2
	s_delay_alu instid0(VALU_DEP_1)
	v_and_or_b32 v3, 0x80, v5, v3
	global_store_b8 v[0:1], v3, off
.LBB127_1181:
	s_mov_b32 s47, 0
.LBB127_1182:
	s_delay_alu instid0(SALU_CYCLE_1)
	s_and_not1_b32 vcc_lo, exec_lo, s47
	s_cbranch_vccnz .LBB127_1192
; %bb.1183:
	v_and_b32_e32 v5, 0x7fffffff, v2
	s_mov_b32 s47, exec_lo
                                        ; implicit-def: $vgpr3
	s_delay_alu instid0(VALU_DEP_1)
	v_cmpx_gt_u32_e32 0x47800000, v5
	s_xor_b32 s47, exec_lo, s47
	s_cbranch_execz .LBB127_1189
; %bb.1184:
	s_mov_b32 s48, exec_lo
                                        ; implicit-def: $vgpr3
	v_cmpx_lt_u32_e32 0x387fffff, v5
	s_xor_b32 s48, exec_lo, s48
; %bb.1185:
	v_bfe_u32 v3, v2, 21, 1
	s_delay_alu instid0(VALU_DEP_1) | instskip(NEXT) | instid1(VALU_DEP_1)
	v_add3_u32 v3, v2, v3, 0x80fffff
	v_lshrrev_b32_e32 v3, 21, v3
; %bb.1186:
	s_and_not1_saveexec_b32 s48, s48
; %bb.1187:
	v_add_f32_e64 v3, 0x43000000, |v2|
; %bb.1188:
	s_or_b32 exec_lo, exec_lo, s48
                                        ; implicit-def: $vgpr5
.LBB127_1189:
	s_and_not1_saveexec_b32 s47, s47
; %bb.1190:
	v_mov_b32_e32 v3, 0x7f
	v_cmp_lt_u32_e32 vcc_lo, 0x7f800000, v5
	s_delay_alu instid0(VALU_DEP_2)
	v_cndmask_b32_e32 v3, 0x7c, v3, vcc_lo
; %bb.1191:
	s_or_b32 exec_lo, exec_lo, s47
	v_lshrrev_b32_e32 v5, 24, v2
	s_delay_alu instid0(VALU_DEP_1)
	v_and_or_b32 v3, 0x80, v5, v3
	global_store_b8 v[0:1], v3, off
.LBB127_1192:
	s_mov_b32 s48, 0
	s_mov_b32 s47, -1
.LBB127_1193:
	s_and_not1_b32 vcc_lo, exec_lo, s48
	s_cbranch_vccnz .LBB127_1201
; %bb.1194:
	v_cmp_lt_i16_e32 vcc_lo, 14, v6
	s_mov_b32 s48, -1
	s_cbranch_vccz .LBB127_1198
; %bb.1195:
	v_cmp_eq_u16_e32 vcc_lo, 15, v6
	s_mov_b32 s2, -1
	s_cbranch_vccz .LBB127_1197
; %bb.1196:
	v_bfe_u32 v3, v2, 16, 1
	v_cmp_o_f32_e32 vcc_lo, v2, v2
	s_mov_b32 s47, -1
	s_mov_b32 s2, 0
	s_delay_alu instid0(VALU_DEP_2) | instskip(NEXT) | instid1(VALU_DEP_1)
	v_add3_u32 v3, v2, v3, 0x7fff
	v_lshrrev_b32_e32 v3, 16, v3
	s_delay_alu instid0(VALU_DEP_1)
	v_cndmask_b32_e32 v3, 0x7fc0, v3, vcc_lo
	global_store_b16 v[0:1], v3, off
.LBB127_1197:
	s_mov_b32 s48, 0
.LBB127_1198:
	s_delay_alu instid0(SALU_CYCLE_1)
	s_and_b32 vcc_lo, exec_lo, s48
	s_cbranch_vccz .LBB127_1201
; %bb.1199:
	v_cmp_eq_u16_e32 vcc_lo, 11, v6
	s_mov_b32 s2, -1
	s_cbranch_vccz .LBB127_1201
; %bb.1200:
	v_cmp_neq_f32_e32 vcc_lo, 0, v2
	s_mov_b32 s2, 0
	s_mov_b32 s47, -1
	v_cndmask_b32_e64 v3, 0, 1, vcc_lo
	global_store_b8 v[0:1], v3, off
.LBB127_1201:
.LBB127_1202:
	s_and_not1_b32 vcc_lo, exec_lo, s47
	s_mov_b32 s47, 0
	s_cbranch_vccnz .LBB127_1102
.LBB127_1203:
	v_add_nc_u32_e32 v4, 0x80, v4
	s_mov_b32 s50, -1
	s_branch .LBB127_1104
.LBB127_1204:
	s_mov_b32 s2, -1
.LBB127_1205:
                                        ; implicit-def: $vgpr5
.LBB127_1206:
	s_and_b32 vcc_lo, exec_lo, s7
	s_cbranch_vccz .LBB127_1212
; %bb.1207:
	v_cmp_eq_u16_e32 vcc_lo, 44, v6
	s_cbranch_vccz .LBB127_1211
; %bb.1208:
	global_load_u8 v4, v[2:3], off
	s_mov_b32 s2, 0
	s_mov_b32 s6, -1
	s_waitcnt vmcnt(0)
	v_lshlrev_b32_e32 v5, 23, v4
	v_cmp_ne_u32_e32 vcc_lo, 0xff, v4
	s_delay_alu instid0(VALU_DEP_2) | instskip(SKIP_1) | instid1(VALU_DEP_2)
	v_cndmask_b32_e32 v5, 0x7f800001, v5, vcc_lo
	v_cmp_ne_u32_e32 vcc_lo, 0, v4
	v_cndmask_b32_e32 v5, 0x400000, v5, vcc_lo
	s_branch .LBB127_1212
.LBB127_1209:
	s_or_saveexec_b32 s49, s49
                                        ; implicit-def: $sgpr50
	s_delay_alu instid0(SALU_CYCLE_1)
	s_xor_b32 exec_lo, exec_lo, s49
	s_cbranch_execz .LBB127_1154
.LBB127_1210:
	v_add_f32_e64 v3, 0x46000000, |v2|
	s_and_not1_b32 s48, s48, exec_lo
	s_mov_b32 s50, 0
	s_delay_alu instid0(VALU_DEP_1) | instskip(NEXT) | instid1(VALU_DEP_1)
	v_and_b32_e32 v3, 0xff, v3
	v_cmp_ne_u32_e32 vcc_lo, 0, v3
	s_and_b32 s51, vcc_lo, exec_lo
	s_delay_alu instid0(SALU_CYCLE_1)
	s_or_b32 s48, s48, s51
	s_or_b32 exec_lo, exec_lo, s49
	v_mov_b32_e32 v5, s50
	s_and_saveexec_b32 s49, s48
	s_cbranch_execnz .LBB127_1155
	s_branch .LBB127_1156
.LBB127_1211:
	s_mov_b32 s2, -1
                                        ; implicit-def: $vgpr5
.LBB127_1212:
	s_mov_b32 s7, 0
.LBB127_1213:
	s_delay_alu instid0(SALU_CYCLE_1)
	s_and_b32 vcc_lo, exec_lo, s7
	s_cbranch_vccz .LBB127_1217
; %bb.1214:
	v_cmp_eq_u16_e32 vcc_lo, 29, v6
	s_cbranch_vccz .LBB127_1216
; %bb.1215:
	global_load_b64 v[4:5], v[2:3], off
	s_mov_b32 s2, 0
	s_mov_b32 s6, -1
	s_mov_b32 s7, 0
	s_waitcnt vmcnt(0)
	v_clz_i32_u32_e32 v7, v5
	s_delay_alu instid0(VALU_DEP_1) | instskip(NEXT) | instid1(VALU_DEP_1)
	v_min_u32_e32 v7, 32, v7
	v_lshlrev_b64 v[4:5], v7, v[4:5]
	s_delay_alu instid0(VALU_DEP_1) | instskip(NEXT) | instid1(VALU_DEP_1)
	v_min_u32_e32 v4, 1, v4
	v_or_b32_e32 v4, v5, v4
	v_sub_nc_u32_e32 v5, 32, v7
	s_delay_alu instid0(VALU_DEP_2) | instskip(NEXT) | instid1(VALU_DEP_1)
	v_cvt_f32_u32_e32 v4, v4
	v_ldexp_f32 v5, v4, v5
	s_branch .LBB127_1218
.LBB127_1216:
	s_mov_b32 s2, -1
                                        ; implicit-def: $vgpr5
.LBB127_1217:
	s_mov_b32 s7, 0
.LBB127_1218:
	s_delay_alu instid0(SALU_CYCLE_1)
	s_and_b32 vcc_lo, exec_lo, s7
	s_cbranch_vccz .LBB127_1236
; %bb.1219:
	v_cmp_gt_i16_e32 vcc_lo, 27, v6
	s_cbranch_vccnz .LBB127_1222
; %bb.1220:
	v_cmp_lt_i16_e32 vcc_lo, 27, v6
	s_cbranch_vccz .LBB127_1223
; %bb.1221:
	global_load_b32 v4, v[2:3], off
	s_mov_b32 s6, 0
	s_waitcnt vmcnt(0)
	v_cvt_f32_u32_e32 v5, v4
	s_branch .LBB127_1224
.LBB127_1222:
	s_mov_b32 s6, -1
                                        ; implicit-def: $vgpr5
	s_branch .LBB127_1227
.LBB127_1223:
	s_mov_b32 s6, -1
                                        ; implicit-def: $vgpr5
.LBB127_1224:
	s_delay_alu instid0(SALU_CYCLE_1)
	s_and_not1_b32 vcc_lo, exec_lo, s6
	s_cbranch_vccnz .LBB127_1226
; %bb.1225:
	global_load_u16 v4, v[2:3], off
	s_waitcnt vmcnt(0)
	v_cvt_f32_u32_e32 v5, v4
.LBB127_1226:
	s_mov_b32 s6, 0
.LBB127_1227:
	s_delay_alu instid0(SALU_CYCLE_1)
	s_and_not1_b32 vcc_lo, exec_lo, s6
	s_cbranch_vccnz .LBB127_1235
; %bb.1228:
	global_load_u8 v4, v[2:3], off
	s_mov_b32 s6, 0
	s_mov_b32 s12, exec_lo
                                        ; implicit-def: $sgpr7
	s_waitcnt vmcnt(0)
	v_cmpx_lt_i16_e32 0x7f, v4
	s_xor_b32 s12, exec_lo, s12
	s_cbranch_execz .LBB127_1249
; %bb.1229:
	s_mov_b32 s6, -1
	s_mov_b32 s13, exec_lo
                                        ; implicit-def: $sgpr7
	v_cmpx_eq_u16_e32 0x80, v4
; %bb.1230:
	s_mov_b32 s7, 0x7f800001
	s_xor_b32 s6, exec_lo, -1
; %bb.1231:
	s_or_b32 exec_lo, exec_lo, s13
	s_delay_alu instid0(SALU_CYCLE_1)
	s_and_b32 s6, s6, exec_lo
	s_or_saveexec_b32 s12, s12
	v_mov_b32_e32 v5, s7
	s_xor_b32 exec_lo, exec_lo, s12
	s_cbranch_execnz .LBB127_1250
.LBB127_1232:
	s_or_b32 exec_lo, exec_lo, s12
	s_and_saveexec_b32 s7, s6
	s_cbranch_execz .LBB127_1234
.LBB127_1233:
	v_and_b32_e32 v5, 0xffff, v4
	s_delay_alu instid0(VALU_DEP_1) | instskip(NEXT) | instid1(VALU_DEP_1)
	v_and_b32_e32 v7, 7, v5
	v_clz_i32_u32_e32 v8, v7
	s_delay_alu instid0(VALU_DEP_1) | instskip(NEXT) | instid1(VALU_DEP_1)
	v_min_u32_e32 v8, 32, v8
	v_subrev_nc_u32_e32 v9, 28, v8
	v_sub_nc_u32_e32 v8, 29, v8
	s_delay_alu instid0(VALU_DEP_2) | instskip(SKIP_1) | instid1(VALU_DEP_2)
	v_lshlrev_b32_e32 v9, v9, v5
	v_bfe_u32 v5, v5, 3, 4
	v_and_b32_e32 v9, 7, v9
	s_delay_alu instid0(VALU_DEP_2) | instskip(NEXT) | instid1(VALU_DEP_2)
	v_cmp_eq_u32_e32 vcc_lo, 0, v5
	v_dual_cndmask_b32 v7, v7, v9 :: v_dual_lshlrev_b32 v4, 24, v4
	v_cndmask_b32_e32 v5, v5, v8, vcc_lo
	s_delay_alu instid0(VALU_DEP_2) | instskip(NEXT) | instid1(VALU_DEP_3)
	v_and_b32_e32 v4, 0x80000000, v4
	v_lshlrev_b32_e32 v7, 20, v7
	s_delay_alu instid0(VALU_DEP_3) | instskip(NEXT) | instid1(VALU_DEP_1)
	v_lshl_add_u32 v5, v5, 23, 0x3b800000
	v_or3_b32 v5, v4, v5, v7
.LBB127_1234:
	s_or_b32 exec_lo, exec_lo, s7
.LBB127_1235:
	s_mov_b32 s6, -1
.LBB127_1236:
	s_mov_b32 s7, 0
.LBB127_1237:
	s_delay_alu instid0(SALU_CYCLE_1)
	s_and_b32 vcc_lo, exec_lo, s7
	s_cbranch_vccz .LBB127_1270
; %bb.1238:
	v_cmp_lt_i16_e32 vcc_lo, 22, v6
	s_cbranch_vccz .LBB127_1248
; %bb.1239:
	v_cmp_gt_i16_e32 vcc_lo, 24, v6
	s_cbranch_vccnz .LBB127_1251
; %bb.1240:
	v_cmp_lt_i16_e32 vcc_lo, 24, v6
	s_cbranch_vccz .LBB127_1252
; %bb.1241:
	global_load_u8 v4, v[2:3], off
	s_mov_b32 s7, exec_lo
                                        ; implicit-def: $sgpr6
	s_waitcnt vmcnt(0)
	v_cmpx_lt_i16_e32 0x7f, v4
	s_xor_b32 s7, exec_lo, s7
	s_cbranch_execz .LBB127_1264
; %bb.1242:
	s_mov_b32 s3, -1
	s_mov_b32 s12, exec_lo
                                        ; implicit-def: $sgpr6
	v_cmpx_eq_u16_e32 0x80, v4
; %bb.1243:
	s_mov_b32 s6, 0x7f800001
	s_xor_b32 s3, exec_lo, -1
; %bb.1244:
	s_or_b32 exec_lo, exec_lo, s12
	s_delay_alu instid0(SALU_CYCLE_1)
	s_and_b32 s3, s3, exec_lo
	s_or_saveexec_b32 s7, s7
	v_mov_b32_e32 v5, s6
	s_xor_b32 exec_lo, exec_lo, s7
	s_cbranch_execnz .LBB127_1265
.LBB127_1245:
	s_or_b32 exec_lo, exec_lo, s7
	s_and_saveexec_b32 s6, s3
	s_cbranch_execz .LBB127_1247
.LBB127_1246:
	v_and_b32_e32 v5, 0xffff, v4
	s_delay_alu instid0(VALU_DEP_1) | instskip(NEXT) | instid1(VALU_DEP_1)
	v_and_b32_e32 v7, 3, v5
	v_clz_i32_u32_e32 v8, v7
	s_delay_alu instid0(VALU_DEP_1) | instskip(NEXT) | instid1(VALU_DEP_1)
	v_min_u32_e32 v8, 32, v8
	v_subrev_nc_u32_e32 v9, 29, v8
	v_sub_nc_u32_e32 v8, 30, v8
	s_delay_alu instid0(VALU_DEP_2) | instskip(SKIP_1) | instid1(VALU_DEP_2)
	v_lshlrev_b32_e32 v9, v9, v5
	v_bfe_u32 v5, v5, 2, 5
	v_and_b32_e32 v9, 3, v9
	s_delay_alu instid0(VALU_DEP_2) | instskip(NEXT) | instid1(VALU_DEP_2)
	v_cmp_eq_u32_e32 vcc_lo, 0, v5
	v_dual_cndmask_b32 v7, v7, v9 :: v_dual_lshlrev_b32 v4, 24, v4
	v_cndmask_b32_e32 v5, v5, v8, vcc_lo
	s_delay_alu instid0(VALU_DEP_2) | instskip(NEXT) | instid1(VALU_DEP_3)
	v_and_b32_e32 v4, 0x80000000, v4
	v_lshlrev_b32_e32 v7, 21, v7
	s_delay_alu instid0(VALU_DEP_3) | instskip(NEXT) | instid1(VALU_DEP_1)
	v_lshl_add_u32 v5, v5, 23, 0x37800000
	v_or3_b32 v5, v4, v5, v7
.LBB127_1247:
	s_or_b32 exec_lo, exec_lo, s6
	s_mov_b32 s3, 0
	s_branch .LBB127_1253
.LBB127_1248:
	s_mov_b32 s3, -1
                                        ; implicit-def: $vgpr5
	s_branch .LBB127_1259
.LBB127_1249:
	s_or_saveexec_b32 s12, s12
	v_mov_b32_e32 v5, s7
	s_xor_b32 exec_lo, exec_lo, s12
	s_cbranch_execz .LBB127_1232
.LBB127_1250:
	v_cmp_ne_u16_e32 vcc_lo, 0, v4
	v_mov_b32_e32 v5, 0
	s_and_not1_b32 s6, s6, exec_lo
	s_and_b32 s7, vcc_lo, exec_lo
	s_delay_alu instid0(SALU_CYCLE_1)
	s_or_b32 s6, s6, s7
	s_or_b32 exec_lo, exec_lo, s12
	s_and_saveexec_b32 s7, s6
	s_cbranch_execnz .LBB127_1233
	s_branch .LBB127_1234
.LBB127_1251:
	s_mov_b32 s3, -1
                                        ; implicit-def: $vgpr5
	s_branch .LBB127_1256
.LBB127_1252:
	s_mov_b32 s3, -1
                                        ; implicit-def: $vgpr5
.LBB127_1253:
	s_delay_alu instid0(SALU_CYCLE_1)
	s_and_b32 vcc_lo, exec_lo, s3
	s_cbranch_vccz .LBB127_1255
; %bb.1254:
	global_load_u8 v4, v[2:3], off
	s_waitcnt vmcnt(0)
	v_lshlrev_b32_e32 v4, 24, v4
	s_delay_alu instid0(VALU_DEP_1) | instskip(NEXT) | instid1(VALU_DEP_1)
	v_and_b32_e32 v5, 0x7f000000, v4
	v_clz_i32_u32_e32 v7, v5
	v_add_nc_u32_e32 v9, 0x1000000, v5
	v_cmp_ne_u32_e32 vcc_lo, 0, v5
	s_delay_alu instid0(VALU_DEP_3) | instskip(NEXT) | instid1(VALU_DEP_1)
	v_min_u32_e32 v7, 32, v7
	v_sub_nc_u32_e64 v7, v7, 4 clamp
	s_delay_alu instid0(VALU_DEP_1) | instskip(SKIP_1) | instid1(VALU_DEP_2)
	v_lshlrev_b32_e32 v8, v7, v5
	v_lshlrev_b32_e32 v7, 23, v7
	v_lshrrev_b32_e32 v8, 4, v8
	s_delay_alu instid0(VALU_DEP_1) | instskip(SKIP_1) | instid1(VALU_DEP_2)
	v_sub_nc_u32_e32 v7, v8, v7
	v_ashrrev_i32_e32 v8, 8, v9
	v_add_nc_u32_e32 v7, 0x3c000000, v7
	s_delay_alu instid0(VALU_DEP_1) | instskip(NEXT) | instid1(VALU_DEP_1)
	v_and_or_b32 v7, 0x7f800000, v8, v7
	v_cndmask_b32_e32 v5, 0, v7, vcc_lo
	s_delay_alu instid0(VALU_DEP_1)
	v_and_or_b32 v5, 0x80000000, v4, v5
.LBB127_1255:
	s_mov_b32 s3, 0
.LBB127_1256:
	s_delay_alu instid0(SALU_CYCLE_1)
	s_and_not1_b32 vcc_lo, exec_lo, s3
	s_cbranch_vccnz .LBB127_1258
; %bb.1257:
	global_load_u8 v4, v[2:3], off
	s_waitcnt vmcnt(0)
	v_lshlrev_b32_e32 v5, 25, v4
	v_lshlrev_b16 v4, 8, v4
	s_delay_alu instid0(VALU_DEP_2) | instskip(NEXT) | instid1(VALU_DEP_2)
	v_lshrrev_b32_e32 v7, 4, v5
	v_and_or_b32 v8, 0x7f00, v4, 0.5
	v_cmp_gt_u32_e32 vcc_lo, 0x8000000, v5
	v_bfe_i32 v4, v4, 0, 16
	s_delay_alu instid0(VALU_DEP_4) | instskip(NEXT) | instid1(VALU_DEP_1)
	v_or_b32_e32 v7, 0x70000000, v7
	v_dual_add_f32 v8, -0.5, v8 :: v_dual_mul_f32 v7, 0x7800000, v7
	s_delay_alu instid0(VALU_DEP_1) | instskip(NEXT) | instid1(VALU_DEP_1)
	v_cndmask_b32_e32 v5, v7, v8, vcc_lo
	v_and_or_b32 v5, 0x80000000, v4, v5
.LBB127_1258:
	s_mov_b32 s3, 0
	s_mov_b32 s6, -1
.LBB127_1259:
	s_and_not1_b32 vcc_lo, exec_lo, s3
	s_mov_b32 s3, 0
	s_cbranch_vccnz .LBB127_1270
; %bb.1260:
	v_cmp_lt_i16_e32 vcc_lo, 14, v6
	s_cbranch_vccz .LBB127_1263
; %bb.1261:
	v_cmp_eq_u16_e32 vcc_lo, 15, v6
	s_cbranch_vccz .LBB127_1266
; %bb.1262:
	global_load_u16 v4, v[2:3], off
	s_mov_b32 s2, 0
	s_mov_b32 s6, -1
	s_waitcnt vmcnt(0)
	v_lshlrev_b32_e32 v5, 16, v4
	s_branch .LBB127_1268
.LBB127_1263:
	s_mov_b32 s3, -1
	s_branch .LBB127_1267
.LBB127_1264:
	s_or_saveexec_b32 s7, s7
	v_mov_b32_e32 v5, s6
	s_xor_b32 exec_lo, exec_lo, s7
	s_cbranch_execz .LBB127_1245
.LBB127_1265:
	v_cmp_ne_u16_e32 vcc_lo, 0, v4
	v_mov_b32_e32 v5, 0
	s_and_not1_b32 s3, s3, exec_lo
	s_and_b32 s6, vcc_lo, exec_lo
	s_delay_alu instid0(SALU_CYCLE_1)
	s_or_b32 s3, s3, s6
	s_or_b32 exec_lo, exec_lo, s7
	s_and_saveexec_b32 s6, s3
	s_cbranch_execnz .LBB127_1246
	s_branch .LBB127_1247
.LBB127_1266:
	s_mov_b32 s2, -1
.LBB127_1267:
                                        ; implicit-def: $vgpr5
.LBB127_1268:
	s_and_b32 vcc_lo, exec_lo, s3
	s_mov_b32 s3, 0
	s_cbranch_vccz .LBB127_1270
; %bb.1269:
	v_cmp_ne_u16_e32 vcc_lo, 11, v6
	s_and_not1_b32 s2, s2, exec_lo
	s_mov_b32 s3, -1
                                        ; implicit-def: $vgpr5
	s_and_b32 s7, vcc_lo, exec_lo
	s_delay_alu instid0(SALU_CYCLE_1)
	s_or_b32 s2, s2, s7
.LBB127_1270:
	s_mov_b32 s7, 0
.LBB127_1271:
	s_and_b32 s52, s6, exec_lo
	s_and_not1_b32 s6, s47, exec_lo
	s_and_b32 s2, s2, exec_lo
	s_and_b32 s50, s7, exec_lo
	;; [unrolled: 1-line block ×3, first 2 shown]
	s_or_b32 s51, s6, s2
.LBB127_1272:
	s_or_b32 exec_lo, exec_lo, s36
	s_delay_alu instid0(SALU_CYCLE_1)
	s_and_not1_b32 s6, s47, exec_lo
	s_and_b32 s7, s51, exec_lo
	s_and_b32 s2, s52, exec_lo
	;; [unrolled: 1-line block ×4, first 2 shown]
	s_or_b32 s47, s6, s7
.LBB127_1273:
	s_or_b32 exec_lo, exec_lo, s46
	s_delay_alu instid0(SALU_CYCLE_1)
	s_and_not1_b32 s6, s43, exec_lo
	s_and_b32 s7, s48, exec_lo
	s_and_not1_b32 s12, s44, exec_lo
	s_and_b32 s13, s49, exec_lo
	s_or_b32 s43, s6, s7
	s_and_not1_b32 s6, s42, exec_lo
	s_and_b32 s7, s47, exec_lo
	s_or_b32 s44, s12, s13
	s_and_b32 s2, s2, exec_lo
	s_and_b32 s46, s50, exec_lo
	;; [unrolled: 1-line block ×3, first 2 shown]
	s_or_b32 s42, s6, s7
.LBB127_1274:
	s_or_b32 exec_lo, exec_lo, s45
	s_delay_alu instid0(SALU_CYCLE_1)
	s_and_not1_b32 s6, s38, exec_lo
	s_and_b32 s7, s43, exec_lo
	s_and_not1_b32 s12, s39, exec_lo
	s_and_b32 s13, s44, exec_lo
	s_or_b32 s38, s6, s7
	s_and_not1_b32 s6, s40, exec_lo
	s_and_b32 s7, s42, exec_lo
	s_or_b32 s39, s12, s13
	s_and_b32 s2, s2, exec_lo
	s_and_b32 s43, s46, exec_lo
	s_and_b32 s42, s3, exec_lo
	s_or_b32 s40, s6, s7
.LBB127_1275:
	s_or_b32 exec_lo, exec_lo, s41
	s_mov_b32 s3, 0
	s_and_saveexec_b32 s6, s40
	s_cbranch_execnz .LBB127_1287
; %bb.1276:
	s_or_b32 exec_lo, exec_lo, s6
	s_and_saveexec_b32 s6, s42
	s_delay_alu instid0(SALU_CYCLE_1)
	s_xor_b32 s6, exec_lo, s6
	s_cbranch_execz .LBB127_1278
.LBB127_1277:
	global_load_u8 v4, v[2:3], off
	s_or_b32 s2, s2, exec_lo
	s_waitcnt vmcnt(0)
	v_cmp_ne_u16_e32 vcc_lo, 0, v4
	v_cndmask_b32_e64 v5, 0, 1.0, vcc_lo
.LBB127_1278:
	s_or_b32 exec_lo, exec_lo, s6
	s_and_saveexec_b32 s6, s43
	s_cbranch_execz .LBB127_1326
; %bb.1279:
	v_cmp_gt_i16_e32 vcc_lo, 5, v6
	s_cbranch_vccnz .LBB127_1284
; %bb.1280:
	v_cmp_gt_i16_e32 vcc_lo, 8, v6
	s_cbranch_vccnz .LBB127_1285
	;; [unrolled: 3-line block ×3, first 2 shown]
; %bb.1282:
	v_cmp_lt_i16_e32 vcc_lo, 9, v6
	s_cbranch_vccz .LBB127_1289
; %bb.1283:
	global_load_b64 v[4:5], v[2:3], off
	s_mov_b32 s7, 0
	s_waitcnt vmcnt(0)
	v_cvt_f32_f64_e32 v5, v[4:5]
	s_branch .LBB127_1290
.LBB127_1284:
                                        ; implicit-def: $vgpr5
	s_branch .LBB127_1307
.LBB127_1285:
                                        ; implicit-def: $vgpr5
	s_branch .LBB127_1296
.LBB127_1286:
	s_mov_b32 s7, -1
                                        ; implicit-def: $vgpr5
	s_branch .LBB127_1293
.LBB127_1287:
	s_cbranch_execnz .LBB127_1609
; %bb.1288:
	s_mov_b32 s3, exec_lo
	s_and_not1_b32 s42, s42, exec_lo
                                        ; implicit-def: $vgpr5
	s_or_b32 exec_lo, exec_lo, s6
	s_and_saveexec_b32 s6, s42
	s_delay_alu instid0(SALU_CYCLE_1)
	s_xor_b32 s6, exec_lo, s6
	s_cbranch_execnz .LBB127_1277
	s_branch .LBB127_1278
.LBB127_1289:
	s_mov_b32 s7, -1
                                        ; implicit-def: $vgpr5
.LBB127_1290:
	s_delay_alu instid0(SALU_CYCLE_1)
	s_and_not1_b32 vcc_lo, exec_lo, s7
	s_cbranch_vccnz .LBB127_1292
; %bb.1291:
	global_load_b32 v5, v[2:3], off
.LBB127_1292:
	s_mov_b32 s7, 0
.LBB127_1293:
	s_delay_alu instid0(SALU_CYCLE_1)
	s_and_not1_b32 vcc_lo, exec_lo, s7
	s_cbranch_vccnz .LBB127_1295
; %bb.1294:
	global_load_b32 v4, v[2:3], off
	s_waitcnt vmcnt(0)
	v_cvt_f32_f16_e32 v5, v4
.LBB127_1295:
	s_cbranch_execnz .LBB127_1306
.LBB127_1296:
	v_cmp_gt_i16_e32 vcc_lo, 6, v6
	s_cbranch_vccnz .LBB127_1299
; %bb.1297:
	v_cmp_lt_i16_e32 vcc_lo, 6, v6
	s_cbranch_vccz .LBB127_1300
; %bb.1298:
	global_load_b64 v[4:5], v[2:3], off
	s_mov_b32 s7, 0
	s_waitcnt vmcnt(0)
	v_cvt_f32_f64_e32 v5, v[4:5]
	s_branch .LBB127_1301
.LBB127_1299:
	s_mov_b32 s7, -1
                                        ; implicit-def: $vgpr5
	s_branch .LBB127_1304
.LBB127_1300:
	s_mov_b32 s7, -1
                                        ; implicit-def: $vgpr5
.LBB127_1301:
	s_delay_alu instid0(SALU_CYCLE_1)
	s_and_not1_b32 vcc_lo, exec_lo, s7
	s_cbranch_vccnz .LBB127_1303
; %bb.1302:
	global_load_b32 v5, v[2:3], off
.LBB127_1303:
	s_mov_b32 s7, 0
.LBB127_1304:
	s_delay_alu instid0(SALU_CYCLE_1)
	s_and_not1_b32 vcc_lo, exec_lo, s7
	s_cbranch_vccnz .LBB127_1306
; %bb.1305:
	global_load_u16 v4, v[2:3], off
	s_waitcnt vmcnt(0)
	v_cvt_f32_f16_e32 v5, v4
.LBB127_1306:
	s_cbranch_execnz .LBB127_1325
.LBB127_1307:
	v_cmp_gt_i16_e32 vcc_lo, 2, v6
	s_cbranch_vccnz .LBB127_1311
; %bb.1308:
	v_cmp_gt_i16_e32 vcc_lo, 3, v6
	s_cbranch_vccnz .LBB127_1312
; %bb.1309:
	v_cmp_lt_i16_e32 vcc_lo, 3, v6
	s_cbranch_vccz .LBB127_1313
; %bb.1310:
	global_load_b64 v[4:5], v[2:3], off
	s_mov_b32 s7, 0
	s_waitcnt vmcnt(0)
	v_xor_b32_e32 v7, v4, v5
	v_cls_i32_e32 v8, v5
	s_delay_alu instid0(VALU_DEP_2) | instskip(NEXT) | instid1(VALU_DEP_2)
	v_ashrrev_i32_e32 v7, 31, v7
	v_add_nc_u32_e32 v8, -1, v8
	s_delay_alu instid0(VALU_DEP_2) | instskip(NEXT) | instid1(VALU_DEP_1)
	v_add_nc_u32_e32 v7, 32, v7
	v_min_u32_e32 v7, v8, v7
	s_delay_alu instid0(VALU_DEP_1) | instskip(NEXT) | instid1(VALU_DEP_1)
	v_lshlrev_b64 v[4:5], v7, v[4:5]
	v_min_u32_e32 v4, 1, v4
	s_delay_alu instid0(VALU_DEP_1) | instskip(SKIP_1) | instid1(VALU_DEP_2)
	v_or_b32_e32 v4, v5, v4
	v_sub_nc_u32_e32 v5, 32, v7
	v_cvt_f32_i32_e32 v4, v4
	s_delay_alu instid0(VALU_DEP_1)
	v_ldexp_f32 v5, v4, v5
	s_branch .LBB127_1314
.LBB127_1311:
                                        ; implicit-def: $vgpr5
	s_branch .LBB127_1320
.LBB127_1312:
	s_mov_b32 s7, -1
                                        ; implicit-def: $vgpr5
	s_branch .LBB127_1317
.LBB127_1313:
	s_mov_b32 s7, -1
                                        ; implicit-def: $vgpr5
.LBB127_1314:
	s_delay_alu instid0(SALU_CYCLE_1)
	s_and_not1_b32 vcc_lo, exec_lo, s7
	s_cbranch_vccnz .LBB127_1316
; %bb.1315:
	global_load_b32 v4, v[2:3], off
	s_waitcnt vmcnt(0)
	v_cvt_f32_i32_e32 v5, v4
.LBB127_1316:
	s_mov_b32 s7, 0
.LBB127_1317:
	s_delay_alu instid0(SALU_CYCLE_1)
	s_and_not1_b32 vcc_lo, exec_lo, s7
	s_cbranch_vccnz .LBB127_1319
; %bb.1318:
	global_load_i16 v4, v[2:3], off
	s_waitcnt vmcnt(0)
	v_cvt_f32_i32_e32 v5, v4
.LBB127_1319:
	s_cbranch_execnz .LBB127_1325
.LBB127_1320:
	v_cmp_lt_i16_e32 vcc_lo, 0, v6
	s_mov_b32 s7, 0
	s_cbranch_vccz .LBB127_1322
; %bb.1321:
	global_load_i8 v4, v[2:3], off
	s_waitcnt vmcnt(0)
	v_cvt_f32_i32_e32 v5, v4
	s_branch .LBB127_1323
.LBB127_1322:
	s_mov_b32 s7, -1
                                        ; implicit-def: $vgpr5
.LBB127_1323:
	s_delay_alu instid0(SALU_CYCLE_1)
	s_and_not1_b32 vcc_lo, exec_lo, s7
	s_cbranch_vccnz .LBB127_1325
; %bb.1324:
	global_load_u8 v2, v[2:3], off
	s_waitcnt vmcnt(0)
	v_cvt_f32_ubyte0_e32 v5, v2
.LBB127_1325:
	s_or_b32 s2, s2, exec_lo
.LBB127_1326:
	s_or_b32 exec_lo, exec_lo, s6
	s_mov_b32 s7, 0
	s_mov_b32 s14, 0
	;; [unrolled: 1-line block ×3, first 2 shown]
                                        ; implicit-def: $sgpr12
                                        ; implicit-def: $vgpr4
                                        ; implicit-def: $vgpr2_vgpr3
	s_and_saveexec_b32 s6, s2
	s_cbranch_execz .LBB127_1336
; %bb.1327:
	v_and_b32_e64 v4, 0xff, s31
	v_add_co_u32 v2, s2, s8, v1
	s_delay_alu instid0(VALU_DEP_1) | instskip(NEXT) | instid1(VALU_DEP_3)
	v_add_co_ci_u32_e64 v3, null, s9, 0, s2
	v_cmp_gt_i16_e32 vcc_lo, 11, v4
	s_mov_b32 s9, 0
	s_cbranch_vccnz .LBB127_1334
; %bb.1328:
	v_cmp_lt_i16_e32 vcc_lo, 25, v4
	s_mov_b32 s2, 0
	s_cbranch_vccz .LBB127_1346
; %bb.1329:
	v_cmp_lt_i16_e32 vcc_lo, 28, v4
	s_cbranch_vccz .LBB127_1348
; %bb.1330:
	v_cmp_lt_i16_e32 vcc_lo, 43, v4
	;; [unrolled: 3-line block ×3, first 2 shown]
	s_cbranch_vccz .LBB127_1615
; %bb.1332:
	v_cmp_eq_u16_e32 vcc_lo, 46, v4
	s_mov_b32 s12, 0
	s_cbranch_vccz .LBB127_1747
; %bb.1333:
	global_load_b32 v1, v[2:3], off
	s_mov_b32 s9, -1
	s_waitcnt vmcnt(0)
	v_and_b32_e32 v1, 0x7fff7fff, v1
	s_delay_alu instid0(VALU_DEP_1)
	v_cmp_ne_u32_e32 vcc_lo, 0, v1
	s_and_b32 s8, vcc_lo, exec_lo
	s_branch .LBB127_1749
.LBB127_1334:
	s_mov_b32 s14, -1
	s_mov_b32 s2, 0
	s_mov_b32 s7, s39
                                        ; implicit-def: $sgpr8
.LBB127_1335:
	s_and_b32 s12, s8, exec_lo
	s_and_b32 s13, s9, exec_lo
	s_and_not1_b32 s8, s39, exec_lo
	s_and_b32 s9, s7, exec_lo
	s_and_b32 s14, s14, exec_lo
	;; [unrolled: 1-line block ×3, first 2 shown]
	s_or_b32 s39, s8, s9
.LBB127_1336:
	s_or_b32 exec_lo, exec_lo, s6
	s_and_saveexec_b32 s2, s39
	s_cbranch_execnz .LBB127_1350
; %bb.1337:
	s_or_b32 exec_lo, exec_lo, s2
	s_and_saveexec_b32 s2, s7
	s_delay_alu instid0(SALU_CYCLE_1)
	s_xor_b32 s2, exec_lo, s2
	s_cbranch_execz .LBB127_1339
.LBB127_1338:
	global_load_u8 v1, v[2:3], off
	s_and_not1_b32 s6, s12, exec_lo
	s_or_b32 s13, s13, exec_lo
	s_waitcnt vmcnt(0)
	v_cmp_ne_u16_e32 vcc_lo, 0, v1
	s_and_b32 s7, vcc_lo, exec_lo
	s_delay_alu instid0(SALU_CYCLE_1)
	s_or_b32 s12, s6, s7
.LBB127_1339:
	s_or_b32 exec_lo, exec_lo, s2
	s_and_saveexec_b32 s6, s14
	s_cbranch_execz .LBB127_1390
; %bb.1340:
	v_cmp_gt_i16_e32 vcc_lo, 5, v4
	s_cbranch_vccnz .LBB127_1345
; %bb.1341:
	v_cmp_gt_i16_e32 vcc_lo, 8, v4
	s_cbranch_vccnz .LBB127_1347
	;; [unrolled: 3-line block ×3, first 2 shown]
; %bb.1343:
	v_cmp_lt_i16_e32 vcc_lo, 9, v4
	s_cbranch_vccz .LBB127_1353
; %bb.1344:
	global_load_b128 v[6:9], v[2:3], off
	s_mov_b32 s7, 0
	s_waitcnt vmcnt(0)
	v_cmp_neq_f64_e32 vcc_lo, 0, v[6:7]
	v_cmp_neq_f64_e64 s2, 0, v[8:9]
	s_delay_alu instid0(VALU_DEP_1) | instskip(NEXT) | instid1(SALU_CYCLE_1)
	s_or_b32 s2, vcc_lo, s2
	s_and_b32 s2, s2, exec_lo
	s_branch .LBB127_1354
.LBB127_1345:
                                        ; implicit-def: $sgpr2
	s_branch .LBB127_1371
.LBB127_1346:
	s_mov_b32 s7, s39
                                        ; implicit-def: $sgpr8
	s_cbranch_execnz .LBB127_1776
	s_branch .LBB127_1335
.LBB127_1347:
                                        ; implicit-def: $sgpr2
	s_branch .LBB127_1360
.LBB127_1348:
	s_mov_b32 s12, -1
	s_mov_b32 s7, s39
                                        ; implicit-def: $sgpr8
	s_branch .LBB127_1757
.LBB127_1349:
	s_mov_b32 s7, -1
                                        ; implicit-def: $sgpr2
	s_branch .LBB127_1357
.LBB127_1350:
	s_cbranch_execnz .LBB127_1611
; %bb.1351:
	s_and_not1_b32 s12, s12, exec_lo
	s_or_b32 s3, s3, exec_lo
	s_and_not1_b32 s13, s13, exec_lo
	s_and_not1_b32 s7, s7, exec_lo
	s_or_b32 exec_lo, exec_lo, s2
	s_and_saveexec_b32 s2, s7
	s_delay_alu instid0(SALU_CYCLE_1)
	s_xor_b32 s2, exec_lo, s2
	s_cbranch_execnz .LBB127_1338
	s_branch .LBB127_1339
.LBB127_1352:
	s_mov_b32 s12, -1
	s_mov_b32 s7, s39
                                        ; implicit-def: $sgpr8
	s_branch .LBB127_1752
.LBB127_1353:
	s_mov_b32 s7, -1
                                        ; implicit-def: $sgpr2
.LBB127_1354:
	s_delay_alu instid0(SALU_CYCLE_1)
	s_and_not1_b32 vcc_lo, exec_lo, s7
	s_cbranch_vccnz .LBB127_1356
; %bb.1355:
	global_load_b64 v[6:7], v[2:3], off
	s_and_not1_b32 s2, s2, exec_lo
	s_waitcnt vmcnt(0)
	v_or_b32_e32 v1, v6, v7
	s_delay_alu instid0(VALU_DEP_1) | instskip(NEXT) | instid1(VALU_DEP_1)
	v_and_b32_e32 v1, 0x7fffffff, v1
	v_cmp_ne_u32_e32 vcc_lo, 0, v1
	s_and_b32 s7, vcc_lo, exec_lo
	s_delay_alu instid0(SALU_CYCLE_1)
	s_or_b32 s2, s2, s7
.LBB127_1356:
	s_mov_b32 s7, 0
.LBB127_1357:
	s_delay_alu instid0(SALU_CYCLE_1)
	s_and_not1_b32 vcc_lo, exec_lo, s7
	s_cbranch_vccnz .LBB127_1359
; %bb.1358:
	global_load_b32 v1, v[2:3], off
	s_and_not1_b32 s2, s2, exec_lo
	s_waitcnt vmcnt(0)
	v_and_b32_e32 v1, 0x7fff7fff, v1
	s_delay_alu instid0(VALU_DEP_1) | instskip(SKIP_1) | instid1(SALU_CYCLE_1)
	v_cmp_ne_u32_e32 vcc_lo, 0, v1
	s_and_b32 s7, vcc_lo, exec_lo
	s_or_b32 s2, s2, s7
.LBB127_1359:
	s_cbranch_execnz .LBB127_1370
.LBB127_1360:
	v_cmp_gt_i16_e32 vcc_lo, 6, v4
	s_cbranch_vccnz .LBB127_1363
; %bb.1361:
	v_cmp_lt_i16_e32 vcc_lo, 6, v4
	s_cbranch_vccz .LBB127_1364
; %bb.1362:
	global_load_b64 v[6:7], v[2:3], off
	s_mov_b32 s7, 0
	s_waitcnt vmcnt(0)
	v_cmp_neq_f64_e32 vcc_lo, 0, v[6:7]
	s_and_b32 s2, vcc_lo, exec_lo
	s_branch .LBB127_1365
.LBB127_1363:
	s_mov_b32 s7, -1
                                        ; implicit-def: $sgpr2
	s_branch .LBB127_1368
.LBB127_1364:
	s_mov_b32 s7, -1
                                        ; implicit-def: $sgpr2
.LBB127_1365:
	s_delay_alu instid0(SALU_CYCLE_1)
	s_and_not1_b32 vcc_lo, exec_lo, s7
	s_cbranch_vccnz .LBB127_1367
; %bb.1366:
	global_load_b32 v1, v[2:3], off
	s_and_not1_b32 s2, s2, exec_lo
	s_waitcnt vmcnt(0)
	v_cmp_neq_f32_e32 vcc_lo, 0, v1
	s_and_b32 s7, vcc_lo, exec_lo
	s_delay_alu instid0(SALU_CYCLE_1)
	s_or_b32 s2, s2, s7
.LBB127_1367:
	s_mov_b32 s7, 0
.LBB127_1368:
	s_delay_alu instid0(SALU_CYCLE_1)
	s_and_not1_b32 vcc_lo, exec_lo, s7
	s_cbranch_vccnz .LBB127_1370
; %bb.1369:
	global_load_u16 v1, v[2:3], off
	s_and_not1_b32 s2, s2, exec_lo
	s_waitcnt vmcnt(0)
	v_and_b32_e32 v1, 0x7fff, v1
	s_delay_alu instid0(VALU_DEP_1) | instskip(SKIP_1) | instid1(SALU_CYCLE_1)
	v_cmp_ne_u16_e32 vcc_lo, 0, v1
	s_and_b32 s7, vcc_lo, exec_lo
	s_or_b32 s2, s2, s7
.LBB127_1370:
	s_cbranch_execnz .LBB127_1389
.LBB127_1371:
	v_cmp_gt_i16_e32 vcc_lo, 2, v4
	s_cbranch_vccnz .LBB127_1375
; %bb.1372:
	v_cmp_gt_i16_e32 vcc_lo, 3, v4
	s_cbranch_vccnz .LBB127_1376
; %bb.1373:
	v_cmp_lt_i16_e32 vcc_lo, 3, v4
	s_cbranch_vccz .LBB127_1377
; %bb.1374:
	global_load_b64 v[6:7], v[2:3], off
	s_mov_b32 s7, 0
	s_waitcnt vmcnt(0)
	v_cmp_ne_u64_e32 vcc_lo, 0, v[6:7]
	s_and_b32 s2, vcc_lo, exec_lo
	s_branch .LBB127_1378
.LBB127_1375:
                                        ; implicit-def: $sgpr2
	s_branch .LBB127_1384
.LBB127_1376:
	s_mov_b32 s7, -1
                                        ; implicit-def: $sgpr2
	s_branch .LBB127_1381
.LBB127_1377:
	s_mov_b32 s7, -1
                                        ; implicit-def: $sgpr2
.LBB127_1378:
	s_delay_alu instid0(SALU_CYCLE_1)
	s_and_not1_b32 vcc_lo, exec_lo, s7
	s_cbranch_vccnz .LBB127_1380
; %bb.1379:
	global_load_b32 v1, v[2:3], off
	s_and_not1_b32 s2, s2, exec_lo
	s_waitcnt vmcnt(0)
	v_cmp_ne_u32_e32 vcc_lo, 0, v1
	s_and_b32 s7, vcc_lo, exec_lo
	s_delay_alu instid0(SALU_CYCLE_1)
	s_or_b32 s2, s2, s7
.LBB127_1380:
	s_mov_b32 s7, 0
.LBB127_1381:
	s_delay_alu instid0(SALU_CYCLE_1)
	s_and_not1_b32 vcc_lo, exec_lo, s7
	s_cbranch_vccnz .LBB127_1383
; %bb.1382:
	global_load_u16 v1, v[2:3], off
	s_and_not1_b32 s2, s2, exec_lo
	s_waitcnt vmcnt(0)
	v_cmp_ne_u16_e32 vcc_lo, 0, v1
	s_and_b32 s7, vcc_lo, exec_lo
	s_delay_alu instid0(SALU_CYCLE_1)
	s_or_b32 s2, s2, s7
.LBB127_1383:
	s_cbranch_execnz .LBB127_1389
.LBB127_1384:
	v_cmp_lt_i16_e32 vcc_lo, 0, v4
	s_mov_b32 s7, 0
	s_cbranch_vccz .LBB127_1386
; %bb.1385:
	global_load_u8 v1, v[2:3], off
	s_waitcnt vmcnt(0)
	v_cmp_ne_u16_e32 vcc_lo, 0, v1
	s_and_b32 s2, vcc_lo, exec_lo
	s_branch .LBB127_1387
.LBB127_1386:
	s_mov_b32 s7, -1
                                        ; implicit-def: $sgpr2
.LBB127_1387:
	s_delay_alu instid0(SALU_CYCLE_1)
	s_and_not1_b32 vcc_lo, exec_lo, s7
	s_cbranch_vccnz .LBB127_1389
; %bb.1388:
	global_load_u8 v1, v[2:3], off
	s_and_not1_b32 s2, s2, exec_lo
	s_waitcnt vmcnt(0)
	v_cmp_ne_u16_e32 vcc_lo, 0, v1
	s_and_b32 s7, vcc_lo, exec_lo
	s_delay_alu instid0(SALU_CYCLE_1)
	s_or_b32 s2, s2, s7
.LBB127_1389:
	s_and_not1_b32 s7, s12, exec_lo
	s_and_b32 s2, s2, exec_lo
	s_or_b32 s13, s13, exec_lo
	s_or_b32 s12, s7, s2
.LBB127_1390:
	s_or_b32 exec_lo, exec_lo, s6
	s_mov_b32 s2, 0
	s_mov_b32 s7, 0
                                        ; implicit-def: $vgpr6
                                        ; implicit-def: $vgpr1_vgpr2
                                        ; implicit-def: $vgpr3
	s_and_saveexec_b32 s6, s13
	s_cbranch_execz .LBB127_1467
; %bb.1391:
	v_cndmask_b32_e64 v1, 0, 1.0, s12
	v_and_b32_e64 v6, 0xff, s11
	s_mov_b32 s8, 0
	s_waitcnt vmcnt(0)
	s_delay_alu instid0(VALU_DEP_2) | instskip(NEXT) | instid1(VALU_DEP_2)
	v_mul_f32_e32 v3, v5, v1
	v_cmp_gt_i16_e32 vcc_lo, 11, v6
	v_add_co_u32 v1, s2, s4, v0
	s_delay_alu instid0(VALU_DEP_1) | instskip(NEXT) | instid1(VALU_DEP_4)
	v_add_co_ci_u32_e64 v2, null, s5, 0, s2
	v_mul_f32_e32 v3, s10, v3
	s_mov_b32 s4, -1
	s_mov_b32 s2, s38
	s_cbranch_vccnz .LBB127_1466
; %bb.1392:
	v_cmp_lt_i16_e32 vcc_lo, 25, v6
	s_mov_b32 s2, s38
	s_cbranch_vccz .LBB127_1425
; %bb.1393:
	v_cmp_lt_i16_e32 vcc_lo, 28, v6
	s_mov_b32 s2, s38
	s_cbranch_vccz .LBB127_1409
	;; [unrolled: 4-line block ×4, first 2 shown]
; %bb.1396:
	v_cmp_eq_u16_e32 vcc_lo, 46, v6
	s_mov_b32 s2, -1
	s_cbranch_vccz .LBB127_1398
; %bb.1397:
	v_bfe_u32 v0, v3, 16, 1
	v_cmp_o_f32_e32 vcc_lo, v3, v3
	s_mov_b32 s2, 0
	s_delay_alu instid0(VALU_DEP_2) | instskip(NEXT) | instid1(VALU_DEP_1)
	v_add3_u32 v0, v3, v0, 0x7fff
	v_lshrrev_b32_e32 v0, 16, v0
	s_delay_alu instid0(VALU_DEP_1)
	v_cndmask_b32_e32 v0, 0x7fc0, v0, vcc_lo
	global_store_b32 v[1:2], v0, off
.LBB127_1398:
	s_mov_b32 s4, 0
.LBB127_1399:
	s_delay_alu instid0(SALU_CYCLE_1)
	s_and_b32 vcc_lo, exec_lo, s4
	s_cbranch_vccz .LBB127_1404
; %bb.1400:
	v_cmp_eq_u16_e32 vcc_lo, 44, v6
	s_mov_b32 s2, -1
	s_cbranch_vccz .LBB127_1404
; %bb.1401:
	v_bfe_u32 v4, v3, 23, 8
	v_mov_b32_e32 v0, 0xff
	s_mov_b32 s4, exec_lo
	s_delay_alu instid0(VALU_DEP_2)
	v_cmpx_ne_u32_e32 0xff, v4
; %bb.1402:
	v_and_b32_e32 v0, 0x400000, v3
	v_and_or_b32 v4, 0x3fffff, v3, v4
	s_delay_alu instid0(VALU_DEP_2) | instskip(NEXT) | instid1(VALU_DEP_2)
	v_cmp_ne_u32_e32 vcc_lo, 0, v0
	v_cmp_ne_u32_e64 s2, 0, v4
	v_lshrrev_b32_e32 v0, 23, v3
	s_delay_alu instid0(VALU_DEP_2) | instskip(NEXT) | instid1(SALU_CYCLE_1)
	s_and_b32 s2, vcc_lo, s2
	v_cndmask_b32_e64 v4, 0, 1, s2
	s_delay_alu instid0(VALU_DEP_1)
	v_add_nc_u32_e32 v0, v0, v4
; %bb.1403:
	s_or_b32 exec_lo, exec_lo, s4
	s_mov_b32 s2, 0
	global_store_b8 v[1:2], v0, off
.LBB127_1404:
	s_mov_b32 s4, 0
.LBB127_1405:
	s_delay_alu instid0(SALU_CYCLE_1)
	s_and_b32 vcc_lo, exec_lo, s4
	s_cbranch_vccz .LBB127_1408
; %bb.1406:
	v_cmp_eq_u16_e32 vcc_lo, 29, v6
	s_mov_b32 s2, -1
	s_cbranch_vccz .LBB127_1408
; %bb.1407:
	v_trunc_f32_e32 v0, v3
	s_mov_b32 s2, 0
	s_delay_alu instid0(VALU_DEP_1) | instskip(NEXT) | instid1(VALU_DEP_1)
	v_mul_f32_e32 v4, 0x2f800000, v0
	v_floor_f32_e32 v4, v4
	s_delay_alu instid0(VALU_DEP_1) | instskip(SKIP_1) | instid1(VALU_DEP_2)
	v_fmamk_f32 v0, v4, 0xcf800000, v0
	v_cvt_u32_f32_e32 v5, v4
	v_cvt_u32_f32_e32 v4, v0
	global_store_b64 v[1:2], v[4:5], off
.LBB127_1408:
	s_mov_b32 s4, 0
.LBB127_1409:
	s_delay_alu instid0(SALU_CYCLE_1)
	s_and_b32 vcc_lo, exec_lo, s4
	s_cbranch_vccz .LBB127_1424
; %bb.1410:
	v_cmp_gt_i16_e32 vcc_lo, 27, v6
	s_mov_b32 s4, -1
	s_cbranch_vccnz .LBB127_1416
; %bb.1411:
	v_cmp_lt_i16_e32 vcc_lo, 27, v6
	v_cvt_u32_f32_e32 v0, v3
	s_cbranch_vccz .LBB127_1413
; %bb.1412:
	s_mov_b32 s4, 0
	global_store_b32 v[1:2], v0, off
.LBB127_1413:
	s_and_not1_b32 vcc_lo, exec_lo, s4
	s_cbranch_vccnz .LBB127_1415
; %bb.1414:
	global_store_b16 v[1:2], v0, off
.LBB127_1415:
	s_mov_b32 s4, 0
.LBB127_1416:
	s_delay_alu instid0(SALU_CYCLE_1)
	s_and_not1_b32 vcc_lo, exec_lo, s4
	s_cbranch_vccnz .LBB127_1424
; %bb.1417:
	v_and_b32_e32 v0, 0x7fffffff, v3
	v_mov_b32_e32 v4, 0x80
	s_mov_b32 s4, exec_lo
	s_delay_alu instid0(VALU_DEP_2)
	v_cmpx_gt_u32_e32 0x43800000, v0
	s_cbranch_execz .LBB127_1423
; %bb.1418:
	v_cmp_lt_u32_e32 vcc_lo, 0x3bffffff, v0
	s_mov_b32 s5, 0
                                        ; implicit-def: $vgpr0
	s_and_saveexec_b32 s7, vcc_lo
	s_delay_alu instid0(SALU_CYCLE_1)
	s_xor_b32 s7, exec_lo, s7
	s_cbranch_execz .LBB127_1704
; %bb.1419:
	v_bfe_u32 v0, v3, 20, 1
	s_mov_b32 s5, exec_lo
	s_delay_alu instid0(VALU_DEP_1) | instskip(NEXT) | instid1(VALU_DEP_1)
	v_add3_u32 v0, v3, v0, 0x487ffff
	v_lshrrev_b32_e32 v0, 20, v0
	s_or_saveexec_b32 s7, s7
                                        ; implicit-def: $sgpr8
	s_delay_alu instid0(SALU_CYCLE_1)
	s_xor_b32 exec_lo, exec_lo, s7
	s_cbranch_execnz .LBB127_1705
.LBB127_1420:
	s_or_b32 exec_lo, exec_lo, s7
	v_mov_b32_e32 v4, s8
	s_and_saveexec_b32 s7, s5
.LBB127_1421:
	v_lshrrev_b32_e32 v4, 24, v3
	s_delay_alu instid0(VALU_DEP_1)
	v_and_or_b32 v4, 0x80, v4, v0
.LBB127_1422:
	s_or_b32 exec_lo, exec_lo, s7
.LBB127_1423:
	s_delay_alu instid0(SALU_CYCLE_1)
	s_or_b32 exec_lo, exec_lo, s4
	global_store_b8 v[1:2], v4, off
.LBB127_1424:
	s_mov_b32 s4, 0
.LBB127_1425:
	s_delay_alu instid0(SALU_CYCLE_1)
	s_and_b32 vcc_lo, exec_lo, s4
	s_mov_b32 s4, 0
	s_cbranch_vccz .LBB127_1465
; %bb.1426:
	v_cmp_lt_i16_e32 vcc_lo, 22, v6
	s_mov_b32 s5, -1
	s_cbranch_vccz .LBB127_1458
; %bb.1427:
	v_cmp_gt_i16_e32 vcc_lo, 24, v6
	s_cbranch_vccnz .LBB127_1447
; %bb.1428:
	v_cmp_lt_i16_e32 vcc_lo, 24, v6
	s_cbranch_vccz .LBB127_1436
; %bb.1429:
	v_and_b32_e32 v0, 0x7fffffff, v3
	v_mov_b32_e32 v4, 0x80
	s_mov_b32 s5, exec_lo
	s_delay_alu instid0(VALU_DEP_2)
	v_cmpx_gt_u32_e32 0x47800000, v0
	s_cbranch_execz .LBB127_1435
; %bb.1430:
	v_cmp_lt_u32_e32 vcc_lo, 0x37ffffff, v0
	s_mov_b32 s7, 0
                                        ; implicit-def: $vgpr0
	s_and_saveexec_b32 s8, vcc_lo
	s_delay_alu instid0(SALU_CYCLE_1)
	s_xor_b32 s8, exec_lo, s8
	s_cbranch_execz .LBB127_1895
; %bb.1431:
	v_bfe_u32 v0, v3, 21, 1
	s_mov_b32 s7, exec_lo
	s_delay_alu instid0(VALU_DEP_1) | instskip(NEXT) | instid1(VALU_DEP_1)
	v_add3_u32 v0, v3, v0, 0x88fffff
	v_lshrrev_b32_e32 v0, 21, v0
	s_or_saveexec_b32 s8, s8
                                        ; implicit-def: $sgpr9
	s_delay_alu instid0(SALU_CYCLE_1)
	s_xor_b32 exec_lo, exec_lo, s8
	s_cbranch_execnz .LBB127_1896
.LBB127_1432:
	s_or_b32 exec_lo, exec_lo, s8
	v_mov_b32_e32 v4, s9
	s_and_saveexec_b32 s8, s7
.LBB127_1433:
	v_lshrrev_b32_e32 v4, 24, v3
	s_delay_alu instid0(VALU_DEP_1)
	v_and_or_b32 v4, 0x80, v4, v0
.LBB127_1434:
	s_or_b32 exec_lo, exec_lo, s8
.LBB127_1435:
	s_delay_alu instid0(SALU_CYCLE_1)
	s_or_b32 exec_lo, exec_lo, s5
	s_mov_b32 s5, 0
	global_store_b8 v[1:2], v4, off
.LBB127_1436:
	s_and_b32 vcc_lo, exec_lo, s5
	s_cbranch_vccz .LBB127_1446
; %bb.1437:
	v_and_b32_e32 v4, 0x7fffffff, v3
	s_mov_b32 s5, exec_lo
                                        ; implicit-def: $vgpr0
	s_delay_alu instid0(VALU_DEP_1)
	v_cmpx_gt_u32_e32 0x43f00000, v4
	s_xor_b32 s5, exec_lo, s5
	s_cbranch_execz .LBB127_1443
; %bb.1438:
	s_mov_b32 s7, exec_lo
                                        ; implicit-def: $vgpr0
	v_cmpx_lt_u32_e32 0x3c7fffff, v4
	s_xor_b32 s7, exec_lo, s7
; %bb.1439:
	v_bfe_u32 v0, v3, 20, 1
	s_delay_alu instid0(VALU_DEP_1) | instskip(NEXT) | instid1(VALU_DEP_1)
	v_add3_u32 v0, v3, v0, 0x407ffff
	v_and_b32_e32 v4, 0xff00000, v0
	v_lshrrev_b32_e32 v0, 20, v0
	s_delay_alu instid0(VALU_DEP_2) | instskip(NEXT) | instid1(VALU_DEP_2)
	v_cmp_ne_u32_e32 vcc_lo, 0x7f00000, v4
	v_cndmask_b32_e32 v0, 0x7e, v0, vcc_lo
; %bb.1440:
	s_and_not1_saveexec_b32 s7, s7
; %bb.1441:
	v_add_f32_e64 v0, 0x46800000, |v3|
; %bb.1442:
	s_or_b32 exec_lo, exec_lo, s7
                                        ; implicit-def: $vgpr4
.LBB127_1443:
	s_and_not1_saveexec_b32 s5, s5
; %bb.1444:
	v_mov_b32_e32 v0, 0x7f
	v_cmp_lt_u32_e32 vcc_lo, 0x7f800000, v4
	s_delay_alu instid0(VALU_DEP_2)
	v_cndmask_b32_e32 v0, 0x7e, v0, vcc_lo
; %bb.1445:
	s_or_b32 exec_lo, exec_lo, s5
	v_lshrrev_b32_e32 v4, 24, v3
	s_delay_alu instid0(VALU_DEP_1)
	v_and_or_b32 v0, 0x80, v4, v0
	global_store_b8 v[1:2], v0, off
.LBB127_1446:
	s_mov_b32 s5, 0
.LBB127_1447:
	s_delay_alu instid0(SALU_CYCLE_1)
	s_and_not1_b32 vcc_lo, exec_lo, s5
	s_cbranch_vccnz .LBB127_1457
; %bb.1448:
	v_and_b32_e32 v4, 0x7fffffff, v3
	s_mov_b32 s5, exec_lo
                                        ; implicit-def: $vgpr0
	s_delay_alu instid0(VALU_DEP_1)
	v_cmpx_gt_u32_e32 0x47800000, v4
	s_xor_b32 s5, exec_lo, s5
	s_cbranch_execz .LBB127_1454
; %bb.1449:
	s_mov_b32 s7, exec_lo
                                        ; implicit-def: $vgpr0
	v_cmpx_lt_u32_e32 0x387fffff, v4
	s_xor_b32 s7, exec_lo, s7
; %bb.1450:
	v_bfe_u32 v0, v3, 21, 1
	s_delay_alu instid0(VALU_DEP_1) | instskip(NEXT) | instid1(VALU_DEP_1)
	v_add3_u32 v0, v3, v0, 0x80fffff
	v_lshrrev_b32_e32 v0, 21, v0
; %bb.1451:
	s_and_not1_saveexec_b32 s7, s7
; %bb.1452:
	v_add_f32_e64 v0, 0x43000000, |v3|
; %bb.1453:
	s_or_b32 exec_lo, exec_lo, s7
                                        ; implicit-def: $vgpr4
.LBB127_1454:
	s_and_not1_saveexec_b32 s5, s5
; %bb.1455:
	v_mov_b32_e32 v0, 0x7f
	v_cmp_lt_u32_e32 vcc_lo, 0x7f800000, v4
	s_delay_alu instid0(VALU_DEP_2)
	v_cndmask_b32_e32 v0, 0x7c, v0, vcc_lo
; %bb.1456:
	s_or_b32 exec_lo, exec_lo, s5
	v_lshrrev_b32_e32 v4, 24, v3
	s_delay_alu instid0(VALU_DEP_1)
	v_and_or_b32 v0, 0x80, v4, v0
	global_store_b8 v[1:2], v0, off
.LBB127_1457:
	s_mov_b32 s5, 0
.LBB127_1458:
	s_delay_alu instid0(SALU_CYCLE_1)
	s_and_not1_b32 vcc_lo, exec_lo, s5
	s_mov_b32 s8, 0
	s_cbranch_vccnz .LBB127_1466
; %bb.1459:
	v_cmp_lt_i16_e32 vcc_lo, 14, v6
	s_mov_b32 s5, -1
	s_cbranch_vccz .LBB127_1463
; %bb.1460:
	v_cmp_eq_u16_e32 vcc_lo, 15, v6
	s_mov_b32 s2, -1
	s_cbranch_vccz .LBB127_1462
; %bb.1461:
	v_bfe_u32 v0, v3, 16, 1
	v_cmp_o_f32_e32 vcc_lo, v3, v3
	s_mov_b32 s2, 0
	s_delay_alu instid0(VALU_DEP_2) | instskip(NEXT) | instid1(VALU_DEP_1)
	v_add3_u32 v0, v3, v0, 0x7fff
	v_lshrrev_b32_e32 v0, 16, v0
	s_delay_alu instid0(VALU_DEP_1)
	v_cndmask_b32_e32 v0, 0x7fc0, v0, vcc_lo
	global_store_b16 v[1:2], v0, off
.LBB127_1462:
	s_mov_b32 s5, 0
.LBB127_1463:
	s_delay_alu instid0(SALU_CYCLE_1)
	s_and_b32 vcc_lo, exec_lo, s5
	s_cbranch_vccz .LBB127_1466
; %bb.1464:
	v_cmp_ne_u16_e32 vcc_lo, 11, v6
	s_and_not1_b32 s2, s2, exec_lo
	s_mov_b32 s8, -1
	s_and_b32 s5, vcc_lo, exec_lo
	s_delay_alu instid0(SALU_CYCLE_1)
	s_or_b32 s2, s2, s5
	s_branch .LBB127_1466
.LBB127_1465:
	s_mov_b32 s8, 0
.LBB127_1466:
	s_and_b32 s7, s4, exec_lo
	s_and_not1_b32 s4, s38, exec_lo
	s_and_b32 s5, s2, exec_lo
	s_and_b32 s2, s8, exec_lo
	s_or_b32 s38, s4, s5
.LBB127_1467:
	s_or_b32 exec_lo, exec_lo, s6
	s_and_saveexec_b32 s4, s38
	s_cbranch_execnz .LBB127_1569
; %bb.1468:
	s_or_b32 exec_lo, exec_lo, s4
	s_and_saveexec_b32 s4, s2
	s_delay_alu instid0(SALU_CYCLE_1)
	s_xor_b32 s2, exec_lo, s4
	s_cbranch_execz .LBB127_1470
.LBB127_1469:
	v_cmp_neq_f32_e32 vcc_lo, 0, v3
	v_cndmask_b32_e64 v0, 0, 1, vcc_lo
	global_store_b8 v[1:2], v0, off
.LBB127_1470:
	s_or_b32 exec_lo, exec_lo, s2
	s_and_saveexec_b32 s2, s7
	s_delay_alu instid0(SALU_CYCLE_1)
	s_xor_b32 s2, exec_lo, s2
	s_cbranch_execz .LBB127_1508
; %bb.1471:
	v_cmp_gt_i16_e32 vcc_lo, 5, v6
	s_mov_b32 s4, -1
	s_cbranch_vccnz .LBB127_1492
; %bb.1472:
	v_cmp_gt_i16_e32 vcc_lo, 8, v6
	s_cbranch_vccnz .LBB127_1482
; %bb.1473:
	v_cmp_gt_i16_e32 vcc_lo, 9, v6
	s_cbranch_vccnz .LBB127_1479
; %bb.1474:
	v_cmp_lt_i16_e32 vcc_lo, 9, v6
	s_cbranch_vccz .LBB127_1476
; %bb.1475:
	v_cvt_f64_f32_e32 v[7:8], v3
	v_mov_b32_e32 v9, 0
	s_mov_b32 s4, 0
	s_delay_alu instid0(VALU_DEP_1)
	v_mov_b32_e32 v10, v9
	global_store_b128 v[1:2], v[7:10], off
.LBB127_1476:
	s_and_not1_b32 vcc_lo, exec_lo, s4
	s_cbranch_vccnz .LBB127_1478
; %bb.1477:
	v_mov_b32_e32 v4, 0
	global_store_b64 v[1:2], v[3:4], off
.LBB127_1478:
	s_mov_b32 s4, 0
.LBB127_1479:
	s_delay_alu instid0(SALU_CYCLE_1)
	s_and_not1_b32 vcc_lo, exec_lo, s4
	s_cbranch_vccnz .LBB127_1481
; %bb.1480:
	v_cvt_f16_f32_e32 v0, v3
	s_delay_alu instid0(VALU_DEP_1)
	v_and_b32_e32 v0, 0xffff, v0
	global_store_b32 v[1:2], v0, off
.LBB127_1481:
	s_mov_b32 s4, 0
.LBB127_1482:
	s_delay_alu instid0(SALU_CYCLE_1)
	s_and_not1_b32 vcc_lo, exec_lo, s4
	s_cbranch_vccnz .LBB127_1491
; %bb.1483:
	v_cmp_gt_i16_e32 vcc_lo, 6, v6
	s_mov_b32 s4, -1
	s_cbranch_vccnz .LBB127_1489
; %bb.1484:
	v_cmp_lt_i16_e32 vcc_lo, 6, v6
	s_cbranch_vccz .LBB127_1486
; %bb.1485:
	s_waitcnt vmcnt(0)
	v_cvt_f64_f32_e32 v[4:5], v3
	s_mov_b32 s4, 0
	global_store_b64 v[1:2], v[4:5], off
.LBB127_1486:
	s_and_not1_b32 vcc_lo, exec_lo, s4
	s_cbranch_vccnz .LBB127_1488
; %bb.1487:
	global_store_b32 v[1:2], v3, off
.LBB127_1488:
	s_mov_b32 s4, 0
.LBB127_1489:
	s_delay_alu instid0(SALU_CYCLE_1)
	s_and_not1_b32 vcc_lo, exec_lo, s4
	s_cbranch_vccnz .LBB127_1491
; %bb.1490:
	v_cvt_f16_f32_e32 v0, v3
	global_store_b16 v[1:2], v0, off
.LBB127_1491:
	s_mov_b32 s4, 0
.LBB127_1492:
	s_delay_alu instid0(SALU_CYCLE_1)
	s_and_not1_b32 vcc_lo, exec_lo, s4
	s_cbranch_vccnz .LBB127_1508
; %bb.1493:
	v_cmp_gt_i16_e32 vcc_lo, 2, v6
	s_mov_b32 s4, -1
	s_cbranch_vccnz .LBB127_1503
; %bb.1494:
	v_cmp_gt_i16_e32 vcc_lo, 3, v6
	s_cbranch_vccnz .LBB127_1500
; %bb.1495:
	v_cmp_lt_i16_e32 vcc_lo, 3, v6
	s_cbranch_vccz .LBB127_1497
; %bb.1496:
	v_trunc_f32_e32 v0, v3
	s_mov_b32 s4, 0
	s_delay_alu instid0(VALU_DEP_1) | instskip(NEXT) | instid1(VALU_DEP_1)
	v_mul_f32_e64 v4, 0x2f800000, |v0|
	v_floor_f32_e32 v4, v4
	s_waitcnt vmcnt(0)
	s_delay_alu instid0(VALU_DEP_1) | instskip(SKIP_2) | instid1(VALU_DEP_3)
	v_fma_f32 v5, 0xcf800000, v4, |v0|
	v_ashrrev_i32_e32 v0, 31, v0
	v_cvt_u32_f32_e32 v4, v4
	v_cvt_u32_f32_e32 v5, v5
	s_delay_alu instid0(VALU_DEP_2) | instskip(NEXT) | instid1(VALU_DEP_2)
	v_xor_b32_e32 v7, v4, v0
	v_xor_b32_e32 v5, v5, v0
	s_delay_alu instid0(VALU_DEP_1) | instskip(NEXT) | instid1(VALU_DEP_3)
	v_sub_co_u32 v4, vcc_lo, v5, v0
	v_sub_co_ci_u32_e32 v5, vcc_lo, v7, v0, vcc_lo
	global_store_b64 v[1:2], v[4:5], off
.LBB127_1497:
	s_and_not1_b32 vcc_lo, exec_lo, s4
	s_cbranch_vccnz .LBB127_1499
; %bb.1498:
	v_cvt_i32_f32_e32 v0, v3
	global_store_b32 v[1:2], v0, off
.LBB127_1499:
	s_mov_b32 s4, 0
.LBB127_1500:
	s_delay_alu instid0(SALU_CYCLE_1)
	s_and_not1_b32 vcc_lo, exec_lo, s4
	s_cbranch_vccnz .LBB127_1502
; %bb.1501:
	v_cvt_i32_f32_e32 v0, v3
	global_store_b16 v[1:2], v0, off
.LBB127_1502:
	s_mov_b32 s4, 0
.LBB127_1503:
	s_delay_alu instid0(SALU_CYCLE_1)
	s_and_not1_b32 vcc_lo, exec_lo, s4
	s_cbranch_vccnz .LBB127_1508
; %bb.1504:
	v_cmp_lt_i16_e32 vcc_lo, 0, v6
	s_mov_b32 s4, -1
	s_cbranch_vccz .LBB127_1506
; %bb.1505:
	v_cvt_i32_f32_e32 v0, v3
	s_mov_b32 s4, 0
	global_store_b8 v[1:2], v0, off
.LBB127_1506:
	s_and_not1_b32 vcc_lo, exec_lo, s4
	s_cbranch_vccnz .LBB127_1508
; %bb.1507:
	v_trunc_f32_e32 v0, v3
	s_delay_alu instid0(VALU_DEP_1) | instskip(NEXT) | instid1(VALU_DEP_1)
	v_mul_f32_e64 v3, 0x2f800000, |v0|
	v_floor_f32_e32 v3, v3
	s_delay_alu instid0(VALU_DEP_1) | instskip(SKIP_1) | instid1(VALU_DEP_2)
	v_fma_f32 v3, 0xcf800000, v3, |v0|
	v_ashrrev_i32_e32 v0, 31, v0
	v_cvt_u32_f32_e32 v3, v3
	s_delay_alu instid0(VALU_DEP_1) | instskip(NEXT) | instid1(VALU_DEP_1)
	v_xor_b32_e32 v3, v3, v0
	v_sub_nc_u32_e32 v0, v3, v0
	global_store_b8 v[1:2], v0, off
.LBB127_1508:
	s_or_b32 exec_lo, exec_lo, s2
	s_delay_alu instid0(SALU_CYCLE_1)
	s_and_b32 s8, s3, exec_lo
                                        ; implicit-def: $vgpr12
                                        ; implicit-def: $vgpr4
.LBB127_1509:
	s_or_saveexec_b32 s9, s30
	s_mov_b32 s2, 0
                                        ; implicit-def: $vgpr0_vgpr1
                                        ; implicit-def: $sgpr3
                                        ; implicit-def: $vgpr2
	s_xor_b32 exec_lo, exec_lo, s9
	s_cbranch_execz .LBB127_3066
; %bb.1510:
	v_cndmask_b32_e64 v0, 0, 1, s29
	s_and_not1_b32 vcc_lo, exec_lo, s29
	s_cbranch_vccnz .LBB127_1516
; %bb.1511:
	v_dual_mov_b32 v3, 0 :: v_dual_mov_b32 v10, 0
	v_mov_b32_e32 v11, 0
	s_cmp_lg_u32 s26, 0
	s_mov_b32 s4, 0
	s_cbranch_scc0 .LBB127_1517
; %bb.1512:
	s_min_u32 s5, s27, 15
	v_dual_mov_b32 v10, 0 :: v_dual_mov_b32 v11, 0
	s_add_i32 s2, s5, 1
	v_mov_b32_e32 v3, 0
	v_mov_b32_e32 v1, v4
	s_and_b32 s6, s2, 30
	s_add_u32 s2, s20, 0xffffffec
	s_addc_u32 s3, s21, -1
	s_set_inst_prefetch_distance 0x1
	.p2align	6
.LBB127_1513:                           ; =>This Inner Loop Header: Depth=1
	s_clause 0x2
	s_load_b128 s[12:15], s[2:3], 0x18
	s_load_b64 s[10:11], s[2:3], 0x28
	s_load_b128 s[16:19], s[2:3], 0xd8
	s_waitcnt lgkmcnt(0)
	v_mul_hi_u32 v2, s13, v1
	s_delay_alu instid0(VALU_DEP_1) | instskip(NEXT) | instid1(VALU_DEP_1)
	v_add_nc_u32_e32 v2, v1, v2
	v_lshrrev_b32_e32 v2, s14, v2
	s_waitcnt vmcnt(0)
	s_delay_alu instid0(VALU_DEP_1)
	v_mul_hi_u32 v5, s10, v2
	v_mul_lo_u32 v6, v2, s12
	s_load_b64 s[12:13], s[2:3], 0xe8
	s_add_u32 s2, s2, 24
	s_addc_u32 s3, s3, 0
	s_add_i32 s6, s6, -2
	s_delay_alu instid0(SALU_CYCLE_1) | instskip(NEXT) | instid1(VALU_DEP_2)
	s_cmp_lg_u32 s6, 0
	v_add_nc_u32_e32 v5, v2, v5
	s_delay_alu instid0(VALU_DEP_2) | instskip(NEXT) | instid1(VALU_DEP_2)
	v_sub_nc_u32_e32 v6, v1, v6
	v_lshrrev_b32_e32 v1, s11, v5
	s_delay_alu instid0(VALU_DEP_2) | instskip(NEXT) | instid1(VALU_DEP_2)
	v_mul_lo_u32 v7, v6, s16
	v_mul_lo_u32 v5, v1, s15
	s_delay_alu instid0(VALU_DEP_1) | instskip(SKIP_2) | instid1(VALU_DEP_3)
	v_sub_nc_u32_e32 v2, v2, v5
	v_mul_lo_u32 v5, v6, s17
	v_mul_lo_u32 v6, v6, s18
	;; [unrolled: 1-line block ×3, first 2 shown]
	s_waitcnt lgkmcnt(0)
	v_mul_lo_u32 v9, v2, s12
	v_mul_lo_u32 v2, v2, s13
	s_delay_alu instid0(VALU_DEP_3) | instskip(NEXT) | instid1(VALU_DEP_3)
	v_add3_u32 v3, v7, v3, v8
	v_add3_u32 v11, v5, v11, v9
	s_delay_alu instid0(VALU_DEP_3)
	v_add3_u32 v10, v6, v10, v2
	s_cbranch_scc1 .LBB127_1513
; %bb.1514:
	s_set_inst_prefetch_distance 0x2
	s_bitcmp1_b32 s5, 0
	s_cselect_b32 s5, -1, 0
	s_delay_alu instid0(SALU_CYCLE_1)
	s_and_b32 vcc_lo, exec_lo, s5
	s_cbranch_vccnz .LBB127_1517
; %bb.1515:
	s_clause 0x3
	s_load_b64 s[6:7], s[2:3], 0x18
	s_load_b32 s5, s[2:3], 0x20
	s_load_b64 s[10:11], s[2:3], 0xd8
	s_load_b32 s2, s[2:3], 0xe0
	s_waitcnt lgkmcnt(0)
	v_mul_hi_u32 v2, s7, v1
	s_delay_alu instid0(VALU_DEP_1) | instskip(NEXT) | instid1(VALU_DEP_1)
	v_add_nc_u32_e32 v2, v1, v2
	v_lshrrev_b32_e32 v2, s5, v2
	s_delay_alu instid0(VALU_DEP_1) | instskip(NEXT) | instid1(VALU_DEP_1)
	v_mul_lo_u32 v2, v2, s6
	v_sub_nc_u32_e32 v7, v1, v2
	s_delay_alu instid0(VALU_DEP_1) | instskip(SKIP_2) | instid1(VALU_DEP_3)
	v_mad_u64_u32 v[1:2], null, v7, s10, v[3:4]
	v_mad_u64_u32 v[2:3], null, v7, s11, v[11:12]
	;; [unrolled: 1-line block ×3, first 2 shown]
	v_mov_b32_e32 v3, v1
	s_delay_alu instid0(VALU_DEP_2)
	v_dual_mov_b32 v11, v2 :: v_dual_mov_b32 v10, v5
	s_branch .LBB127_1517
.LBB127_1516:
	s_mov_b32 s4, -1
                                        ; implicit-def: $vgpr3
                                        ; implicit-def: $vgpr11
                                        ; implicit-def: $vgpr10
.LBB127_1517:
	s_delay_alu instid0(SALU_CYCLE_1)
	s_and_not1_b32 vcc_lo, exec_lo, s4
	s_cbranch_vccnz .LBB127_1520
; %bb.1518:
	s_clause 0x1
	s_load_b128 s[4:7], s[20:21], 0x4
	s_load_b128 s[12:15], s[20:21], 0xc4
	s_cmp_lt_u32 s26, 2
	s_waitcnt lgkmcnt(0)
	v_mul_hi_u32 v1, s5, v4
	s_delay_alu instid0(VALU_DEP_1) | instskip(NEXT) | instid1(VALU_DEP_1)
	v_add_nc_u32_e32 v1, v4, v1
	v_lshrrev_b32_e32 v1, s6, v1
	s_delay_alu instid0(VALU_DEP_1) | instskip(NEXT) | instid1(VALU_DEP_1)
	v_mul_lo_u32 v2, v1, s4
	v_sub_nc_u32_e32 v2, v4, v2
	s_delay_alu instid0(VALU_DEP_1)
	v_mul_lo_u32 v3, v2, s12
	v_mul_lo_u32 v11, v2, s13
	;; [unrolled: 1-line block ×3, first 2 shown]
	s_cbranch_scc1 .LBB127_1520
; %bb.1519:
	s_clause 0x1
	s_load_b128 s[4:7], s[20:21], 0x10
	s_load_b128 s[12:15], s[20:21], 0xd0
	s_waitcnt lgkmcnt(0)
	v_mul_hi_u32 v2, s5, v1
	s_delay_alu instid0(VALU_DEP_1) | instskip(NEXT) | instid1(VALU_DEP_1)
	v_add_nc_u32_e32 v2, v1, v2
	v_lshrrev_b32_e32 v2, s6, v2
	s_delay_alu instid0(VALU_DEP_1) | instskip(NEXT) | instid1(VALU_DEP_1)
	v_mul_lo_u32 v2, v2, s4
	v_sub_nc_u32_e32 v7, v1, v2
	s_delay_alu instid0(VALU_DEP_1) | instskip(SKIP_3) | instid1(VALU_DEP_3)
	v_mad_u64_u32 v[1:2], null, v7, s12, v[3:4]
	v_mad_u64_u32 v[2:3], null, v7, s13, v[11:12]
	s_waitcnt vmcnt(0)
	v_mad_u64_u32 v[5:6], null, v7, s14, v[10:11]
	v_mov_b32_e32 v3, v1
	s_delay_alu instid0(VALU_DEP_2)
	v_dual_mov_b32 v11, v2 :: v_dual_mov_b32 v10, v5
.LBB127_1520:
	v_cmp_ne_u32_e32 vcc_lo, 1, v0
	v_add_nc_u32_e32 v1, 0x80, v4
	s_cbranch_vccnz .LBB127_1526
; %bb.1521:
	v_dual_mov_b32 v2, 0 :: v_dual_mov_b32 v9, 0
	v_mov_b32_e32 v8, 0
	s_cmp_lg_u32 s26, 0
	s_mov_b32 s4, 0
	s_cbranch_scc0 .LBB127_1527
; %bb.1522:
	s_min_u32 s5, s27, 15
	v_dual_mov_b32 v8, 0 :: v_dual_mov_b32 v9, 0
	s_add_i32 s2, s5, 1
	s_waitcnt vmcnt(0)
	v_dual_mov_b32 v2, 0 :: v_dual_mov_b32 v5, v1
	s_and_b32 s6, s2, 30
	s_add_u32 s2, s20, 0xffffffec
	s_addc_u32 s3, s21, -1
	s_set_inst_prefetch_distance 0x1
	.p2align	6
.LBB127_1523:                           ; =>This Inner Loop Header: Depth=1
	s_clause 0x2
	s_load_b128 s[12:15], s[2:3], 0x18
	s_load_b64 s[10:11], s[2:3], 0x28
	s_load_b128 s[16:19], s[2:3], 0xd8
	s_waitcnt lgkmcnt(0)
	v_mul_hi_u32 v6, s13, v5
	s_delay_alu instid0(VALU_DEP_1) | instskip(NEXT) | instid1(VALU_DEP_1)
	v_add_nc_u32_e32 v6, v5, v6
	v_lshrrev_b32_e32 v6, s14, v6
	s_delay_alu instid0(VALU_DEP_1)
	v_mul_hi_u32 v7, s10, v6
	v_mul_lo_u32 v13, v6, s12
	s_load_b64 s[12:13], s[2:3], 0xe8
	s_add_u32 s2, s2, 24
	s_addc_u32 s3, s3, 0
	s_add_i32 s6, s6, -2
	s_delay_alu instid0(SALU_CYCLE_1) | instskip(NEXT) | instid1(VALU_DEP_2)
	s_cmp_lg_u32 s6, 0
	v_add_nc_u32_e32 v7, v6, v7
	s_delay_alu instid0(VALU_DEP_2) | instskip(NEXT) | instid1(VALU_DEP_2)
	v_sub_nc_u32_e32 v13, v5, v13
	v_lshrrev_b32_e32 v5, s11, v7
	s_delay_alu instid0(VALU_DEP_2) | instskip(NEXT) | instid1(VALU_DEP_2)
	v_mul_lo_u32 v14, v13, s16
	v_mul_lo_u32 v7, v5, s15
	s_delay_alu instid0(VALU_DEP_1) | instskip(SKIP_2) | instid1(VALU_DEP_3)
	v_sub_nc_u32_e32 v6, v6, v7
	v_mul_lo_u32 v7, v13, s17
	v_mul_lo_u32 v13, v13, s18
	v_mul_lo_u32 v15, v6, s19
	s_waitcnt lgkmcnt(0)
	v_mul_lo_u32 v16, v6, s12
	v_mul_lo_u32 v6, v6, s13
	s_delay_alu instid0(VALU_DEP_3) | instskip(NEXT) | instid1(VALU_DEP_3)
	v_add3_u32 v2, v14, v2, v15
	v_add3_u32 v9, v7, v9, v16
	s_delay_alu instid0(VALU_DEP_3)
	v_add3_u32 v8, v13, v8, v6
	s_cbranch_scc1 .LBB127_1523
; %bb.1524:
	s_set_inst_prefetch_distance 0x2
	s_bitcmp1_b32 s5, 0
	s_cselect_b32 s5, -1, 0
	s_delay_alu instid0(SALU_CYCLE_1)
	s_and_b32 vcc_lo, exec_lo, s5
	s_cbranch_vccnz .LBB127_1527
; %bb.1525:
	s_clause 0x3
	s_load_b64 s[6:7], s[2:3], 0x18
	s_load_b32 s5, s[2:3], 0x20
	s_load_b64 s[10:11], s[2:3], 0xd8
	s_load_b32 s2, s[2:3], 0xe0
	s_waitcnt lgkmcnt(0)
	v_mul_hi_u32 v6, s7, v5
	s_delay_alu instid0(VALU_DEP_1) | instskip(NEXT) | instid1(VALU_DEP_1)
	v_add_nc_u32_e32 v6, v5, v6
	v_lshrrev_b32_e32 v6, s5, v6
	s_delay_alu instid0(VALU_DEP_1) | instskip(NEXT) | instid1(VALU_DEP_1)
	v_mul_lo_u32 v6, v6, s6
	v_sub_nc_u32_e32 v15, v5, v6
	s_delay_alu instid0(VALU_DEP_1) | instskip(SKIP_2) | instid1(VALU_DEP_2)
	v_mad_u64_u32 v[5:6], null, v15, s10, v[2:3]
	v_mad_u64_u32 v[6:7], null, v15, s11, v[9:10]
	;; [unrolled: 1-line block ×3, first 2 shown]
	v_dual_mov_b32 v2, v5 :: v_dual_mov_b32 v9, v6
	s_delay_alu instid0(VALU_DEP_2)
	v_mov_b32_e32 v8, v13
	s_branch .LBB127_1527
.LBB127_1526:
	s_mov_b32 s4, -1
                                        ; implicit-def: $vgpr2
                                        ; implicit-def: $vgpr9
                                        ; implicit-def: $vgpr8
.LBB127_1527:
	s_delay_alu instid0(SALU_CYCLE_1)
	s_and_not1_b32 vcc_lo, exec_lo, s4
	s_cbranch_vccnz .LBB127_1530
; %bb.1528:
	s_clause 0x1
	s_load_b128 s[4:7], s[20:21], 0x4
	s_load_b128 s[12:15], s[20:21], 0xc4
	s_cmp_lt_u32 s26, 2
	s_waitcnt lgkmcnt(0)
	v_mul_hi_u32 v2, s5, v1
	s_delay_alu instid0(VALU_DEP_1) | instskip(SKIP_1) | instid1(VALU_DEP_1)
	v_add_nc_u32_e32 v2, v1, v2
	s_waitcnt vmcnt(0)
	v_lshrrev_b32_e32 v5, s6, v2
	s_delay_alu instid0(VALU_DEP_1) | instskip(NEXT) | instid1(VALU_DEP_1)
	v_mul_lo_u32 v2, v5, s4
	v_sub_nc_u32_e32 v1, v1, v2
	s_delay_alu instid0(VALU_DEP_1)
	v_mul_lo_u32 v2, v1, s12
	v_mul_lo_u32 v9, v1, s13
	;; [unrolled: 1-line block ×3, first 2 shown]
	s_cbranch_scc1 .LBB127_1530
; %bb.1529:
	s_clause 0x1
	s_load_b128 s[4:7], s[20:21], 0x10
	s_load_b128 s[12:15], s[20:21], 0xd0
	s_waitcnt lgkmcnt(0)
	v_mul_hi_u32 v1, s5, v5
	s_delay_alu instid0(VALU_DEP_1) | instskip(NEXT) | instid1(VALU_DEP_1)
	v_add_nc_u32_e32 v1, v5, v1
	v_lshrrev_b32_e32 v1, s6, v1
	s_delay_alu instid0(VALU_DEP_1) | instskip(NEXT) | instid1(VALU_DEP_1)
	v_mul_lo_u32 v1, v1, s4
	v_sub_nc_u32_e32 v13, v5, v1
	s_delay_alu instid0(VALU_DEP_1) | instskip(SKIP_2) | instid1(VALU_DEP_3)
	v_mad_u64_u32 v[5:6], null, v13, s12, v[2:3]
	v_mad_u64_u32 v[1:2], null, v13, s13, v[9:10]
	;; [unrolled: 1-line block ×3, first 2 shown]
	v_mov_b32_e32 v2, v5
	s_delay_alu instid0(VALU_DEP_2)
	v_dual_mov_b32 v9, v1 :: v_dual_mov_b32 v8, v6
.LBB127_1530:
	v_cmp_ne_u32_e32 vcc_lo, 1, v0
	v_add_nc_u32_e32 v4, 0x100, v4
	s_cbranch_vccnz .LBB127_1536
; %bb.1531:
	v_dual_mov_b32 v1, 0 :: v_dual_mov_b32 v6, 0
	v_mov_b32_e32 v7, 0
	s_cmp_lg_u32 s26, 0
	s_mov_b32 s4, 0
	s_cbranch_scc0 .LBB127_1537
; %bb.1532:
	s_min_u32 s5, s27, 15
	v_dual_mov_b32 v6, 0 :: v_dual_mov_b32 v7, 0
	s_add_i32 s2, s5, 1
	v_mov_b32_e32 v1, 0
	s_waitcnt vmcnt(0)
	v_mov_b32_e32 v5, v4
	s_and_b32 s6, s2, 30
	s_add_u32 s2, s20, 0xffffffec
	s_addc_u32 s3, s21, -1
	s_set_inst_prefetch_distance 0x1
	.p2align	6
.LBB127_1533:                           ; =>This Inner Loop Header: Depth=1
	s_clause 0x2
	s_load_b128 s[12:15], s[2:3], 0x18
	s_load_b64 s[10:11], s[2:3], 0x28
	s_load_b128 s[16:19], s[2:3], 0xd8
	s_waitcnt lgkmcnt(0)
	v_mul_hi_u32 v13, s13, v5
	s_delay_alu instid0(VALU_DEP_1) | instskip(NEXT) | instid1(VALU_DEP_1)
	v_add_nc_u32_e32 v13, v5, v13
	v_lshrrev_b32_e32 v13, s14, v13
	s_delay_alu instid0(VALU_DEP_1)
	v_mul_hi_u32 v14, s10, v13
	v_mul_lo_u32 v15, v13, s12
	s_load_b64 s[12:13], s[2:3], 0xe8
	s_add_u32 s2, s2, 24
	s_addc_u32 s3, s3, 0
	s_add_i32 s6, s6, -2
	s_delay_alu instid0(SALU_CYCLE_1) | instskip(NEXT) | instid1(VALU_DEP_2)
	s_cmp_lg_u32 s6, 0
	v_add_nc_u32_e32 v14, v13, v14
	s_delay_alu instid0(VALU_DEP_2) | instskip(NEXT) | instid1(VALU_DEP_2)
	v_sub_nc_u32_e32 v15, v5, v15
	v_lshrrev_b32_e32 v5, s11, v14
	s_delay_alu instid0(VALU_DEP_2) | instskip(NEXT) | instid1(VALU_DEP_2)
	v_mul_lo_u32 v16, v15, s16
	v_mul_lo_u32 v14, v5, s15
	s_delay_alu instid0(VALU_DEP_1) | instskip(SKIP_2) | instid1(VALU_DEP_3)
	v_sub_nc_u32_e32 v13, v13, v14
	v_mul_lo_u32 v14, v15, s17
	v_mul_lo_u32 v15, v15, s18
	;; [unrolled: 1-line block ×3, first 2 shown]
	s_waitcnt lgkmcnt(0)
	v_mul_lo_u32 v18, v13, s12
	v_mul_lo_u32 v13, v13, s13
	s_delay_alu instid0(VALU_DEP_3) | instskip(NEXT) | instid1(VALU_DEP_3)
	v_add3_u32 v1, v16, v1, v17
	v_add3_u32 v7, v14, v7, v18
	s_delay_alu instid0(VALU_DEP_3)
	v_add3_u32 v6, v15, v6, v13
	s_cbranch_scc1 .LBB127_1533
; %bb.1534:
	s_set_inst_prefetch_distance 0x2
	s_bitcmp1_b32 s5, 0
	s_cselect_b32 s5, -1, 0
	s_delay_alu instid0(SALU_CYCLE_1)
	s_and_b32 vcc_lo, exec_lo, s5
	s_cbranch_vccnz .LBB127_1537
; %bb.1535:
	s_clause 0x3
	s_load_b64 s[6:7], s[2:3], 0x18
	s_load_b32 s5, s[2:3], 0x20
	s_load_b64 s[10:11], s[2:3], 0xd8
	s_load_b32 s2, s[2:3], 0xe0
	s_waitcnt lgkmcnt(0)
	v_mul_hi_u32 v13, s7, v5
	s_delay_alu instid0(VALU_DEP_1) | instskip(NEXT) | instid1(VALU_DEP_1)
	v_add_nc_u32_e32 v13, v5, v13
	v_lshrrev_b32_e32 v13, s5, v13
	s_delay_alu instid0(VALU_DEP_1) | instskip(NEXT) | instid1(VALU_DEP_1)
	v_mul_lo_u32 v13, v13, s6
	v_sub_nc_u32_e32 v5, v5, v13
	s_delay_alu instid0(VALU_DEP_1) | instskip(SKIP_2) | instid1(VALU_DEP_3)
	v_mad_u64_u32 v[13:14], null, v5, s10, v[1:2]
	v_mad_u64_u32 v[14:15], null, v5, s11, v[7:8]
	;; [unrolled: 1-line block ×3, first 2 shown]
	v_mov_b32_e32 v1, v13
	s_delay_alu instid0(VALU_DEP_2)
	v_dual_mov_b32 v7, v14 :: v_dual_mov_b32 v6, v15
	s_branch .LBB127_1537
.LBB127_1536:
	s_mov_b32 s4, -1
                                        ; implicit-def: $vgpr1
                                        ; implicit-def: $vgpr7
                                        ; implicit-def: $vgpr6
.LBB127_1537:
	s_delay_alu instid0(SALU_CYCLE_1)
	s_and_not1_b32 vcc_lo, exec_lo, s4
	s_cbranch_vccnz .LBB127_1540
; %bb.1538:
	s_clause 0x1
	s_load_b128 s[4:7], s[20:21], 0x4
	s_load_b128 s[12:15], s[20:21], 0xc4
	s_cmp_lt_u32 s26, 2
	s_waitcnt lgkmcnt(0)
	v_mul_hi_u32 v1, s5, v4
	s_delay_alu instid0(VALU_DEP_1) | instskip(SKIP_1) | instid1(VALU_DEP_1)
	v_add_nc_u32_e32 v1, v4, v1
	s_waitcnt vmcnt(0)
	v_lshrrev_b32_e32 v5, s6, v1
	s_delay_alu instid0(VALU_DEP_1) | instskip(NEXT) | instid1(VALU_DEP_1)
	v_mul_lo_u32 v1, v5, s4
	v_sub_nc_u32_e32 v4, v4, v1
	s_delay_alu instid0(VALU_DEP_1)
	v_mul_lo_u32 v1, v4, s12
	v_mul_lo_u32 v7, v4, s13
	;; [unrolled: 1-line block ×3, first 2 shown]
	s_cbranch_scc1 .LBB127_1540
; %bb.1539:
	s_clause 0x1
	s_load_b128 s[4:7], s[20:21], 0x10
	s_load_b128 s[12:15], s[20:21], 0xd0
	s_waitcnt lgkmcnt(0)
	v_mul_hi_u32 v4, s5, v5
	s_delay_alu instid0(VALU_DEP_1) | instskip(NEXT) | instid1(VALU_DEP_1)
	v_add_nc_u32_e32 v4, v5, v4
	v_lshrrev_b32_e32 v4, s6, v4
	s_delay_alu instid0(VALU_DEP_1) | instskip(NEXT) | instid1(VALU_DEP_1)
	v_mul_lo_u32 v4, v4, s4
	v_sub_nc_u32_e32 v16, v5, v4
	s_delay_alu instid0(VALU_DEP_1) | instskip(SKIP_2) | instid1(VALU_DEP_3)
	v_mad_u64_u32 v[13:14], null, v16, s13, v[7:8]
	v_mad_u64_u32 v[4:5], null, v16, s12, v[1:2]
	;; [unrolled: 1-line block ×3, first 2 shown]
	v_mov_b32_e32 v7, v13
	s_delay_alu instid0(VALU_DEP_2)
	v_dual_mov_b32 v1, v4 :: v_dual_mov_b32 v6, v14
.LBB127_1540:
	v_cmp_ne_u32_e32 vcc_lo, 1, v0
	s_cbranch_vccnz .LBB127_1546
; %bb.1541:
	s_waitcnt vmcnt(0)
	v_dual_mov_b32 v0, 0 :: v_dual_mov_b32 v5, 0
	v_mov_b32_e32 v4, 0
	s_cmp_lg_u32 s26, 0
	s_mov_b32 s4, 0
	s_cbranch_scc0 .LBB127_1547
; %bb.1542:
	s_min_u32 s5, s27, 15
	v_dual_mov_b32 v4, 0 :: v_dual_mov_b32 v5, 0
	s_add_i32 s2, s5, 1
	v_dual_mov_b32 v0, 0 :: v_dual_mov_b32 v13, v12
	s_and_b32 s6, s2, 30
	s_add_u32 s2, s20, 0xffffffec
	s_addc_u32 s3, s21, -1
	s_set_inst_prefetch_distance 0x1
	.p2align	6
.LBB127_1543:                           ; =>This Inner Loop Header: Depth=1
	s_clause 0x2
	s_load_b128 s[12:15], s[2:3], 0x18
	s_load_b64 s[10:11], s[2:3], 0x28
	s_load_b128 s[16:19], s[2:3], 0xd8
	s_waitcnt lgkmcnt(0)
	v_mul_hi_u32 v14, s13, v13
	s_delay_alu instid0(VALU_DEP_1) | instskip(NEXT) | instid1(VALU_DEP_1)
	v_add_nc_u32_e32 v14, v13, v14
	v_lshrrev_b32_e32 v14, s14, v14
	s_delay_alu instid0(VALU_DEP_1)
	v_mul_hi_u32 v15, s10, v14
	v_mul_lo_u32 v16, v14, s12
	s_load_b64 s[12:13], s[2:3], 0xe8
	s_add_u32 s2, s2, 24
	s_addc_u32 s3, s3, 0
	s_add_i32 s6, s6, -2
	s_delay_alu instid0(SALU_CYCLE_1) | instskip(NEXT) | instid1(VALU_DEP_2)
	s_cmp_lg_u32 s6, 0
	v_add_nc_u32_e32 v15, v14, v15
	s_delay_alu instid0(VALU_DEP_2) | instskip(NEXT) | instid1(VALU_DEP_2)
	v_sub_nc_u32_e32 v16, v13, v16
	v_lshrrev_b32_e32 v13, s11, v15
	s_delay_alu instid0(VALU_DEP_2) | instskip(NEXT) | instid1(VALU_DEP_2)
	v_mul_lo_u32 v17, v16, s16
	v_mul_lo_u32 v15, v13, s15
	s_delay_alu instid0(VALU_DEP_1) | instskip(SKIP_2) | instid1(VALU_DEP_3)
	v_sub_nc_u32_e32 v14, v14, v15
	v_mul_lo_u32 v15, v16, s17
	v_mul_lo_u32 v16, v16, s18
	;; [unrolled: 1-line block ×3, first 2 shown]
	s_waitcnt lgkmcnt(0)
	v_mul_lo_u32 v19, v14, s12
	v_mul_lo_u32 v14, v14, s13
	s_delay_alu instid0(VALU_DEP_3) | instskip(NEXT) | instid1(VALU_DEP_3)
	v_add3_u32 v0, v17, v0, v18
	v_add3_u32 v5, v15, v5, v19
	s_delay_alu instid0(VALU_DEP_3)
	v_add3_u32 v4, v16, v4, v14
	s_cbranch_scc1 .LBB127_1543
; %bb.1544:
	s_set_inst_prefetch_distance 0x2
	s_bitcmp1_b32 s5, 0
	s_cselect_b32 s5, -1, 0
	s_delay_alu instid0(SALU_CYCLE_1)
	s_and_b32 vcc_lo, exec_lo, s5
	s_cbranch_vccnz .LBB127_1547
; %bb.1545:
	s_clause 0x3
	s_load_b64 s[6:7], s[2:3], 0x18
	s_load_b32 s5, s[2:3], 0x20
	s_load_b64 s[10:11], s[2:3], 0xd8
	s_load_b32 s2, s[2:3], 0xe0
	s_waitcnt lgkmcnt(0)
	v_mul_hi_u32 v14, s7, v13
	s_delay_alu instid0(VALU_DEP_1) | instskip(NEXT) | instid1(VALU_DEP_1)
	v_add_nc_u32_e32 v14, v13, v14
	v_lshrrev_b32_e32 v14, s5, v14
	s_delay_alu instid0(VALU_DEP_1) | instskip(NEXT) | instid1(VALU_DEP_1)
	v_mul_lo_u32 v14, v14, s6
	v_sub_nc_u32_e32 v17, v13, v14
	s_delay_alu instid0(VALU_DEP_1) | instskip(SKIP_2) | instid1(VALU_DEP_2)
	v_mad_u64_u32 v[13:14], null, v17, s10, v[0:1]
	v_mad_u64_u32 v[14:15], null, v17, s11, v[5:6]
	;; [unrolled: 1-line block ×3, first 2 shown]
	v_dual_mov_b32 v0, v13 :: v_dual_mov_b32 v5, v14
	s_delay_alu instid0(VALU_DEP_2)
	v_mov_b32_e32 v4, v15
	s_branch .LBB127_1547
.LBB127_1546:
	s_mov_b32 s4, -1
                                        ; implicit-def: $vgpr0
                                        ; implicit-def: $vgpr5
                                        ; implicit-def: $vgpr4
.LBB127_1547:
	s_delay_alu instid0(SALU_CYCLE_1)
	s_and_not1_b32 vcc_lo, exec_lo, s4
	s_cbranch_vccnz .LBB127_1550
; %bb.1548:
	s_clause 0x1
	s_load_b128 s[4:7], s[20:21], 0x4
	s_load_b128 s[12:15], s[20:21], 0xc4
	s_cmp_lt_u32 s26, 2
	s_waitcnt lgkmcnt(0)
	v_mul_hi_u32 v0, s5, v12
	s_delay_alu instid0(VALU_DEP_1) | instskip(NEXT) | instid1(VALU_DEP_1)
	v_add_nc_u32_e32 v0, v12, v0
	v_lshrrev_b32_e32 v13, s6, v0
	s_delay_alu instid0(VALU_DEP_1) | instskip(NEXT) | instid1(VALU_DEP_1)
	v_mul_lo_u32 v0, v13, s4
	v_sub_nc_u32_e32 v4, v12, v0
	s_delay_alu instid0(VALU_DEP_1)
	v_mul_lo_u32 v0, v4, s12
	s_waitcnt vmcnt(0)
	v_mul_lo_u32 v5, v4, s13
	v_mul_lo_u32 v4, v4, s14
	s_cbranch_scc1 .LBB127_1550
; %bb.1549:
	s_clause 0x1
	s_load_b128 s[4:7], s[20:21], 0x10
	s_load_b128 s[12:15], s[20:21], 0xd0
	s_waitcnt lgkmcnt(0)
	v_mul_hi_u32 v12, s5, v13
	s_delay_alu instid0(VALU_DEP_1) | instskip(NEXT) | instid1(VALU_DEP_1)
	v_add_nc_u32_e32 v12, v13, v12
	v_lshrrev_b32_e32 v12, s6, v12
	s_delay_alu instid0(VALU_DEP_1) | instskip(NEXT) | instid1(VALU_DEP_1)
	v_mul_lo_u32 v12, v12, s4
	v_sub_nc_u32_e32 v16, v13, v12
	s_delay_alu instid0(VALU_DEP_1) | instskip(SKIP_2) | instid1(VALU_DEP_2)
	v_mad_u64_u32 v[12:13], null, v16, s12, v[0:1]
	v_mad_u64_u32 v[13:14], null, v16, s13, v[5:6]
	;; [unrolled: 1-line block ×3, first 2 shown]
	v_dual_mov_b32 v0, v12 :: v_dual_mov_b32 v5, v13
	s_delay_alu instid0(VALU_DEP_2)
	v_mov_b32_e32 v4, v14
.LBB127_1550:
	s_clause 0x1
	s_load_b32 s0, s[0:1], 0x1ac
	s_load_b128 s[4:7], s[20:21], 0x188
	s_mov_b32 s3, 0
	s_waitcnt lgkmcnt(0)
	s_lshr_b32 s1, s0, 8
	s_delay_alu instid0(SALU_CYCLE_1) | instskip(SKIP_1) | instid1(VALU_DEP_1)
	v_and_b32_e64 v14, 0xff, s1
	v_add_co_u32 v11, s1, s6, v11
	v_add_co_ci_u32_e64 v12, null, s7, 0, s1
	s_delay_alu instid0(VALU_DEP_3)
	v_cmp_gt_i16_e32 vcc_lo, 11, v14
	s_cbranch_vccnz .LBB127_1557
; %bb.1551:
	v_cmp_lt_i16_e32 vcc_lo, 25, v14
	s_mov_b32 s2, 0
	s_cbranch_vccz .LBB127_1563
; %bb.1552:
	v_cmp_lt_i16_e32 vcc_lo, 28, v14
	s_cbranch_vccz .LBB127_1565
; %bb.1553:
	v_cmp_lt_i16_e32 vcc_lo, 43, v14
	;; [unrolled: 3-line block ×3, first 2 shown]
	s_cbranch_vccz .LBB127_1571
; %bb.1555:
	v_cmp_eq_u16_e32 vcc_lo, 46, v14
	s_mov_b32 s10, 0
	s_cbranch_vccz .LBB127_1616
; %bb.1556:
	global_load_b32 v13, v[11:12], off
	s_mov_b32 s1, 0
	s_mov_b32 s3, -1
	s_waitcnt vmcnt(0)
	v_lshlrev_b32_e32 v13, 16, v13
	s_branch .LBB127_1618
.LBB127_1557:
	s_mov_b32 s1, s8
                                        ; implicit-def: $vgpr13
	s_cbranch_execz .LBB127_1681
; %bb.1558:
	v_cmp_gt_i16_e32 vcc_lo, 5, v14
	s_cbranch_vccnz .LBB127_1564
; %bb.1559:
	v_cmp_gt_i16_e32 vcc_lo, 8, v14
	s_cbranch_vccnz .LBB127_1566
	;; [unrolled: 3-line block ×3, first 2 shown]
; %bb.1561:
	v_cmp_lt_i16_e32 vcc_lo, 9, v14
	s_cbranch_vccz .LBB127_1572
; %bb.1562:
	global_load_b64 v[15:16], v[11:12], off
	s_mov_b32 s2, 0
	s_waitcnt vmcnt(0)
	v_cvt_f32_f64_e32 v13, v[15:16]
	s_branch .LBB127_1573
.LBB127_1563:
	s_mov_b32 s1, 0
                                        ; implicit-def: $vgpr13
	s_cbranch_execnz .LBB127_1646
	s_branch .LBB127_1677
.LBB127_1564:
                                        ; implicit-def: $vgpr13
	s_branch .LBB127_1590
.LBB127_1565:
	s_mov_b32 s10, -1
	s_mov_b32 s1, 0
                                        ; implicit-def: $vgpr13
	s_branch .LBB127_1627
.LBB127_1566:
                                        ; implicit-def: $vgpr13
	s_branch .LBB127_1579
.LBB127_1567:
	s_mov_b32 s1, 0
                                        ; implicit-def: $vgpr13
	s_cbranch_execnz .LBB127_1623
	s_branch .LBB127_1626
.LBB127_1568:
	s_mov_b32 s2, -1
                                        ; implicit-def: $vgpr13
	s_branch .LBB127_1576
.LBB127_1569:
	s_cbranch_execnz .LBB127_1613
; %bb.1570:
	s_or_b32 s3, s3, exec_lo
	s_and_not1_b32 s2, s2, exec_lo
	s_or_b32 exec_lo, exec_lo, s4
	s_and_saveexec_b32 s4, s2
	s_delay_alu instid0(SALU_CYCLE_1)
	s_xor_b32 s2, exec_lo, s4
	s_cbranch_execnz .LBB127_1469
	s_branch .LBB127_1470
.LBB127_1571:
	s_mov_b32 s10, -1
	s_mov_b32 s1, 0
	s_branch .LBB127_1617
.LBB127_1572:
	s_mov_b32 s2, -1
                                        ; implicit-def: $vgpr13
.LBB127_1573:
	s_delay_alu instid0(SALU_CYCLE_1)
	s_and_not1_b32 vcc_lo, exec_lo, s2
	s_cbranch_vccnz .LBB127_1575
; %bb.1574:
	global_load_b32 v13, v[11:12], off
.LBB127_1575:
	s_mov_b32 s2, 0
.LBB127_1576:
	s_delay_alu instid0(SALU_CYCLE_1)
	s_and_not1_b32 vcc_lo, exec_lo, s2
	s_cbranch_vccnz .LBB127_1578
; %bb.1577:
	global_load_b32 v13, v[11:12], off
	s_waitcnt vmcnt(0)
	v_cvt_f32_f16_e32 v13, v13
.LBB127_1578:
	s_cbranch_execnz .LBB127_1589
.LBB127_1579:
	v_cmp_gt_i16_e32 vcc_lo, 6, v14
	s_cbranch_vccnz .LBB127_1582
; %bb.1580:
	v_cmp_lt_i16_e32 vcc_lo, 6, v14
	s_cbranch_vccz .LBB127_1583
; %bb.1581:
	global_load_b64 v[15:16], v[11:12], off
	s_mov_b32 s2, 0
	s_waitcnt vmcnt(0)
	v_cvt_f32_f64_e32 v13, v[15:16]
	s_branch .LBB127_1584
.LBB127_1582:
	s_mov_b32 s2, -1
                                        ; implicit-def: $vgpr13
	s_branch .LBB127_1587
.LBB127_1583:
	s_mov_b32 s2, -1
                                        ; implicit-def: $vgpr13
.LBB127_1584:
	s_delay_alu instid0(SALU_CYCLE_1)
	s_and_not1_b32 vcc_lo, exec_lo, s2
	s_cbranch_vccnz .LBB127_1586
; %bb.1585:
	global_load_b32 v13, v[11:12], off
.LBB127_1586:
	s_mov_b32 s2, 0
.LBB127_1587:
	s_delay_alu instid0(SALU_CYCLE_1)
	s_and_not1_b32 vcc_lo, exec_lo, s2
	s_cbranch_vccnz .LBB127_1589
; %bb.1588:
	global_load_u16 v13, v[11:12], off
	s_waitcnt vmcnt(0)
	v_cvt_f32_f16_e32 v13, v13
.LBB127_1589:
	s_cbranch_execnz .LBB127_1608
.LBB127_1590:
	v_cmp_gt_i16_e32 vcc_lo, 2, v14
	s_cbranch_vccnz .LBB127_1594
; %bb.1591:
	v_cmp_gt_i16_e32 vcc_lo, 3, v14
	s_cbranch_vccnz .LBB127_1595
; %bb.1592:
	v_cmp_lt_i16_e32 vcc_lo, 3, v14
	s_cbranch_vccz .LBB127_1596
; %bb.1593:
	global_load_b64 v[15:16], v[11:12], off
	s_mov_b32 s2, 0
	s_waitcnt vmcnt(0)
	v_xor_b32_e32 v13, v15, v16
	v_cls_i32_e32 v17, v16
	s_delay_alu instid0(VALU_DEP_2) | instskip(NEXT) | instid1(VALU_DEP_2)
	v_ashrrev_i32_e32 v13, 31, v13
	v_add_nc_u32_e32 v17, -1, v17
	s_delay_alu instid0(VALU_DEP_2) | instskip(NEXT) | instid1(VALU_DEP_1)
	v_add_nc_u32_e32 v13, 32, v13
	v_min_u32_e32 v13, v17, v13
	s_delay_alu instid0(VALU_DEP_1) | instskip(SKIP_1) | instid1(VALU_DEP_2)
	v_lshlrev_b64 v[15:16], v13, v[15:16]
	v_sub_nc_u32_e32 v13, 32, v13
	v_min_u32_e32 v15, 1, v15
	s_delay_alu instid0(VALU_DEP_1) | instskip(NEXT) | instid1(VALU_DEP_1)
	v_or_b32_e32 v15, v16, v15
	v_cvt_f32_i32_e32 v15, v15
	s_delay_alu instid0(VALU_DEP_1)
	v_ldexp_f32 v13, v15, v13
	s_branch .LBB127_1597
.LBB127_1594:
                                        ; implicit-def: $vgpr13
	s_branch .LBB127_1603
.LBB127_1595:
	s_mov_b32 s2, -1
                                        ; implicit-def: $vgpr13
	s_branch .LBB127_1600
.LBB127_1596:
	s_mov_b32 s2, -1
                                        ; implicit-def: $vgpr13
.LBB127_1597:
	s_delay_alu instid0(SALU_CYCLE_1)
	s_and_not1_b32 vcc_lo, exec_lo, s2
	s_cbranch_vccnz .LBB127_1599
; %bb.1598:
	global_load_b32 v13, v[11:12], off
	s_waitcnt vmcnt(0)
	v_cvt_f32_i32_e32 v13, v13
.LBB127_1599:
	s_mov_b32 s2, 0
.LBB127_1600:
	s_delay_alu instid0(SALU_CYCLE_1)
	s_and_not1_b32 vcc_lo, exec_lo, s2
	s_cbranch_vccnz .LBB127_1602
; %bb.1601:
	global_load_i16 v13, v[11:12], off
	s_waitcnt vmcnt(0)
	v_cvt_f32_i32_e32 v13, v13
.LBB127_1602:
	s_cbranch_execnz .LBB127_1608
.LBB127_1603:
	v_cmp_lt_i16_e32 vcc_lo, 0, v14
	s_mov_b32 s2, 0
	s_cbranch_vccz .LBB127_1605
; %bb.1604:
	global_load_i8 v13, v[11:12], off
	s_waitcnt vmcnt(0)
	v_cvt_f32_i32_e32 v13, v13
	s_branch .LBB127_1606
.LBB127_1605:
	s_mov_b32 s2, -1
                                        ; implicit-def: $vgpr13
.LBB127_1606:
	s_delay_alu instid0(SALU_CYCLE_1)
	s_and_not1_b32 vcc_lo, exec_lo, s2
	s_cbranch_vccnz .LBB127_1608
; %bb.1607:
	global_load_u8 v11, v[11:12], off
	s_waitcnt vmcnt(0)
	v_cvt_f32_ubyte0_e32 v13, v11
.LBB127_1608:
	s_branch .LBB127_1682
.LBB127_1609:
	s_trap 2
	s_sendmsg_rtn_b32 s0, sendmsg(MSG_RTN_GET_DOORBELL)
	s_mov_b32 ttmp2, m0
	s_waitcnt lgkmcnt(0)
	s_and_b32 s0, s0, 0x3ff
	s_delay_alu instid0(SALU_CYCLE_1) | instskip(NEXT) | instid1(SALU_CYCLE_1)
	s_bitset1_b32 s0, 10
	s_mov_b32 m0, s0
	s_sendmsg sendmsg(MSG_INTERRUPT)
	s_mov_b32 m0, ttmp2
.LBB127_1610:                           ; =>This Inner Loop Header: Depth=1
	s_sethalt 5
	s_branch .LBB127_1610
.LBB127_1611:
	s_trap 2
	s_sendmsg_rtn_b32 s0, sendmsg(MSG_RTN_GET_DOORBELL)
	s_mov_b32 ttmp2, m0
	s_waitcnt lgkmcnt(0)
	s_and_b32 s0, s0, 0x3ff
	s_delay_alu instid0(SALU_CYCLE_1) | instskip(NEXT) | instid1(SALU_CYCLE_1)
	s_bitset1_b32 s0, 10
	s_mov_b32 m0, s0
	s_sendmsg sendmsg(MSG_INTERRUPT)
	s_mov_b32 m0, ttmp2
.LBB127_1612:                           ; =>This Inner Loop Header: Depth=1
	s_sethalt 5
	s_branch .LBB127_1612
.LBB127_1613:
	s_trap 2
	s_sendmsg_rtn_b32 s0, sendmsg(MSG_RTN_GET_DOORBELL)
	s_mov_b32 ttmp2, m0
	s_waitcnt lgkmcnt(0)
	s_and_b32 s0, s0, 0x3ff
	s_delay_alu instid0(SALU_CYCLE_1) | instskip(NEXT) | instid1(SALU_CYCLE_1)
	s_bitset1_b32 s0, 10
	s_mov_b32 m0, s0
	s_sendmsg sendmsg(MSG_INTERRUPT)
	s_mov_b32 m0, ttmp2
.LBB127_1614:                           ; =>This Inner Loop Header: Depth=1
	s_sethalt 5
	s_branch .LBB127_1614
.LBB127_1615:
	s_mov_b32 s12, -1
	s_mov_b32 s7, s39
	s_branch .LBB127_1748
.LBB127_1616:
	s_mov_b32 s1, -1
.LBB127_1617:
                                        ; implicit-def: $vgpr13
.LBB127_1618:
	s_and_b32 vcc_lo, exec_lo, s10
	s_cbranch_vccz .LBB127_1621
; %bb.1619:
	v_cmp_eq_u16_e32 vcc_lo, 44, v14
	s_cbranch_vccz .LBB127_1622
; %bb.1620:
	global_load_u8 v13, v[11:12], off
	s_mov_b32 s1, 0
	s_mov_b32 s3, -1
	s_waitcnt vmcnt(0)
	v_lshlrev_b32_e32 v15, 23, v13
	v_cmp_ne_u32_e32 vcc_lo, 0xff, v13
	s_delay_alu instid0(VALU_DEP_2) | instskip(SKIP_1) | instid1(VALU_DEP_2)
	v_cndmask_b32_e32 v15, 0x7f800001, v15, vcc_lo
	v_cmp_ne_u32_e32 vcc_lo, 0, v13
	v_cndmask_b32_e32 v13, 0x400000, v15, vcc_lo
.LBB127_1621:
	s_branch .LBB127_1626
.LBB127_1622:
	s_mov_b32 s1, -1
                                        ; implicit-def: $vgpr13
	s_branch .LBB127_1626
.LBB127_1623:
	v_cmp_eq_u16_e32 vcc_lo, 29, v14
	s_cbranch_vccz .LBB127_1625
; %bb.1624:
	global_load_b64 v[15:16], v[11:12], off
	s_mov_b32 s1, 0
	s_mov_b32 s3, -1
	s_mov_b32 s10, 0
	s_waitcnt vmcnt(0)
	v_clz_i32_u32_e32 v13, v16
	s_delay_alu instid0(VALU_DEP_1) | instskip(NEXT) | instid1(VALU_DEP_1)
	v_min_u32_e32 v13, 32, v13
	v_lshlrev_b64 v[15:16], v13, v[15:16]
	v_sub_nc_u32_e32 v13, 32, v13
	s_delay_alu instid0(VALU_DEP_2) | instskip(NEXT) | instid1(VALU_DEP_1)
	v_min_u32_e32 v15, 1, v15
	v_or_b32_e32 v15, v16, v15
	s_delay_alu instid0(VALU_DEP_1) | instskip(NEXT) | instid1(VALU_DEP_1)
	v_cvt_f32_u32_e32 v15, v15
	v_ldexp_f32 v13, v15, v13
	s_branch .LBB127_1627
.LBB127_1625:
	s_mov_b32 s1, -1
                                        ; implicit-def: $vgpr13
.LBB127_1626:
	s_mov_b32 s10, 0
.LBB127_1627:
	s_delay_alu instid0(SALU_CYCLE_1)
	s_and_b32 vcc_lo, exec_lo, s10
	s_cbranch_vccz .LBB127_1645
; %bb.1628:
	v_cmp_gt_i16_e32 vcc_lo, 27, v14
	s_cbranch_vccnz .LBB127_1631
; %bb.1629:
	v_cmp_lt_i16_e32 vcc_lo, 27, v14
	s_cbranch_vccz .LBB127_1632
; %bb.1630:
	global_load_b32 v13, v[11:12], off
	s_mov_b32 s3, 0
	s_waitcnt vmcnt(0)
	v_cvt_f32_u32_e32 v13, v13
	s_branch .LBB127_1633
.LBB127_1631:
	s_mov_b32 s3, -1
                                        ; implicit-def: $vgpr13
	s_branch .LBB127_1636
.LBB127_1632:
	s_mov_b32 s3, -1
                                        ; implicit-def: $vgpr13
.LBB127_1633:
	s_delay_alu instid0(SALU_CYCLE_1)
	s_and_not1_b32 vcc_lo, exec_lo, s3
	s_cbranch_vccnz .LBB127_1635
; %bb.1634:
	global_load_u16 v13, v[11:12], off
	s_waitcnt vmcnt(0)
	v_cvt_f32_u32_e32 v13, v13
.LBB127_1635:
	s_mov_b32 s3, 0
.LBB127_1636:
	s_delay_alu instid0(SALU_CYCLE_1)
	s_and_not1_b32 vcc_lo, exec_lo, s3
	s_cbranch_vccnz .LBB127_1644
; %bb.1637:
	global_load_u8 v15, v[11:12], off
	s_mov_b32 s3, 0
	s_mov_b32 s11, exec_lo
                                        ; implicit-def: $sgpr10
	s_waitcnt vmcnt(0)
	v_cmpx_lt_i16_e32 0x7f, v15
	s_xor_b32 s11, exec_lo, s11
	s_cbranch_execz .LBB127_1657
; %bb.1638:
	s_mov_b32 s3, -1
	s_mov_b32 s12, exec_lo
                                        ; implicit-def: $sgpr10
	v_cmpx_eq_u16_e32 0x80, v15
; %bb.1639:
	s_mov_b32 s10, 0x7f800001
	s_xor_b32 s3, exec_lo, -1
; %bb.1640:
	s_or_b32 exec_lo, exec_lo, s12
	s_delay_alu instid0(SALU_CYCLE_1)
	s_and_b32 s3, s3, exec_lo
	s_or_saveexec_b32 s11, s11
	v_mov_b32_e32 v13, s10
	s_xor_b32 exec_lo, exec_lo, s11
	s_cbranch_execnz .LBB127_1658
.LBB127_1641:
	s_or_b32 exec_lo, exec_lo, s11
	s_and_saveexec_b32 s10, s3
	s_cbranch_execz .LBB127_1643
.LBB127_1642:
	v_and_b32_e32 v13, 0xffff, v15
	v_lshlrev_b32_e32 v15, 24, v15
	s_delay_alu instid0(VALU_DEP_2) | instskip(NEXT) | instid1(VALU_DEP_2)
	v_and_b32_e32 v16, 7, v13
	v_and_b32_e32 v15, 0x80000000, v15
	s_delay_alu instid0(VALU_DEP_2) | instskip(NEXT) | instid1(VALU_DEP_1)
	v_clz_i32_u32_e32 v17, v16
	v_min_u32_e32 v17, 32, v17
	s_delay_alu instid0(VALU_DEP_1) | instskip(SKIP_1) | instid1(VALU_DEP_2)
	v_subrev_nc_u32_e32 v18, 28, v17
	v_sub_nc_u32_e32 v17, 29, v17
	v_lshlrev_b32_e32 v18, v18, v13
	v_bfe_u32 v13, v13, 3, 4
	s_delay_alu instid0(VALU_DEP_1) | instskip(NEXT) | instid1(VALU_DEP_3)
	v_cmp_eq_u32_e32 vcc_lo, 0, v13
	v_dual_cndmask_b32 v13, v13, v17 :: v_dual_and_b32 v18, 7, v18
	s_delay_alu instid0(VALU_DEP_1) | instskip(NEXT) | instid1(VALU_DEP_2)
	v_cndmask_b32_e32 v16, v16, v18, vcc_lo
	v_lshl_add_u32 v13, v13, 23, 0x3b800000
	s_delay_alu instid0(VALU_DEP_2) | instskip(NEXT) | instid1(VALU_DEP_1)
	v_lshlrev_b32_e32 v16, 20, v16
	v_or3_b32 v13, v15, v13, v16
.LBB127_1643:
	s_or_b32 exec_lo, exec_lo, s10
.LBB127_1644:
	s_mov_b32 s3, -1
.LBB127_1645:
	s_branch .LBB127_1677
.LBB127_1646:
	v_cmp_lt_i16_e32 vcc_lo, 22, v14
	s_cbranch_vccz .LBB127_1656
; %bb.1647:
	v_cmp_gt_i16_e32 vcc_lo, 24, v14
	s_cbranch_vccnz .LBB127_1659
; %bb.1648:
	v_cmp_lt_i16_e32 vcc_lo, 24, v14
	s_cbranch_vccz .LBB127_1660
; %bb.1649:
	global_load_u8 v15, v[11:12], off
	s_mov_b32 s10, exec_lo
                                        ; implicit-def: $sgpr3
	s_waitcnt vmcnt(0)
	v_cmpx_lt_i16_e32 0x7f, v15
	s_xor_b32 s10, exec_lo, s10
	s_cbranch_execz .LBB127_1671
; %bb.1650:
	s_mov_b32 s2, -1
	s_mov_b32 s11, exec_lo
                                        ; implicit-def: $sgpr3
	v_cmpx_eq_u16_e32 0x80, v15
; %bb.1651:
	s_mov_b32 s3, 0x7f800001
	s_xor_b32 s2, exec_lo, -1
; %bb.1652:
	s_or_b32 exec_lo, exec_lo, s11
	s_delay_alu instid0(SALU_CYCLE_1)
	s_and_b32 s2, s2, exec_lo
	s_or_saveexec_b32 s10, s10
	v_mov_b32_e32 v13, s3
	s_xor_b32 exec_lo, exec_lo, s10
	s_cbranch_execnz .LBB127_1672
.LBB127_1653:
	s_or_b32 exec_lo, exec_lo, s10
	s_and_saveexec_b32 s3, s2
	s_cbranch_execz .LBB127_1655
.LBB127_1654:
	v_and_b32_e32 v13, 0xffff, v15
	v_lshlrev_b32_e32 v15, 24, v15
	s_delay_alu instid0(VALU_DEP_2) | instskip(NEXT) | instid1(VALU_DEP_2)
	v_and_b32_e32 v16, 3, v13
	v_and_b32_e32 v15, 0x80000000, v15
	s_delay_alu instid0(VALU_DEP_2) | instskip(NEXT) | instid1(VALU_DEP_1)
	v_clz_i32_u32_e32 v17, v16
	v_min_u32_e32 v17, 32, v17
	s_delay_alu instid0(VALU_DEP_1) | instskip(SKIP_1) | instid1(VALU_DEP_2)
	v_subrev_nc_u32_e32 v18, 29, v17
	v_sub_nc_u32_e32 v17, 30, v17
	v_lshlrev_b32_e32 v18, v18, v13
	v_bfe_u32 v13, v13, 2, 5
	s_delay_alu instid0(VALU_DEP_1) | instskip(NEXT) | instid1(VALU_DEP_3)
	v_cmp_eq_u32_e32 vcc_lo, 0, v13
	v_dual_cndmask_b32 v13, v13, v17 :: v_dual_and_b32 v18, 3, v18
	s_delay_alu instid0(VALU_DEP_1) | instskip(NEXT) | instid1(VALU_DEP_2)
	v_cndmask_b32_e32 v16, v16, v18, vcc_lo
	v_lshl_add_u32 v13, v13, 23, 0x37800000
	s_delay_alu instid0(VALU_DEP_2) | instskip(NEXT) | instid1(VALU_DEP_1)
	v_lshlrev_b32_e32 v16, 21, v16
	v_or3_b32 v13, v15, v13, v16
.LBB127_1655:
	s_or_b32 exec_lo, exec_lo, s3
	s_mov_b32 s2, 0
	s_branch .LBB127_1661
.LBB127_1656:
                                        ; implicit-def: $vgpr13
	s_mov_b32 s2, 0
	s_branch .LBB127_1667
.LBB127_1657:
	s_or_saveexec_b32 s11, s11
	v_mov_b32_e32 v13, s10
	s_xor_b32 exec_lo, exec_lo, s11
	s_cbranch_execz .LBB127_1641
.LBB127_1658:
	v_cmp_ne_u16_e32 vcc_lo, 0, v15
	v_mov_b32_e32 v13, 0
	s_and_not1_b32 s3, s3, exec_lo
	s_and_b32 s10, vcc_lo, exec_lo
	s_delay_alu instid0(SALU_CYCLE_1)
	s_or_b32 s3, s3, s10
	s_or_b32 exec_lo, exec_lo, s11
	s_and_saveexec_b32 s10, s3
	s_cbranch_execnz .LBB127_1642
	s_branch .LBB127_1643
.LBB127_1659:
	s_mov_b32 s2, -1
                                        ; implicit-def: $vgpr13
	s_branch .LBB127_1664
.LBB127_1660:
	s_mov_b32 s2, -1
                                        ; implicit-def: $vgpr13
.LBB127_1661:
	s_delay_alu instid0(SALU_CYCLE_1)
	s_and_b32 vcc_lo, exec_lo, s2
	s_cbranch_vccz .LBB127_1663
; %bb.1662:
	global_load_u8 v13, v[11:12], off
	s_waitcnt vmcnt(0)
	v_lshlrev_b32_e32 v13, 24, v13
	s_delay_alu instid0(VALU_DEP_1) | instskip(NEXT) | instid1(VALU_DEP_1)
	v_and_b32_e32 v15, 0x7f000000, v13
	v_clz_i32_u32_e32 v16, v15
	v_cmp_ne_u32_e32 vcc_lo, 0, v15
	v_add_nc_u32_e32 v18, 0x1000000, v15
	s_delay_alu instid0(VALU_DEP_3) | instskip(NEXT) | instid1(VALU_DEP_1)
	v_min_u32_e32 v16, 32, v16
	v_sub_nc_u32_e64 v16, v16, 4 clamp
	s_delay_alu instid0(VALU_DEP_1) | instskip(SKIP_1) | instid1(VALU_DEP_2)
	v_lshlrev_b32_e32 v17, v16, v15
	v_lshlrev_b32_e32 v16, 23, v16
	v_lshrrev_b32_e32 v17, 4, v17
	s_delay_alu instid0(VALU_DEP_1) | instskip(SKIP_1) | instid1(VALU_DEP_2)
	v_sub_nc_u32_e32 v16, v17, v16
	v_ashrrev_i32_e32 v17, 8, v18
	v_add_nc_u32_e32 v16, 0x3c000000, v16
	s_delay_alu instid0(VALU_DEP_1) | instskip(NEXT) | instid1(VALU_DEP_1)
	v_and_or_b32 v16, 0x7f800000, v17, v16
	v_cndmask_b32_e32 v15, 0, v16, vcc_lo
	s_delay_alu instid0(VALU_DEP_1)
	v_and_or_b32 v13, 0x80000000, v13, v15
.LBB127_1663:
	s_mov_b32 s2, 0
.LBB127_1664:
	s_delay_alu instid0(SALU_CYCLE_1)
	s_and_not1_b32 vcc_lo, exec_lo, s2
	s_cbranch_vccnz .LBB127_1666
; %bb.1665:
	global_load_u8 v13, v[11:12], off
	s_waitcnt vmcnt(0)
	v_lshlrev_b32_e32 v15, 25, v13
	v_lshlrev_b16 v13, 8, v13
	s_delay_alu instid0(VALU_DEP_2) | instskip(NEXT) | instid1(VALU_DEP_2)
	v_lshrrev_b32_e32 v16, 4, v15
	v_and_or_b32 v17, 0x7f00, v13, 0.5
	v_bfe_i32 v13, v13, 0, 16
	s_delay_alu instid0(VALU_DEP_3) | instskip(NEXT) | instid1(VALU_DEP_1)
	v_or_b32_e32 v16, 0x70000000, v16
	v_dual_add_f32 v17, -0.5, v17 :: v_dual_mul_f32 v16, 0x7800000, v16
	v_cmp_gt_u32_e32 vcc_lo, 0x8000000, v15
	s_delay_alu instid0(VALU_DEP_2) | instskip(NEXT) | instid1(VALU_DEP_1)
	v_cndmask_b32_e32 v15, v16, v17, vcc_lo
	v_and_or_b32 v13, 0x80000000, v13, v15
.LBB127_1666:
	s_mov_b32 s3, -1
	s_mov_b32 s2, 0
	s_cbranch_execnz .LBB127_1677
.LBB127_1667:
	v_cmp_lt_i16_e32 vcc_lo, 14, v14
	s_cbranch_vccz .LBB127_1670
; %bb.1668:
	v_cmp_eq_u16_e32 vcc_lo, 15, v14
	s_cbranch_vccz .LBB127_1673
; %bb.1669:
	global_load_u16 v13, v[11:12], off
	s_mov_b32 s1, 0
	s_mov_b32 s3, -1
	s_waitcnt vmcnt(0)
	v_lshlrev_b32_e32 v13, 16, v13
	s_branch .LBB127_1675
.LBB127_1670:
	s_mov_b32 s2, -1
	s_branch .LBB127_1674
.LBB127_1671:
	s_or_saveexec_b32 s10, s10
	v_mov_b32_e32 v13, s3
	s_xor_b32 exec_lo, exec_lo, s10
	s_cbranch_execz .LBB127_1653
.LBB127_1672:
	v_cmp_ne_u16_e32 vcc_lo, 0, v15
	v_mov_b32_e32 v13, 0
	s_and_not1_b32 s2, s2, exec_lo
	s_and_b32 s3, vcc_lo, exec_lo
	s_delay_alu instid0(SALU_CYCLE_1)
	s_or_b32 s2, s2, s3
	s_or_b32 exec_lo, exec_lo, s10
	s_and_saveexec_b32 s3, s2
	s_cbranch_execnz .LBB127_1654
	s_branch .LBB127_1655
.LBB127_1673:
	s_mov_b32 s1, -1
.LBB127_1674:
                                        ; implicit-def: $vgpr13
.LBB127_1675:
	s_and_b32 vcc_lo, exec_lo, s2
	s_mov_b32 s2, 0
	s_cbranch_vccz .LBB127_1677
; %bb.1676:
	v_cmp_ne_u16_e64 s1, 11, v14
	s_mov_b32 s2, -1
                                        ; implicit-def: $vgpr13
.LBB127_1677:
	s_delay_alu instid0(VALU_DEP_1)
	s_and_b32 vcc_lo, exec_lo, s1
	s_mov_b32 s1, s8
	s_cbranch_vccnz .LBB127_1701
; %bb.1678:
	s_and_not1_b32 vcc_lo, exec_lo, s2
	s_cbranch_vccnz .LBB127_1680
.LBB127_1679:
	global_load_u8 v13, v[11:12], off
	s_mov_b32 s3, -1
	s_waitcnt vmcnt(0)
	v_cmp_ne_u16_e32 vcc_lo, 0, v13
	v_cndmask_b32_e64 v13, 0, 1.0, vcc_lo
.LBB127_1680:
.LBB127_1681:
	s_and_not1_b32 vcc_lo, exec_lo, s3
	s_cbranch_vccnz .LBB127_3064
.LBB127_1682:
	s_load_b64 s[2:3], s[20:21], 0x198
	s_lshr_b32 s0, s0, 16
	s_mov_b32 s12, 0
	v_and_b32_e64 v12, 0xff, s0
	s_delay_alu instid0(VALU_DEP_1) | instskip(SKIP_2) | instid1(VALU_DEP_1)
	v_cmp_gt_i16_e32 vcc_lo, 11, v12
	s_waitcnt lgkmcnt(0)
	v_add_co_u32 v10, s0, s2, v10
	v_add_co_ci_u32_e64 v11, null, s3, 0, s0
	s_cbranch_vccnz .LBB127_1689
; %bb.1683:
	v_cmp_lt_i16_e32 vcc_lo, 25, v12
	s_mov_b32 s0, 0
	s_cbranch_vccz .LBB127_1695
; %bb.1684:
	v_cmp_lt_i16_e32 vcc_lo, 28, v12
	s_cbranch_vccz .LBB127_1697
; %bb.1685:
	v_cmp_lt_i16_e32 vcc_lo, 43, v12
	;; [unrolled: 3-line block ×3, first 2 shown]
	s_cbranch_vccz .LBB127_1703
; %bb.1687:
	v_cmp_eq_u16_e32 vcc_lo, 46, v12
	s_mov_b32 s13, 0
	s_cbranch_vccz .LBB127_1808
; %bb.1688:
	global_load_b32 v15, v[10:11], off
	s_mov_b32 s11, 0
	s_mov_b32 s12, -1
	s_waitcnt vmcnt(0)
	v_and_b32_e32 v15, 0x7fff7fff, v15
	s_delay_alu instid0(VALU_DEP_1)
	v_cmp_ne_u32_e32 vcc_lo, 0, v15
	s_and_b32 s10, vcc_lo, exec_lo
	s_branch .LBB127_1810
.LBB127_1689:
                                        ; implicit-def: $sgpr10
	s_cbranch_execz .LBB127_1873
; %bb.1690:
	v_cmp_gt_i16_e32 vcc_lo, 5, v12
	s_cbranch_vccnz .LBB127_1696
; %bb.1691:
	v_cmp_gt_i16_e32 vcc_lo, 8, v12
	s_cbranch_vccnz .LBB127_1698
; %bb.1692:
	v_cmp_gt_i16_e32 vcc_lo, 9, v12
	s_cbranch_vccnz .LBB127_1700
; %bb.1693:
	v_cmp_lt_i16_e32 vcc_lo, 9, v12
	s_cbranch_vccz .LBB127_1706
; %bb.1694:
	global_load_b128 v[15:18], v[10:11], off
	s_waitcnt vmcnt(0)
	v_cmp_neq_f64_e32 vcc_lo, 0, v[15:16]
	v_cmp_neq_f64_e64 s0, 0, v[17:18]
	s_delay_alu instid0(VALU_DEP_1)
	s_or_b32 s10, vcc_lo, s0
	s_mov_b32 s0, 0
	s_and_b32 s10, s10, exec_lo
	s_branch .LBB127_1707
.LBB127_1695:
	s_mov_b32 s11, 0
                                        ; implicit-def: $sgpr10
	s_cbranch_execnz .LBB127_1837
	s_branch .LBB127_1869
.LBB127_1696:
                                        ; implicit-def: $sgpr10
	s_branch .LBB127_1725
.LBB127_1697:
	s_mov_b32 s13, -1
	s_mov_b32 s11, 0
                                        ; implicit-def: $sgpr10
	s_branch .LBB127_1818
.LBB127_1698:
	s_mov_b32 s0, -1
                                        ; implicit-def: $sgpr10
	s_branch .LBB127_1713
.LBB127_1699:
	s_mov_b32 s13, -1
	s_mov_b32 s11, 0
                                        ; implicit-def: $sgpr10
	s_branch .LBB127_1813
.LBB127_1700:
	s_mov_b32 s0, -1
                                        ; implicit-def: $sgpr10
	s_branch .LBB127_1710
.LBB127_1701:
	s_cbranch_execnz .LBB127_1745
; %bb.1702:
	s_or_b32 s1, s8, exec_lo
                                        ; implicit-def: $vgpr13
	s_cbranch_execz .LBB127_1679
	s_branch .LBB127_1680
.LBB127_1703:
	s_mov_b32 s13, -1
	s_mov_b32 s11, 0
	s_branch .LBB127_1809
.LBB127_1704:
	s_or_saveexec_b32 s7, s7
                                        ; implicit-def: $sgpr8
	s_delay_alu instid0(SALU_CYCLE_1)
	s_xor_b32 exec_lo, exec_lo, s7
	s_cbranch_execz .LBB127_1420
.LBB127_1705:
	v_add_f32_e64 v0, 0x46000000, |v3|
	s_and_not1_b32 s5, s5, exec_lo
	s_mov_b32 s8, 0
	s_delay_alu instid0(VALU_DEP_1) | instskip(NEXT) | instid1(VALU_DEP_1)
	v_and_b32_e32 v0, 0xff, v0
	v_cmp_ne_u32_e32 vcc_lo, 0, v0
	s_and_b32 s9, vcc_lo, exec_lo
	s_delay_alu instid0(SALU_CYCLE_1)
	s_or_b32 s5, s5, s9
	s_or_b32 exec_lo, exec_lo, s7
	v_mov_b32_e32 v4, s8
	s_and_saveexec_b32 s7, s5
	s_cbranch_execnz .LBB127_1421
	s_branch .LBB127_1422
.LBB127_1706:
	s_mov_b32 s0, -1
                                        ; implicit-def: $sgpr10
.LBB127_1707:
	s_delay_alu instid0(SALU_CYCLE_1)
	s_and_not1_b32 vcc_lo, exec_lo, s0
	s_cbranch_vccnz .LBB127_1709
; %bb.1708:
	global_load_b64 v[15:16], v[10:11], off
	s_and_not1_b32 s0, s10, exec_lo
	s_waitcnt vmcnt(0)
	v_or_b32_e32 v15, v15, v16
	s_delay_alu instid0(VALU_DEP_1) | instskip(NEXT) | instid1(VALU_DEP_1)
	v_and_b32_e32 v15, 0x7fffffff, v15
	v_cmp_ne_u32_e32 vcc_lo, 0, v15
	s_and_b32 s10, vcc_lo, exec_lo
	s_delay_alu instid0(SALU_CYCLE_1)
	s_or_b32 s10, s0, s10
.LBB127_1709:
	s_mov_b32 s0, 0
.LBB127_1710:
	s_delay_alu instid0(SALU_CYCLE_1)
	s_and_not1_b32 vcc_lo, exec_lo, s0
	s_cbranch_vccnz .LBB127_1712
; %bb.1711:
	global_load_b32 v15, v[10:11], off
	s_and_not1_b32 s0, s10, exec_lo
	s_waitcnt vmcnt(0)
	v_and_b32_e32 v15, 0x7fff7fff, v15
	s_delay_alu instid0(VALU_DEP_1) | instskip(SKIP_1) | instid1(SALU_CYCLE_1)
	v_cmp_ne_u32_e32 vcc_lo, 0, v15
	s_and_b32 s10, vcc_lo, exec_lo
	s_or_b32 s10, s0, s10
.LBB127_1712:
	s_mov_b32 s0, 0
.LBB127_1713:
	s_delay_alu instid0(SALU_CYCLE_1)
	s_and_not1_b32 vcc_lo, exec_lo, s0
	s_cbranch_vccnz .LBB127_1724
; %bb.1714:
	v_cmp_gt_i16_e32 vcc_lo, 6, v12
	s_cbranch_vccnz .LBB127_1717
; %bb.1715:
	v_cmp_lt_i16_e32 vcc_lo, 6, v12
	s_cbranch_vccz .LBB127_1718
; %bb.1716:
	global_load_b64 v[15:16], v[10:11], off
	s_mov_b32 s0, 0
	s_waitcnt vmcnt(0)
	v_cmp_neq_f64_e32 vcc_lo, 0, v[15:16]
	s_and_b32 s10, vcc_lo, exec_lo
	s_branch .LBB127_1719
.LBB127_1717:
	s_mov_b32 s0, -1
                                        ; implicit-def: $sgpr10
	s_branch .LBB127_1722
.LBB127_1718:
	s_mov_b32 s0, -1
                                        ; implicit-def: $sgpr10
.LBB127_1719:
	s_delay_alu instid0(SALU_CYCLE_1)
	s_and_not1_b32 vcc_lo, exec_lo, s0
	s_cbranch_vccnz .LBB127_1721
; %bb.1720:
	global_load_b32 v15, v[10:11], off
	s_and_not1_b32 s0, s10, exec_lo
	s_waitcnt vmcnt(0)
	v_cmp_neq_f32_e32 vcc_lo, 0, v15
	s_and_b32 s10, vcc_lo, exec_lo
	s_delay_alu instid0(SALU_CYCLE_1)
	s_or_b32 s10, s0, s10
.LBB127_1721:
	s_mov_b32 s0, 0
.LBB127_1722:
	s_delay_alu instid0(SALU_CYCLE_1)
	s_and_not1_b32 vcc_lo, exec_lo, s0
	s_cbranch_vccnz .LBB127_1724
; %bb.1723:
	global_load_u16 v15, v[10:11], off
	s_and_not1_b32 s0, s10, exec_lo
	s_waitcnt vmcnt(0)
	v_and_b32_e32 v15, 0x7fff, v15
	s_delay_alu instid0(VALU_DEP_1) | instskip(SKIP_1) | instid1(SALU_CYCLE_1)
	v_cmp_ne_u16_e32 vcc_lo, 0, v15
	s_and_b32 s10, vcc_lo, exec_lo
	s_or_b32 s10, s0, s10
.LBB127_1724:
	s_cbranch_execnz .LBB127_1744
.LBB127_1725:
	v_cmp_gt_i16_e32 vcc_lo, 2, v12
	s_cbranch_vccnz .LBB127_1729
; %bb.1726:
	v_cmp_gt_i16_e32 vcc_lo, 3, v12
	s_cbranch_vccnz .LBB127_1730
; %bb.1727:
	v_cmp_lt_i16_e32 vcc_lo, 3, v12
	s_cbranch_vccz .LBB127_1731
; %bb.1728:
	global_load_b64 v[15:16], v[10:11], off
	s_mov_b32 s0, 0
	s_waitcnt vmcnt(0)
	v_cmp_ne_u64_e32 vcc_lo, 0, v[15:16]
	s_and_b32 s10, vcc_lo, exec_lo
	s_branch .LBB127_1732
.LBB127_1729:
	s_mov_b32 s0, -1
                                        ; implicit-def: $sgpr10
	s_branch .LBB127_1738
.LBB127_1730:
	s_mov_b32 s0, -1
                                        ; implicit-def: $sgpr10
	s_branch .LBB127_1735
.LBB127_1731:
	s_mov_b32 s0, -1
                                        ; implicit-def: $sgpr10
.LBB127_1732:
	s_delay_alu instid0(SALU_CYCLE_1)
	s_and_not1_b32 vcc_lo, exec_lo, s0
	s_cbranch_vccnz .LBB127_1734
; %bb.1733:
	global_load_b32 v15, v[10:11], off
	s_and_not1_b32 s0, s10, exec_lo
	s_waitcnt vmcnt(0)
	v_cmp_ne_u32_e32 vcc_lo, 0, v15
	s_and_b32 s10, vcc_lo, exec_lo
	s_delay_alu instid0(SALU_CYCLE_1)
	s_or_b32 s10, s0, s10
.LBB127_1734:
	s_mov_b32 s0, 0
.LBB127_1735:
	s_delay_alu instid0(SALU_CYCLE_1)
	s_and_not1_b32 vcc_lo, exec_lo, s0
	s_cbranch_vccnz .LBB127_1737
; %bb.1736:
	global_load_u16 v15, v[10:11], off
	s_and_not1_b32 s0, s10, exec_lo
	s_waitcnt vmcnt(0)
	v_cmp_ne_u16_e32 vcc_lo, 0, v15
	s_and_b32 s10, vcc_lo, exec_lo
	s_delay_alu instid0(SALU_CYCLE_1)
	s_or_b32 s10, s0, s10
.LBB127_1737:
	s_mov_b32 s0, 0
.LBB127_1738:
	s_delay_alu instid0(SALU_CYCLE_1)
	s_and_not1_b32 vcc_lo, exec_lo, s0
	s_cbranch_vccnz .LBB127_1744
; %bb.1739:
	v_cmp_lt_i16_e32 vcc_lo, 0, v12
	s_mov_b32 s0, 0
	s_cbranch_vccz .LBB127_1741
; %bb.1740:
	global_load_u8 v15, v[10:11], off
	s_waitcnt vmcnt(0)
	v_cmp_ne_u16_e32 vcc_lo, 0, v15
	s_and_b32 s10, vcc_lo, exec_lo
	s_branch .LBB127_1742
.LBB127_1741:
	s_mov_b32 s0, -1
                                        ; implicit-def: $sgpr10
.LBB127_1742:
	s_delay_alu instid0(SALU_CYCLE_1)
	s_and_not1_b32 vcc_lo, exec_lo, s0
	s_cbranch_vccnz .LBB127_1744
; %bb.1743:
	global_load_u8 v10, v[10:11], off
	s_and_not1_b32 s0, s10, exec_lo
	s_waitcnt vmcnt(0)
	v_cmp_ne_u16_e32 vcc_lo, 0, v10
	s_and_b32 s10, vcc_lo, exec_lo
	s_delay_alu instid0(SALU_CYCLE_1)
	s_or_b32 s10, s0, s10
.LBB127_1744:
	s_branch .LBB127_1874
.LBB127_1745:
	s_trap 2
	s_sendmsg_rtn_b32 s0, sendmsg(MSG_RTN_GET_DOORBELL)
	s_mov_b32 ttmp2, m0
	s_waitcnt lgkmcnt(0)
	s_and_b32 s0, s0, 0x3ff
	s_delay_alu instid0(SALU_CYCLE_1) | instskip(NEXT) | instid1(SALU_CYCLE_1)
	s_bitset1_b32 s0, 10
	s_mov_b32 m0, s0
	s_sendmsg sendmsg(MSG_INTERRUPT)
	s_mov_b32 m0, ttmp2
.LBB127_1746:                           ; =>This Inner Loop Header: Depth=1
	s_sethalt 5
	s_branch .LBB127_1746
.LBB127_1747:
	s_mov_b32 s7, -1
.LBB127_1748:
                                        ; implicit-def: $sgpr8
.LBB127_1749:
	s_and_b32 vcc_lo, exec_lo, s12
	s_cbranch_vccz .LBB127_1751
; %bb.1750:
	v_cmp_ne_u16_e32 vcc_lo, 44, v4
	s_and_not1_b32 s7, s7, exec_lo
	s_mov_b32 s9, -1
	s_or_b32 s8, s8, exec_lo
	s_and_b32 s12, vcc_lo, exec_lo
	s_delay_alu instid0(SALU_CYCLE_1)
	s_or_b32 s7, s7, s12
.LBB127_1751:
	s_mov_b32 s12, 0
.LBB127_1752:
	s_delay_alu instid0(SALU_CYCLE_1)
	s_and_b32 vcc_lo, exec_lo, s12
	s_cbranch_vccz .LBB127_1756
; %bb.1753:
	v_cmp_eq_u16_e32 vcc_lo, 29, v4
	s_cbranch_vccz .LBB127_1755
; %bb.1754:
	global_load_b64 v[6:7], v[2:3], off
	s_mov_b32 s7, 0
	s_mov_b32 s9, -1
	s_mov_b32 s12, 0
	s_waitcnt vmcnt(0)
	v_cmp_ne_u64_e32 vcc_lo, 0, v[6:7]
	s_and_b32 s8, vcc_lo, exec_lo
	s_branch .LBB127_1757
.LBB127_1755:
	s_mov_b32 s7, -1
                                        ; implicit-def: $sgpr8
.LBB127_1756:
	s_mov_b32 s12, 0
.LBB127_1757:
	s_delay_alu instid0(SALU_CYCLE_1)
	s_and_b32 vcc_lo, exec_lo, s12
	s_cbranch_vccz .LBB127_1775
; %bb.1758:
	v_cmp_gt_i16_e32 vcc_lo, 27, v4
	s_cbranch_vccnz .LBB127_1761
; %bb.1759:
	v_cmp_lt_i16_e32 vcc_lo, 27, v4
	s_cbranch_vccz .LBB127_1762
; %bb.1760:
	global_load_b32 v1, v[2:3], off
	s_mov_b32 s9, 0
	s_waitcnt vmcnt(0)
	v_cmp_ne_u32_e32 vcc_lo, 0, v1
	s_and_b32 s8, vcc_lo, exec_lo
	s_branch .LBB127_1763
.LBB127_1761:
	s_mov_b32 s9, -1
                                        ; implicit-def: $sgpr8
	s_branch .LBB127_1766
.LBB127_1762:
	s_mov_b32 s9, -1
                                        ; implicit-def: $sgpr8
.LBB127_1763:
	s_delay_alu instid0(SALU_CYCLE_1)
	s_and_not1_b32 vcc_lo, exec_lo, s9
	s_cbranch_vccnz .LBB127_1765
; %bb.1764:
	global_load_u16 v1, v[2:3], off
	s_and_not1_b32 s8, s8, exec_lo
	s_waitcnt vmcnt(0)
	v_cmp_ne_u16_e32 vcc_lo, 0, v1
	s_and_b32 s9, vcc_lo, exec_lo
	s_delay_alu instid0(SALU_CYCLE_1)
	s_or_b32 s8, s8, s9
.LBB127_1765:
	s_mov_b32 s9, 0
.LBB127_1766:
	s_delay_alu instid0(SALU_CYCLE_1)
	s_and_not1_b32 vcc_lo, exec_lo, s9
	s_cbranch_vccnz .LBB127_1774
; %bb.1767:
	global_load_u8 v1, v[2:3], off
	s_mov_b32 s9, 0
	s_mov_b32 s12, exec_lo
                                        ; implicit-def: $sgpr8
	s_waitcnt vmcnt(0)
	v_cmpx_lt_i16_e32 0x7f, v1
	s_xor_b32 s12, exec_lo, s12
	s_cbranch_execz .LBB127_1787
; %bb.1768:
	s_mov_b32 s9, -1
	s_mov_b32 s13, exec_lo
                                        ; implicit-def: $sgpr8
	v_cmpx_eq_u16_e32 0x80, v1
; %bb.1769:
	s_mov_b32 s8, -1
	s_xor_b32 s9, exec_lo, -1
; %bb.1770:
	s_or_b32 exec_lo, exec_lo, s13
	s_delay_alu instid0(SALU_CYCLE_1)
	s_and_b32 s9, s9, exec_lo
	s_and_not1_saveexec_b32 s12, s12
	s_cbranch_execnz .LBB127_1788
.LBB127_1771:
	s_or_b32 exec_lo, exec_lo, s12
	s_and_saveexec_b32 s12, s9
	s_cbranch_execz .LBB127_1773
.LBB127_1772:
	v_and_b32_e32 v1, 0xffff, v1
	s_and_not1_b32 s8, s8, exec_lo
	s_delay_alu instid0(VALU_DEP_1) | instskip(NEXT) | instid1(VALU_DEP_1)
	v_and_b32_e32 v6, 7, v1
	v_clz_i32_u32_e32 v7, v6
	s_delay_alu instid0(VALU_DEP_1) | instskip(NEXT) | instid1(VALU_DEP_1)
	v_min_u32_e32 v7, 32, v7
	v_subrev_nc_u32_e32 v8, 28, v7
	v_sub_nc_u32_e32 v7, 29, v7
	s_delay_alu instid0(VALU_DEP_2) | instskip(SKIP_1) | instid1(VALU_DEP_2)
	v_lshlrev_b32_e32 v8, v8, v1
	v_bfe_u32 v1, v1, 3, 4
	v_and_b32_e32 v8, 7, v8
	s_delay_alu instid0(VALU_DEP_2) | instskip(NEXT) | instid1(VALU_DEP_2)
	v_cmp_eq_u32_e32 vcc_lo, 0, v1
	v_dual_cndmask_b32 v1, v1, v7 :: v_dual_cndmask_b32 v6, v6, v8
	s_delay_alu instid0(VALU_DEP_1) | instskip(NEXT) | instid1(VALU_DEP_2)
	v_lshl_add_u32 v1, v1, 23, 0x3b800000
	v_lshlrev_b32_e32 v6, 20, v6
	s_delay_alu instid0(VALU_DEP_1) | instskip(NEXT) | instid1(VALU_DEP_1)
	v_and_or_b32 v1, 0x7f800000, v1, v6
	v_cmp_ne_u32_e32 vcc_lo, 0, v1
	s_and_b32 s9, vcc_lo, exec_lo
	s_delay_alu instid0(SALU_CYCLE_1)
	s_or_b32 s8, s8, s9
.LBB127_1773:
	s_or_b32 exec_lo, exec_lo, s12
.LBB127_1774:
	s_mov_b32 s9, -1
.LBB127_1775:
	s_branch .LBB127_1335
.LBB127_1776:
	v_cmp_lt_i16_e32 vcc_lo, 22, v4
	s_cbranch_vccz .LBB127_1786
; %bb.1777:
	v_cmp_gt_i16_e32 vcc_lo, 24, v4
	s_cbranch_vccnz .LBB127_1789
; %bb.1778:
	v_cmp_lt_i16_e32 vcc_lo, 24, v4
	s_cbranch_vccz .LBB127_1790
; %bb.1779:
	global_load_u8 v1, v[2:3], off
	s_mov_b32 s9, exec_lo
                                        ; implicit-def: $sgpr8
	s_waitcnt vmcnt(0)
	v_cmpx_lt_i16_e32 0x7f, v1
	s_xor_b32 s9, exec_lo, s9
	s_cbranch_execz .LBB127_1802
; %bb.1780:
	s_mov_b32 s2, -1
	s_mov_b32 s12, exec_lo
                                        ; implicit-def: $sgpr8
	v_cmpx_eq_u16_e32 0x80, v1
; %bb.1781:
	s_mov_b32 s8, -1
	s_xor_b32 s2, exec_lo, -1
; %bb.1782:
	s_or_b32 exec_lo, exec_lo, s12
	s_delay_alu instid0(SALU_CYCLE_1)
	s_and_b32 s2, s2, exec_lo
	s_and_not1_saveexec_b32 s9, s9
	s_cbranch_execnz .LBB127_1803
.LBB127_1783:
	s_or_b32 exec_lo, exec_lo, s9
	s_and_saveexec_b32 s9, s2
	s_cbranch_execz .LBB127_1785
.LBB127_1784:
	v_and_b32_e32 v1, 0xffff, v1
	s_and_not1_b32 s2, s8, exec_lo
	s_delay_alu instid0(VALU_DEP_1) | instskip(NEXT) | instid1(VALU_DEP_1)
	v_and_b32_e32 v6, 3, v1
	v_clz_i32_u32_e32 v7, v6
	s_delay_alu instid0(VALU_DEP_1) | instskip(NEXT) | instid1(VALU_DEP_1)
	v_min_u32_e32 v7, 32, v7
	v_subrev_nc_u32_e32 v8, 29, v7
	v_sub_nc_u32_e32 v7, 30, v7
	s_delay_alu instid0(VALU_DEP_2) | instskip(SKIP_1) | instid1(VALU_DEP_2)
	v_lshlrev_b32_e32 v8, v8, v1
	v_bfe_u32 v1, v1, 2, 5
	v_and_b32_e32 v8, 3, v8
	s_delay_alu instid0(VALU_DEP_2) | instskip(NEXT) | instid1(VALU_DEP_2)
	v_cmp_eq_u32_e32 vcc_lo, 0, v1
	v_dual_cndmask_b32 v1, v1, v7 :: v_dual_cndmask_b32 v6, v6, v8
	s_delay_alu instid0(VALU_DEP_1) | instskip(NEXT) | instid1(VALU_DEP_2)
	v_lshl_add_u32 v1, v1, 23, 0x37800000
	v_lshlrev_b32_e32 v6, 21, v6
	s_delay_alu instid0(VALU_DEP_1) | instskip(NEXT) | instid1(VALU_DEP_1)
	v_and_or_b32 v1, 0x7f800000, v1, v6
	v_cmp_ne_u32_e32 vcc_lo, 0, v1
	s_and_b32 s8, vcc_lo, exec_lo
	s_delay_alu instid0(SALU_CYCLE_1)
	s_or_b32 s8, s2, s8
.LBB127_1785:
	s_or_b32 exec_lo, exec_lo, s9
	s_mov_b32 s2, 0
	s_branch .LBB127_1791
.LBB127_1786:
	s_mov_b32 s2, -1
                                        ; implicit-def: $sgpr8
	s_branch .LBB127_1797
.LBB127_1787:
	s_and_not1_saveexec_b32 s12, s12
	s_cbranch_execz .LBB127_1771
.LBB127_1788:
	v_cmp_ne_u16_e32 vcc_lo, 0, v1
	s_and_not1_b32 s9, s9, exec_lo
	s_and_not1_b32 s8, s8, exec_lo
	s_and_b32 s13, vcc_lo, exec_lo
	s_delay_alu instid0(SALU_CYCLE_1)
	s_or_b32 s9, s9, s13
	s_or_b32 exec_lo, exec_lo, s12
	s_and_saveexec_b32 s12, s9
	s_cbranch_execnz .LBB127_1772
	s_branch .LBB127_1773
.LBB127_1789:
	s_mov_b32 s2, -1
                                        ; implicit-def: $sgpr8
	s_branch .LBB127_1794
.LBB127_1790:
	s_mov_b32 s2, -1
                                        ; implicit-def: $sgpr8
.LBB127_1791:
	s_delay_alu instid0(SALU_CYCLE_1)
	s_and_b32 vcc_lo, exec_lo, s2
	s_cbranch_vccz .LBB127_1793
; %bb.1792:
	global_load_u8 v1, v[2:3], off
	s_and_not1_b32 s8, s8, exec_lo
	s_waitcnt vmcnt(0)
	v_lshlrev_b32_e32 v1, 24, v1
	s_delay_alu instid0(VALU_DEP_1) | instskip(NEXT) | instid1(VALU_DEP_1)
	v_and_b32_e32 v1, 0x7f000000, v1
	v_clz_i32_u32_e32 v6, v1
	v_add_nc_u32_e32 v8, 0x1000000, v1
	v_cmp_ne_u32_e32 vcc_lo, 0, v1
	s_delay_alu instid0(VALU_DEP_3) | instskip(NEXT) | instid1(VALU_DEP_3)
	v_min_u32_e32 v6, 32, v6
	v_ashrrev_i32_e32 v8, 8, v8
	s_delay_alu instid0(VALU_DEP_2) | instskip(NEXT) | instid1(VALU_DEP_1)
	v_sub_nc_u32_e64 v6, v6, 4 clamp
	v_lshlrev_b32_e32 v7, v6, v1
	v_lshlrev_b32_e32 v6, 23, v6
	s_delay_alu instid0(VALU_DEP_2) | instskip(NEXT) | instid1(VALU_DEP_1)
	v_lshrrev_b32_e32 v7, 4, v7
	v_sub_nc_u32_e32 v6, v7, v6
	v_and_b32_e32 v7, 0x7f800000, v8
	s_delay_alu instid0(VALU_DEP_2) | instskip(NEXT) | instid1(VALU_DEP_1)
	v_add_nc_u32_e32 v6, 0x3c000000, v6
	v_and_or_b32 v6, 0x7ff00000, v6, v7
	s_delay_alu instid0(VALU_DEP_1) | instskip(NEXT) | instid1(VALU_DEP_1)
	v_cmp_ne_u32_e64 s2, 0, v6
	s_and_b32 s2, vcc_lo, s2
	s_delay_alu instid0(SALU_CYCLE_1) | instskip(NEXT) | instid1(SALU_CYCLE_1)
	s_and_b32 s2, s2, exec_lo
	s_or_b32 s8, s8, s2
.LBB127_1793:
	s_mov_b32 s2, 0
.LBB127_1794:
	s_delay_alu instid0(SALU_CYCLE_1)
	s_and_not1_b32 vcc_lo, exec_lo, s2
	s_cbranch_vccnz .LBB127_1796
; %bb.1795:
	global_load_u8 v1, v[2:3], off
	s_and_not1_b32 s2, s8, exec_lo
	s_waitcnt vmcnt(0)
	v_lshlrev_b32_e32 v6, 25, v1
	v_lshlrev_b32_e32 v1, 8, v1
	s_delay_alu instid0(VALU_DEP_2) | instskip(NEXT) | instid1(VALU_DEP_2)
	v_lshrrev_b32_e32 v7, 4, v6
	v_and_or_b32 v1, 0x7f00, v1, 0.5
	s_delay_alu instid0(VALU_DEP_2) | instskip(NEXT) | instid1(VALU_DEP_2)
	v_or_b32_e32 v7, 0x70000000, v7
	v_add_f32_e32 v1, -0.5, v1
	s_delay_alu instid0(VALU_DEP_2) | instskip(SKIP_1) | instid1(VALU_DEP_2)
	v_mul_f32_e32 v7, 0x7800000, v7
	v_cmp_gt_u32_e32 vcc_lo, 0x8000000, v6
	v_cndmask_b32_e32 v1, v7, v1, vcc_lo
	s_delay_alu instid0(VALU_DEP_1) | instskip(SKIP_1) | instid1(SALU_CYCLE_1)
	v_cmp_neq_f32_e32 vcc_lo, 0, v1
	s_and_b32 s8, vcc_lo, exec_lo
	s_or_b32 s8, s2, s8
.LBB127_1796:
	s_mov_b32 s2, 0
	s_mov_b32 s9, -1
.LBB127_1797:
	s_and_not1_b32 vcc_lo, exec_lo, s2
	s_mov_b32 s2, 0
	s_cbranch_vccnz .LBB127_1335
; %bb.1798:
	v_cmp_lt_i16_e32 vcc_lo, 14, v4
	s_cbranch_vccz .LBB127_1801
; %bb.1799:
	v_cmp_eq_u16_e32 vcc_lo, 15, v4
	s_cbranch_vccz .LBB127_1804
; %bb.1800:
	global_load_u16 v1, v[2:3], off
	s_mov_b32 s7, 0
	s_mov_b32 s9, -1
	s_waitcnt vmcnt(0)
	v_and_b32_e32 v1, 0x7fff, v1
	s_delay_alu instid0(VALU_DEP_1)
	v_cmp_ne_u16_e32 vcc_lo, 0, v1
	s_and_b32 s8, vcc_lo, exec_lo
	s_branch .LBB127_1806
.LBB127_1801:
	s_mov_b32 s2, -1
	s_branch .LBB127_1805
.LBB127_1802:
	s_and_not1_saveexec_b32 s9, s9
	s_cbranch_execz .LBB127_1783
.LBB127_1803:
	v_cmp_ne_u16_e32 vcc_lo, 0, v1
	s_and_not1_b32 s2, s2, exec_lo
	s_and_not1_b32 s8, s8, exec_lo
	s_and_b32 s12, vcc_lo, exec_lo
	s_delay_alu instid0(SALU_CYCLE_1)
	s_or_b32 s2, s2, s12
	s_or_b32 exec_lo, exec_lo, s9
	s_and_saveexec_b32 s9, s2
	s_cbranch_execnz .LBB127_1784
	s_branch .LBB127_1785
.LBB127_1804:
	s_mov_b32 s7, -1
.LBB127_1805:
                                        ; implicit-def: $sgpr8
.LBB127_1806:
	s_and_b32 vcc_lo, exec_lo, s2
	s_mov_b32 s2, 0
	s_cbranch_vccz .LBB127_1335
; %bb.1807:
	v_cmp_ne_u16_e32 vcc_lo, 11, v4
	s_and_not1_b32 s7, s7, exec_lo
	s_mov_b32 s2, -1
	s_and_not1_b32 s8, s8, exec_lo
	s_and_b32 s12, vcc_lo, exec_lo
	s_delay_alu instid0(SALU_CYCLE_1)
	s_or_b32 s7, s7, s12
	s_branch .LBB127_1335
.LBB127_1808:
	s_mov_b32 s11, -1
.LBB127_1809:
                                        ; implicit-def: $sgpr10
.LBB127_1810:
	s_and_b32 vcc_lo, exec_lo, s13
	s_cbranch_vccz .LBB127_1812
; %bb.1811:
	v_cmp_ne_u16_e64 s11, 44, v12
	s_mov_b32 s12, -1
	s_or_b32 s10, s10, exec_lo
.LBB127_1812:
	s_mov_b32 s13, 0
.LBB127_1813:
	s_delay_alu instid0(SALU_CYCLE_1)
	s_and_b32 vcc_lo, exec_lo, s13
	s_cbranch_vccz .LBB127_1817
; %bb.1814:
	v_cmp_eq_u16_e32 vcc_lo, 29, v12
	s_cbranch_vccz .LBB127_1816
; %bb.1815:
	global_load_b64 v[15:16], v[10:11], off
	s_mov_b32 s11, 0
	s_mov_b32 s12, -1
	s_mov_b32 s13, 0
	s_waitcnt vmcnt(0)
	v_cmp_ne_u64_e32 vcc_lo, 0, v[15:16]
	s_and_b32 s10, vcc_lo, exec_lo
	s_branch .LBB127_1818
.LBB127_1816:
	s_mov_b32 s11, -1
                                        ; implicit-def: $sgpr10
.LBB127_1817:
	s_mov_b32 s13, 0
.LBB127_1818:
	s_delay_alu instid0(SALU_CYCLE_1)
	s_and_b32 vcc_lo, exec_lo, s13
	s_cbranch_vccz .LBB127_1836
; %bb.1819:
	v_cmp_gt_i16_e32 vcc_lo, 27, v12
	s_cbranch_vccnz .LBB127_1822
; %bb.1820:
	v_cmp_lt_i16_e32 vcc_lo, 27, v12
	s_cbranch_vccz .LBB127_1823
; %bb.1821:
	global_load_b32 v15, v[10:11], off
	s_mov_b32 s12, 0
	s_waitcnt vmcnt(0)
	v_cmp_ne_u32_e32 vcc_lo, 0, v15
	s_and_b32 s10, vcc_lo, exec_lo
	s_branch .LBB127_1824
.LBB127_1822:
	s_mov_b32 s12, -1
                                        ; implicit-def: $sgpr10
	s_branch .LBB127_1827
.LBB127_1823:
	s_mov_b32 s12, -1
                                        ; implicit-def: $sgpr10
.LBB127_1824:
	s_delay_alu instid0(SALU_CYCLE_1)
	s_and_not1_b32 vcc_lo, exec_lo, s12
	s_cbranch_vccnz .LBB127_1826
; %bb.1825:
	global_load_u16 v15, v[10:11], off
	s_and_not1_b32 s10, s10, exec_lo
	s_waitcnt vmcnt(0)
	v_cmp_ne_u16_e32 vcc_lo, 0, v15
	s_and_b32 s12, vcc_lo, exec_lo
	s_delay_alu instid0(SALU_CYCLE_1)
	s_or_b32 s10, s10, s12
.LBB127_1826:
	s_mov_b32 s12, 0
.LBB127_1827:
	s_delay_alu instid0(SALU_CYCLE_1)
	s_and_not1_b32 vcc_lo, exec_lo, s12
	s_cbranch_vccnz .LBB127_1835
; %bb.1828:
	global_load_u8 v15, v[10:11], off
	s_mov_b32 s12, 0
	s_mov_b32 s13, exec_lo
                                        ; implicit-def: $sgpr10
	s_waitcnt vmcnt(0)
	v_cmpx_lt_i16_e32 0x7f, v15
	s_xor_b32 s13, exec_lo, s13
	s_cbranch_execz .LBB127_1848
; %bb.1829:
	s_mov_b32 s12, -1
	s_mov_b32 s14, exec_lo
                                        ; implicit-def: $sgpr10
	v_cmpx_eq_u16_e32 0x80, v15
; %bb.1830:
	s_mov_b32 s10, -1
	s_xor_b32 s12, exec_lo, -1
; %bb.1831:
	s_or_b32 exec_lo, exec_lo, s14
	s_delay_alu instid0(SALU_CYCLE_1)
	s_and_b32 s12, s12, exec_lo
	s_and_not1_saveexec_b32 s13, s13
	s_cbranch_execnz .LBB127_1849
.LBB127_1832:
	s_or_b32 exec_lo, exec_lo, s13
	s_and_saveexec_b32 s13, s12
	s_cbranch_execz .LBB127_1834
.LBB127_1833:
	v_and_b32_e32 v15, 0xffff, v15
	s_and_not1_b32 s10, s10, exec_lo
	s_delay_alu instid0(VALU_DEP_1) | instskip(NEXT) | instid1(VALU_DEP_1)
	v_and_b32_e32 v16, 7, v15
	v_clz_i32_u32_e32 v17, v16
	s_delay_alu instid0(VALU_DEP_1) | instskip(NEXT) | instid1(VALU_DEP_1)
	v_min_u32_e32 v17, 32, v17
	v_subrev_nc_u32_e32 v18, 28, v17
	v_sub_nc_u32_e32 v17, 29, v17
	s_delay_alu instid0(VALU_DEP_2) | instskip(SKIP_1) | instid1(VALU_DEP_2)
	v_lshlrev_b32_e32 v18, v18, v15
	v_bfe_u32 v15, v15, 3, 4
	v_and_b32_e32 v18, 7, v18
	s_delay_alu instid0(VALU_DEP_2) | instskip(NEXT) | instid1(VALU_DEP_2)
	v_cmp_eq_u32_e32 vcc_lo, 0, v15
	v_dual_cndmask_b32 v15, v15, v17 :: v_dual_cndmask_b32 v16, v16, v18
	s_delay_alu instid0(VALU_DEP_1) | instskip(NEXT) | instid1(VALU_DEP_2)
	v_lshl_add_u32 v15, v15, 23, 0x3b800000
	v_lshlrev_b32_e32 v16, 20, v16
	s_delay_alu instid0(VALU_DEP_1) | instskip(NEXT) | instid1(VALU_DEP_1)
	v_and_or_b32 v15, 0x7f800000, v15, v16
	v_cmp_ne_u32_e32 vcc_lo, 0, v15
	s_and_b32 s12, vcc_lo, exec_lo
	s_delay_alu instid0(SALU_CYCLE_1)
	s_or_b32 s10, s10, s12
.LBB127_1834:
	s_or_b32 exec_lo, exec_lo, s13
.LBB127_1835:
	s_mov_b32 s12, -1
.LBB127_1836:
	s_branch .LBB127_1869
.LBB127_1837:
	v_cmp_lt_i16_e32 vcc_lo, 22, v12
	s_cbranch_vccz .LBB127_1847
; %bb.1838:
	v_cmp_gt_i16_e32 vcc_lo, 24, v12
	s_cbranch_vccnz .LBB127_1850
; %bb.1839:
	v_cmp_lt_i16_e32 vcc_lo, 24, v12
	s_cbranch_vccz .LBB127_1851
; %bb.1840:
	global_load_u8 v15, v[10:11], off
	s_mov_b32 s12, exec_lo
                                        ; implicit-def: $sgpr10
	s_waitcnt vmcnt(0)
	v_cmpx_lt_i16_e32 0x7f, v15
	s_xor_b32 s12, exec_lo, s12
	s_cbranch_execz .LBB127_1863
; %bb.1841:
	s_mov_b32 s0, -1
	s_mov_b32 s13, exec_lo
                                        ; implicit-def: $sgpr10
	v_cmpx_eq_u16_e32 0x80, v15
; %bb.1842:
	s_mov_b32 s10, -1
	s_xor_b32 s0, exec_lo, -1
; %bb.1843:
	s_or_b32 exec_lo, exec_lo, s13
	s_delay_alu instid0(SALU_CYCLE_1)
	s_and_b32 s0, s0, exec_lo
	s_and_not1_saveexec_b32 s12, s12
	s_cbranch_execnz .LBB127_1864
.LBB127_1844:
	s_or_b32 exec_lo, exec_lo, s12
	s_and_saveexec_b32 s12, s0
	s_cbranch_execz .LBB127_1846
.LBB127_1845:
	v_and_b32_e32 v15, 0xffff, v15
	s_and_not1_b32 s0, s10, exec_lo
	s_delay_alu instid0(VALU_DEP_1) | instskip(NEXT) | instid1(VALU_DEP_1)
	v_and_b32_e32 v16, 3, v15
	v_clz_i32_u32_e32 v17, v16
	s_delay_alu instid0(VALU_DEP_1) | instskip(NEXT) | instid1(VALU_DEP_1)
	v_min_u32_e32 v17, 32, v17
	v_subrev_nc_u32_e32 v18, 29, v17
	v_sub_nc_u32_e32 v17, 30, v17
	s_delay_alu instid0(VALU_DEP_2) | instskip(SKIP_1) | instid1(VALU_DEP_2)
	v_lshlrev_b32_e32 v18, v18, v15
	v_bfe_u32 v15, v15, 2, 5
	v_and_b32_e32 v18, 3, v18
	s_delay_alu instid0(VALU_DEP_2) | instskip(NEXT) | instid1(VALU_DEP_2)
	v_cmp_eq_u32_e32 vcc_lo, 0, v15
	v_dual_cndmask_b32 v15, v15, v17 :: v_dual_cndmask_b32 v16, v16, v18
	s_delay_alu instid0(VALU_DEP_1) | instskip(NEXT) | instid1(VALU_DEP_2)
	v_lshl_add_u32 v15, v15, 23, 0x37800000
	v_lshlrev_b32_e32 v16, 21, v16
	s_delay_alu instid0(VALU_DEP_1) | instskip(NEXT) | instid1(VALU_DEP_1)
	v_and_or_b32 v15, 0x7f800000, v15, v16
	v_cmp_ne_u32_e32 vcc_lo, 0, v15
	s_and_b32 s10, vcc_lo, exec_lo
	s_delay_alu instid0(SALU_CYCLE_1)
	s_or_b32 s10, s0, s10
.LBB127_1846:
	s_or_b32 exec_lo, exec_lo, s12
	s_mov_b32 s0, 0
	s_branch .LBB127_1852
.LBB127_1847:
	s_mov_b32 s0, -1
                                        ; implicit-def: $sgpr10
	s_branch .LBB127_1858
.LBB127_1848:
	s_and_not1_saveexec_b32 s13, s13
	s_cbranch_execz .LBB127_1832
.LBB127_1849:
	v_cmp_ne_u16_e32 vcc_lo, 0, v15
	s_and_not1_b32 s12, s12, exec_lo
	s_and_not1_b32 s10, s10, exec_lo
	s_and_b32 s14, vcc_lo, exec_lo
	s_delay_alu instid0(SALU_CYCLE_1)
	s_or_b32 s12, s12, s14
	s_or_b32 exec_lo, exec_lo, s13
	s_and_saveexec_b32 s13, s12
	s_cbranch_execnz .LBB127_1833
	s_branch .LBB127_1834
.LBB127_1850:
	s_mov_b32 s0, -1
                                        ; implicit-def: $sgpr10
	s_branch .LBB127_1855
.LBB127_1851:
	s_mov_b32 s0, -1
                                        ; implicit-def: $sgpr10
.LBB127_1852:
	s_delay_alu instid0(SALU_CYCLE_1)
	s_and_b32 vcc_lo, exec_lo, s0
	s_cbranch_vccz .LBB127_1854
; %bb.1853:
	global_load_u8 v15, v[10:11], off
	s_and_not1_b32 s10, s10, exec_lo
	s_waitcnt vmcnt(0)
	v_lshlrev_b32_e32 v15, 24, v15
	s_delay_alu instid0(VALU_DEP_1) | instskip(NEXT) | instid1(VALU_DEP_1)
	v_and_b32_e32 v15, 0x7f000000, v15
	v_clz_i32_u32_e32 v16, v15
	v_add_nc_u32_e32 v18, 0x1000000, v15
	v_cmp_ne_u32_e32 vcc_lo, 0, v15
	s_delay_alu instid0(VALU_DEP_3) | instskip(NEXT) | instid1(VALU_DEP_3)
	v_min_u32_e32 v16, 32, v16
	v_ashrrev_i32_e32 v18, 8, v18
	s_delay_alu instid0(VALU_DEP_2) | instskip(NEXT) | instid1(VALU_DEP_1)
	v_sub_nc_u32_e64 v16, v16, 4 clamp
	v_lshlrev_b32_e32 v17, v16, v15
	v_lshlrev_b32_e32 v16, 23, v16
	s_delay_alu instid0(VALU_DEP_2) | instskip(NEXT) | instid1(VALU_DEP_1)
	v_lshrrev_b32_e32 v17, 4, v17
	v_sub_nc_u32_e32 v16, v17, v16
	v_and_b32_e32 v17, 0x7f800000, v18
	s_delay_alu instid0(VALU_DEP_2) | instskip(NEXT) | instid1(VALU_DEP_1)
	v_add_nc_u32_e32 v16, 0x3c000000, v16
	v_and_or_b32 v16, 0x7ff00000, v16, v17
	s_delay_alu instid0(VALU_DEP_1) | instskip(NEXT) | instid1(VALU_DEP_1)
	v_cmp_ne_u32_e64 s0, 0, v16
	s_and_b32 s0, vcc_lo, s0
	s_delay_alu instid0(SALU_CYCLE_1) | instskip(NEXT) | instid1(SALU_CYCLE_1)
	s_and_b32 s0, s0, exec_lo
	s_or_b32 s10, s10, s0
.LBB127_1854:
	s_mov_b32 s0, 0
.LBB127_1855:
	s_delay_alu instid0(SALU_CYCLE_1)
	s_and_not1_b32 vcc_lo, exec_lo, s0
	s_cbranch_vccnz .LBB127_1857
; %bb.1856:
	global_load_u8 v15, v[10:11], off
	s_and_not1_b32 s0, s10, exec_lo
	s_waitcnt vmcnt(0)
	v_lshlrev_b32_e32 v16, 25, v15
	v_lshlrev_b32_e32 v15, 8, v15
	s_delay_alu instid0(VALU_DEP_2) | instskip(NEXT) | instid1(VALU_DEP_2)
	v_lshrrev_b32_e32 v17, 4, v16
	v_and_or_b32 v15, 0x7f00, v15, 0.5
	s_delay_alu instid0(VALU_DEP_2) | instskip(NEXT) | instid1(VALU_DEP_2)
	v_or_b32_e32 v17, 0x70000000, v17
	v_add_f32_e32 v15, -0.5, v15
	s_delay_alu instid0(VALU_DEP_2) | instskip(SKIP_1) | instid1(VALU_DEP_2)
	v_mul_f32_e32 v17, 0x7800000, v17
	v_cmp_gt_u32_e32 vcc_lo, 0x8000000, v16
	v_cndmask_b32_e32 v15, v17, v15, vcc_lo
	s_delay_alu instid0(VALU_DEP_1) | instskip(SKIP_1) | instid1(SALU_CYCLE_1)
	v_cmp_neq_f32_e32 vcc_lo, 0, v15
	s_and_b32 s10, vcc_lo, exec_lo
	s_or_b32 s10, s0, s10
.LBB127_1857:
	s_mov_b32 s0, 0
	s_mov_b32 s12, -1
.LBB127_1858:
	s_and_not1_b32 vcc_lo, exec_lo, s0
	s_mov_b32 s0, 0
	s_cbranch_vccnz .LBB127_1869
; %bb.1859:
	v_cmp_lt_i16_e32 vcc_lo, 14, v12
	s_cbranch_vccz .LBB127_1862
; %bb.1860:
	v_cmp_eq_u16_e32 vcc_lo, 15, v12
	s_cbranch_vccz .LBB127_1865
; %bb.1861:
	global_load_u16 v15, v[10:11], off
	s_mov_b32 s11, 0
	s_mov_b32 s12, -1
	s_waitcnt vmcnt(0)
	v_and_b32_e32 v15, 0x7fff, v15
	s_delay_alu instid0(VALU_DEP_1)
	v_cmp_ne_u16_e32 vcc_lo, 0, v15
	s_and_b32 s10, vcc_lo, exec_lo
	s_branch .LBB127_1867
.LBB127_1862:
	s_mov_b32 s0, -1
	s_branch .LBB127_1866
.LBB127_1863:
	s_and_not1_saveexec_b32 s12, s12
	s_cbranch_execz .LBB127_1844
.LBB127_1864:
	v_cmp_ne_u16_e32 vcc_lo, 0, v15
	s_and_not1_b32 s0, s0, exec_lo
	s_and_not1_b32 s10, s10, exec_lo
	s_and_b32 s13, vcc_lo, exec_lo
	s_delay_alu instid0(SALU_CYCLE_1)
	s_or_b32 s0, s0, s13
	s_or_b32 exec_lo, exec_lo, s12
	s_and_saveexec_b32 s12, s0
	s_cbranch_execnz .LBB127_1845
	s_branch .LBB127_1846
.LBB127_1865:
	s_mov_b32 s11, -1
.LBB127_1866:
                                        ; implicit-def: $sgpr10
.LBB127_1867:
	s_and_b32 vcc_lo, exec_lo, s0
	s_mov_b32 s0, 0
	s_cbranch_vccz .LBB127_1869
; %bb.1868:
	v_cmp_ne_u16_e64 s11, 11, v12
	s_mov_b32 s0, -1
	s_and_not1_b32 s10, s10, exec_lo
.LBB127_1869:
	s_delay_alu instid0(VALU_DEP_1)
	s_and_b32 vcc_lo, exec_lo, s11
	s_cbranch_vccnz .LBB127_1893
; %bb.1870:
	s_and_not1_b32 vcc_lo, exec_lo, s0
	s_cbranch_vccnz .LBB127_1872
.LBB127_1871:
	global_load_u8 v15, v[10:11], off
	s_and_not1_b32 s0, s10, exec_lo
	s_mov_b32 s12, -1
	s_waitcnt vmcnt(0)
	v_cmp_ne_u16_e32 vcc_lo, 0, v15
	s_and_b32 s10, vcc_lo, exec_lo
	s_delay_alu instid0(SALU_CYCLE_1)
	s_or_b32 s10, s0, s10
.LBB127_1872:
.LBB127_1873:
	s_and_not1_b32 vcc_lo, exec_lo, s12
	s_cbranch_vccnz .LBB127_3064
.LBB127_1874:
	v_cmp_gt_i16_e32 vcc_lo, 11, v14
	v_add_co_u32 v9, s0, s6, v9
	s_delay_alu instid0(VALU_DEP_1)
	v_add_co_ci_u32_e64 v10, null, s7, 0, s0
	s_mov_b32 s12, 0
	s_cbranch_vccnz .LBB127_1881
; %bb.1875:
	v_cmp_lt_i16_e32 vcc_lo, 25, v14
	s_mov_b32 s11, 0
	s_cbranch_vccz .LBB127_1887
; %bb.1876:
	v_cmp_lt_i16_e32 vcc_lo, 28, v14
	s_cbranch_vccz .LBB127_1889
; %bb.1877:
	v_cmp_lt_i16_e32 vcc_lo, 43, v14
	;; [unrolled: 3-line block ×3, first 2 shown]
	s_cbranch_vccz .LBB127_1897
; %bb.1879:
	v_cmp_eq_u16_e32 vcc_lo, 46, v14
	s_mov_b32 s13, 0
	s_cbranch_vccz .LBB127_1940
; %bb.1880:
	global_load_b32 v11, v[9:10], off
	s_mov_b32 s0, 0
	s_mov_b32 s12, -1
	s_waitcnt vmcnt(0)
	v_lshlrev_b32_e32 v11, 16, v11
	s_branch .LBB127_1942
.LBB127_1881:
                                        ; implicit-def: $vgpr11
	s_cbranch_execz .LBB127_2008
; %bb.1882:
	v_cmp_gt_i16_e32 vcc_lo, 5, v14
	s_cbranch_vccnz .LBB127_1888
; %bb.1883:
	v_cmp_gt_i16_e32 vcc_lo, 8, v14
	s_cbranch_vccnz .LBB127_1890
	;; [unrolled: 3-line block ×3, first 2 shown]
; %bb.1885:
	v_cmp_lt_i16_e32 vcc_lo, 9, v14
	s_cbranch_vccz .LBB127_1898
; %bb.1886:
	global_load_b64 v[15:16], v[9:10], off
	s_mov_b32 s0, 0
	s_waitcnt vmcnt(0)
	v_cvt_f32_f64_e32 v11, v[15:16]
	s_branch .LBB127_1899
.LBB127_1887:
	s_mov_b32 s13, -1
	s_mov_b32 s0, 0
                                        ; implicit-def: $vgpr11
	s_branch .LBB127_1971
.LBB127_1888:
	s_mov_b32 s0, -1
                                        ; implicit-def: $vgpr11
	s_branch .LBB127_1917
.LBB127_1889:
	s_mov_b32 s13, -1
	s_mov_b32 s0, 0
                                        ; implicit-def: $vgpr11
	s_branch .LBB127_1952
.LBB127_1890:
	s_mov_b32 s0, -1
                                        ; implicit-def: $vgpr11
	s_branch .LBB127_1905
.LBB127_1891:
	s_mov_b32 s13, -1
	s_mov_b32 s0, 0
                                        ; implicit-def: $vgpr11
	s_branch .LBB127_1947
.LBB127_1892:
	s_mov_b32 s0, -1
                                        ; implicit-def: $vgpr11
	s_branch .LBB127_1902
.LBB127_1893:
	s_cbranch_execnz .LBB127_1938
; %bb.1894:
	s_mov_b32 s12, 0
	s_and_not1_b32 s10, s10, exec_lo
	s_or_b32 s1, s1, exec_lo
	s_cbranch_execz .LBB127_1871
	s_branch .LBB127_1872
.LBB127_1895:
	s_or_saveexec_b32 s8, s8
                                        ; implicit-def: $sgpr9
	s_delay_alu instid0(SALU_CYCLE_1)
	s_xor_b32 exec_lo, exec_lo, s8
	s_cbranch_execz .LBB127_1432
.LBB127_1896:
	v_add_f32_e64 v0, 0x42800000, |v3|
	s_and_not1_b32 s7, s7, exec_lo
	s_mov_b32 s9, 0
	s_delay_alu instid0(VALU_DEP_1) | instskip(NEXT) | instid1(VALU_DEP_1)
	v_and_b32_e32 v0, 0xff, v0
	v_cmp_ne_u32_e32 vcc_lo, 0, v0
	s_and_b32 s10, vcc_lo, exec_lo
	s_delay_alu instid0(SALU_CYCLE_1)
	s_or_b32 s7, s7, s10
	s_or_b32 exec_lo, exec_lo, s8
	v_mov_b32_e32 v4, s9
	s_and_saveexec_b32 s8, s7
	s_cbranch_execnz .LBB127_1433
	s_branch .LBB127_1434
.LBB127_1897:
	s_mov_b32 s13, -1
	s_mov_b32 s0, 0
	s_branch .LBB127_1941
.LBB127_1898:
	s_mov_b32 s0, -1
                                        ; implicit-def: $vgpr11
.LBB127_1899:
	s_delay_alu instid0(SALU_CYCLE_1)
	s_and_not1_b32 vcc_lo, exec_lo, s0
	s_cbranch_vccnz .LBB127_1901
; %bb.1900:
	global_load_b32 v11, v[9:10], off
.LBB127_1901:
	s_mov_b32 s0, 0
.LBB127_1902:
	s_delay_alu instid0(SALU_CYCLE_1)
	s_and_not1_b32 vcc_lo, exec_lo, s0
	s_cbranch_vccnz .LBB127_1904
; %bb.1903:
	global_load_b32 v11, v[9:10], off
	s_waitcnt vmcnt(0)
	v_cvt_f32_f16_e32 v11, v11
.LBB127_1904:
	s_mov_b32 s0, 0
.LBB127_1905:
	s_delay_alu instid0(SALU_CYCLE_1)
	s_and_not1_b32 vcc_lo, exec_lo, s0
	s_cbranch_vccnz .LBB127_1916
; %bb.1906:
	v_cmp_gt_i16_e32 vcc_lo, 6, v14
	s_cbranch_vccnz .LBB127_1909
; %bb.1907:
	v_cmp_lt_i16_e32 vcc_lo, 6, v14
	s_cbranch_vccz .LBB127_1910
; %bb.1908:
	global_load_b64 v[15:16], v[9:10], off
	s_mov_b32 s0, 0
	s_waitcnt vmcnt(0)
	v_cvt_f32_f64_e32 v11, v[15:16]
	s_branch .LBB127_1911
.LBB127_1909:
	s_mov_b32 s0, -1
                                        ; implicit-def: $vgpr11
	s_branch .LBB127_1914
.LBB127_1910:
	s_mov_b32 s0, -1
                                        ; implicit-def: $vgpr11
.LBB127_1911:
	s_delay_alu instid0(SALU_CYCLE_1)
	s_and_not1_b32 vcc_lo, exec_lo, s0
	s_cbranch_vccnz .LBB127_1913
; %bb.1912:
	global_load_b32 v11, v[9:10], off
.LBB127_1913:
	s_mov_b32 s0, 0
.LBB127_1914:
	s_delay_alu instid0(SALU_CYCLE_1)
	s_and_not1_b32 vcc_lo, exec_lo, s0
	s_cbranch_vccnz .LBB127_1916
; %bb.1915:
	global_load_u16 v11, v[9:10], off
	s_waitcnt vmcnt(0)
	v_cvt_f32_f16_e32 v11, v11
.LBB127_1916:
	s_mov_b32 s0, 0
.LBB127_1917:
	s_delay_alu instid0(SALU_CYCLE_1)
	s_and_not1_b32 vcc_lo, exec_lo, s0
	s_cbranch_vccnz .LBB127_1937
; %bb.1918:
	v_cmp_gt_i16_e32 vcc_lo, 2, v14
	s_cbranch_vccnz .LBB127_1922
; %bb.1919:
	v_cmp_gt_i16_e32 vcc_lo, 3, v14
	s_cbranch_vccnz .LBB127_1923
; %bb.1920:
	v_cmp_lt_i16_e32 vcc_lo, 3, v14
	s_cbranch_vccz .LBB127_1924
; %bb.1921:
	global_load_b64 v[15:16], v[9:10], off
	s_mov_b32 s0, 0
	s_waitcnt vmcnt(0)
	v_xor_b32_e32 v11, v15, v16
	v_cls_i32_e32 v17, v16
	s_delay_alu instid0(VALU_DEP_2) | instskip(NEXT) | instid1(VALU_DEP_2)
	v_ashrrev_i32_e32 v11, 31, v11
	v_add_nc_u32_e32 v17, -1, v17
	s_delay_alu instid0(VALU_DEP_2) | instskip(NEXT) | instid1(VALU_DEP_1)
	v_add_nc_u32_e32 v11, 32, v11
	v_min_u32_e32 v11, v17, v11
	s_delay_alu instid0(VALU_DEP_1) | instskip(SKIP_1) | instid1(VALU_DEP_2)
	v_lshlrev_b64 v[15:16], v11, v[15:16]
	v_sub_nc_u32_e32 v11, 32, v11
	v_min_u32_e32 v15, 1, v15
	s_delay_alu instid0(VALU_DEP_1) | instskip(NEXT) | instid1(VALU_DEP_1)
	v_or_b32_e32 v15, v16, v15
	v_cvt_f32_i32_e32 v15, v15
	s_delay_alu instid0(VALU_DEP_1)
	v_ldexp_f32 v11, v15, v11
	s_branch .LBB127_1925
.LBB127_1922:
	s_mov_b32 s0, -1
                                        ; implicit-def: $vgpr11
	s_branch .LBB127_1931
.LBB127_1923:
	s_mov_b32 s0, -1
                                        ; implicit-def: $vgpr11
	s_branch .LBB127_1928
.LBB127_1924:
	s_mov_b32 s0, -1
                                        ; implicit-def: $vgpr11
.LBB127_1925:
	s_delay_alu instid0(SALU_CYCLE_1)
	s_and_not1_b32 vcc_lo, exec_lo, s0
	s_cbranch_vccnz .LBB127_1927
; %bb.1926:
	global_load_b32 v11, v[9:10], off
	s_waitcnt vmcnt(0)
	v_cvt_f32_i32_e32 v11, v11
.LBB127_1927:
	s_mov_b32 s0, 0
.LBB127_1928:
	s_delay_alu instid0(SALU_CYCLE_1)
	s_and_not1_b32 vcc_lo, exec_lo, s0
	s_cbranch_vccnz .LBB127_1930
; %bb.1929:
	global_load_i16 v11, v[9:10], off
	s_waitcnt vmcnt(0)
	v_cvt_f32_i32_e32 v11, v11
.LBB127_1930:
	s_mov_b32 s0, 0
.LBB127_1931:
	s_delay_alu instid0(SALU_CYCLE_1)
	s_and_not1_b32 vcc_lo, exec_lo, s0
	s_cbranch_vccnz .LBB127_1937
; %bb.1932:
	v_cmp_lt_i16_e32 vcc_lo, 0, v14
	s_mov_b32 s0, 0
	s_cbranch_vccz .LBB127_1934
; %bb.1933:
	global_load_i8 v11, v[9:10], off
	s_waitcnt vmcnt(0)
	v_cvt_f32_i32_e32 v11, v11
	s_branch .LBB127_1935
.LBB127_1934:
	s_mov_b32 s0, -1
                                        ; implicit-def: $vgpr11
.LBB127_1935:
	s_delay_alu instid0(SALU_CYCLE_1)
	s_and_not1_b32 vcc_lo, exec_lo, s0
	s_cbranch_vccnz .LBB127_1937
; %bb.1936:
	global_load_u8 v9, v[9:10], off
	s_waitcnt vmcnt(0)
	v_cvt_f32_ubyte0_e32 v11, v9
.LBB127_1937:
	s_branch .LBB127_2009
.LBB127_1938:
	s_trap 2
	s_sendmsg_rtn_b32 s0, sendmsg(MSG_RTN_GET_DOORBELL)
	s_mov_b32 ttmp2, m0
	s_waitcnt lgkmcnt(0)
	s_and_b32 s0, s0, 0x3ff
	s_delay_alu instid0(SALU_CYCLE_1) | instskip(NEXT) | instid1(SALU_CYCLE_1)
	s_bitset1_b32 s0, 10
	s_mov_b32 m0, s0
	s_sendmsg sendmsg(MSG_INTERRUPT)
	s_mov_b32 m0, ttmp2
.LBB127_1939:                           ; =>This Inner Loop Header: Depth=1
	s_sethalt 5
	s_branch .LBB127_1939
.LBB127_1940:
	s_mov_b32 s0, -1
.LBB127_1941:
                                        ; implicit-def: $vgpr11
.LBB127_1942:
	s_and_b32 vcc_lo, exec_lo, s13
	s_cbranch_vccz .LBB127_1946
; %bb.1943:
	v_cmp_eq_u16_e32 vcc_lo, 44, v14
	s_cbranch_vccz .LBB127_1945
; %bb.1944:
	global_load_u8 v11, v[9:10], off
	s_mov_b32 s0, 0
	s_mov_b32 s12, -1
	s_waitcnt vmcnt(0)
	v_lshlrev_b32_e32 v15, 23, v11
	v_cmp_ne_u32_e32 vcc_lo, 0xff, v11
	s_delay_alu instid0(VALU_DEP_2) | instskip(SKIP_1) | instid1(VALU_DEP_2)
	v_cndmask_b32_e32 v15, 0x7f800001, v15, vcc_lo
	v_cmp_ne_u32_e32 vcc_lo, 0, v11
	v_cndmask_b32_e32 v11, 0x400000, v15, vcc_lo
	s_branch .LBB127_1946
.LBB127_1945:
	s_mov_b32 s0, -1
                                        ; implicit-def: $vgpr11
.LBB127_1946:
	s_mov_b32 s13, 0
.LBB127_1947:
	s_delay_alu instid0(SALU_CYCLE_1)
	s_and_b32 vcc_lo, exec_lo, s13
	s_cbranch_vccz .LBB127_1951
; %bb.1948:
	v_cmp_eq_u16_e32 vcc_lo, 29, v14
	s_cbranch_vccz .LBB127_1950
; %bb.1949:
	global_load_b64 v[15:16], v[9:10], off
	s_mov_b32 s0, 0
	s_mov_b32 s12, -1
	s_mov_b32 s13, 0
	s_waitcnt vmcnt(0)
	v_clz_i32_u32_e32 v11, v16
	s_delay_alu instid0(VALU_DEP_1) | instskip(NEXT) | instid1(VALU_DEP_1)
	v_min_u32_e32 v11, 32, v11
	v_lshlrev_b64 v[15:16], v11, v[15:16]
	v_sub_nc_u32_e32 v11, 32, v11
	s_delay_alu instid0(VALU_DEP_2) | instskip(NEXT) | instid1(VALU_DEP_1)
	v_min_u32_e32 v15, 1, v15
	v_or_b32_e32 v15, v16, v15
	s_delay_alu instid0(VALU_DEP_1) | instskip(NEXT) | instid1(VALU_DEP_1)
	v_cvt_f32_u32_e32 v15, v15
	v_ldexp_f32 v11, v15, v11
	s_branch .LBB127_1952
.LBB127_1950:
	s_mov_b32 s0, -1
                                        ; implicit-def: $vgpr11
.LBB127_1951:
	s_mov_b32 s13, 0
.LBB127_1952:
	s_delay_alu instid0(SALU_CYCLE_1)
	s_and_b32 vcc_lo, exec_lo, s13
	s_cbranch_vccz .LBB127_1970
; %bb.1953:
	v_cmp_gt_i16_e32 vcc_lo, 27, v14
	s_cbranch_vccnz .LBB127_1956
; %bb.1954:
	v_cmp_lt_i16_e32 vcc_lo, 27, v14
	s_cbranch_vccz .LBB127_1957
; %bb.1955:
	global_load_b32 v11, v[9:10], off
	s_mov_b32 s12, 0
	s_waitcnt vmcnt(0)
	v_cvt_f32_u32_e32 v11, v11
	s_branch .LBB127_1958
.LBB127_1956:
	s_mov_b32 s12, -1
                                        ; implicit-def: $vgpr11
	s_branch .LBB127_1961
.LBB127_1957:
	s_mov_b32 s12, -1
                                        ; implicit-def: $vgpr11
.LBB127_1958:
	s_delay_alu instid0(SALU_CYCLE_1)
	s_and_not1_b32 vcc_lo, exec_lo, s12
	s_cbranch_vccnz .LBB127_1960
; %bb.1959:
	global_load_u16 v11, v[9:10], off
	s_waitcnt vmcnt(0)
	v_cvt_f32_u32_e32 v11, v11
.LBB127_1960:
	s_mov_b32 s12, 0
.LBB127_1961:
	s_delay_alu instid0(SALU_CYCLE_1)
	s_and_not1_b32 vcc_lo, exec_lo, s12
	s_cbranch_vccnz .LBB127_1969
; %bb.1962:
	global_load_u8 v15, v[9:10], off
	s_mov_b32 s12, 0
	s_mov_b32 s14, exec_lo
                                        ; implicit-def: $sgpr13
	s_waitcnt vmcnt(0)
	v_cmpx_lt_i16_e32 0x7f, v15
	s_xor_b32 s14, exec_lo, s14
	s_cbranch_execz .LBB127_1983
; %bb.1963:
	s_mov_b32 s12, -1
	s_mov_b32 s15, exec_lo
                                        ; implicit-def: $sgpr13
	v_cmpx_eq_u16_e32 0x80, v15
; %bb.1964:
	s_mov_b32 s13, 0x7f800001
	s_xor_b32 s12, exec_lo, -1
; %bb.1965:
	s_or_b32 exec_lo, exec_lo, s15
	s_delay_alu instid0(SALU_CYCLE_1)
	s_and_b32 s12, s12, exec_lo
	s_or_saveexec_b32 s14, s14
	v_mov_b32_e32 v11, s13
	s_xor_b32 exec_lo, exec_lo, s14
	s_cbranch_execnz .LBB127_1984
.LBB127_1966:
	s_or_b32 exec_lo, exec_lo, s14
	s_and_saveexec_b32 s13, s12
	s_cbranch_execz .LBB127_1968
.LBB127_1967:
	v_and_b32_e32 v11, 0xffff, v15
	v_lshlrev_b32_e32 v15, 24, v15
	s_delay_alu instid0(VALU_DEP_2) | instskip(NEXT) | instid1(VALU_DEP_2)
	v_and_b32_e32 v16, 7, v11
	v_and_b32_e32 v15, 0x80000000, v15
	s_delay_alu instid0(VALU_DEP_2) | instskip(NEXT) | instid1(VALU_DEP_1)
	v_clz_i32_u32_e32 v17, v16
	v_min_u32_e32 v17, 32, v17
	s_delay_alu instid0(VALU_DEP_1) | instskip(SKIP_1) | instid1(VALU_DEP_2)
	v_subrev_nc_u32_e32 v18, 28, v17
	v_sub_nc_u32_e32 v17, 29, v17
	v_lshlrev_b32_e32 v18, v18, v11
	v_bfe_u32 v11, v11, 3, 4
	s_delay_alu instid0(VALU_DEP_2) | instskip(NEXT) | instid1(VALU_DEP_2)
	v_and_b32_e32 v18, 7, v18
	v_cmp_eq_u32_e32 vcc_lo, 0, v11
	s_delay_alu instid0(VALU_DEP_2) | instskip(NEXT) | instid1(VALU_DEP_1)
	v_dual_cndmask_b32 v11, v11, v17 :: v_dual_cndmask_b32 v16, v16, v18
	v_lshl_add_u32 v11, v11, 23, 0x3b800000
	s_delay_alu instid0(VALU_DEP_2) | instskip(NEXT) | instid1(VALU_DEP_1)
	v_lshlrev_b32_e32 v16, 20, v16
	v_or3_b32 v11, v15, v11, v16
.LBB127_1968:
	s_or_b32 exec_lo, exec_lo, s13
.LBB127_1969:
	s_mov_b32 s12, -1
.LBB127_1970:
	s_mov_b32 s13, 0
.LBB127_1971:
	s_delay_alu instid0(SALU_CYCLE_1)
	s_and_b32 vcc_lo, exec_lo, s13
	s_cbranch_vccz .LBB127_2004
; %bb.1972:
	v_cmp_lt_i16_e32 vcc_lo, 22, v14
	s_cbranch_vccz .LBB127_1982
; %bb.1973:
	v_cmp_gt_i16_e32 vcc_lo, 24, v14
	s_cbranch_vccnz .LBB127_1985
; %bb.1974:
	v_cmp_lt_i16_e32 vcc_lo, 24, v14
	s_cbranch_vccz .LBB127_1986
; %bb.1975:
	global_load_u8 v15, v[9:10], off
	s_mov_b32 s13, exec_lo
                                        ; implicit-def: $sgpr12
	s_waitcnt vmcnt(0)
	v_cmpx_lt_i16_e32 0x7f, v15
	s_xor_b32 s13, exec_lo, s13
	s_cbranch_execz .LBB127_1998
; %bb.1976:
	s_mov_b32 s11, -1
	s_mov_b32 s14, exec_lo
                                        ; implicit-def: $sgpr12
	v_cmpx_eq_u16_e32 0x80, v15
; %bb.1977:
	s_mov_b32 s12, 0x7f800001
	s_xor_b32 s11, exec_lo, -1
; %bb.1978:
	s_or_b32 exec_lo, exec_lo, s14
	s_delay_alu instid0(SALU_CYCLE_1)
	s_and_b32 s11, s11, exec_lo
	s_or_saveexec_b32 s13, s13
	v_mov_b32_e32 v11, s12
	s_xor_b32 exec_lo, exec_lo, s13
	s_cbranch_execnz .LBB127_1999
.LBB127_1979:
	s_or_b32 exec_lo, exec_lo, s13
	s_and_saveexec_b32 s12, s11
	s_cbranch_execz .LBB127_1981
.LBB127_1980:
	v_and_b32_e32 v11, 0xffff, v15
	v_lshlrev_b32_e32 v15, 24, v15
	s_delay_alu instid0(VALU_DEP_2) | instskip(NEXT) | instid1(VALU_DEP_2)
	v_and_b32_e32 v16, 3, v11
	v_and_b32_e32 v15, 0x80000000, v15
	s_delay_alu instid0(VALU_DEP_2) | instskip(NEXT) | instid1(VALU_DEP_1)
	v_clz_i32_u32_e32 v17, v16
	v_min_u32_e32 v17, 32, v17
	s_delay_alu instid0(VALU_DEP_1) | instskip(SKIP_1) | instid1(VALU_DEP_2)
	v_subrev_nc_u32_e32 v18, 29, v17
	v_sub_nc_u32_e32 v17, 30, v17
	v_lshlrev_b32_e32 v18, v18, v11
	v_bfe_u32 v11, v11, 2, 5
	s_delay_alu instid0(VALU_DEP_2) | instskip(NEXT) | instid1(VALU_DEP_2)
	v_and_b32_e32 v18, 3, v18
	v_cmp_eq_u32_e32 vcc_lo, 0, v11
	s_delay_alu instid0(VALU_DEP_2) | instskip(NEXT) | instid1(VALU_DEP_1)
	v_dual_cndmask_b32 v11, v11, v17 :: v_dual_cndmask_b32 v16, v16, v18
	v_lshl_add_u32 v11, v11, 23, 0x37800000
	s_delay_alu instid0(VALU_DEP_2) | instskip(NEXT) | instid1(VALU_DEP_1)
	v_lshlrev_b32_e32 v16, 21, v16
	v_or3_b32 v11, v15, v11, v16
.LBB127_1981:
	s_or_b32 exec_lo, exec_lo, s12
	s_mov_b32 s11, 0
	s_branch .LBB127_1987
.LBB127_1982:
	s_mov_b32 s11, -1
                                        ; implicit-def: $vgpr11
	s_branch .LBB127_1993
.LBB127_1983:
	s_or_saveexec_b32 s14, s14
	v_mov_b32_e32 v11, s13
	s_xor_b32 exec_lo, exec_lo, s14
	s_cbranch_execz .LBB127_1966
.LBB127_1984:
	v_cmp_ne_u16_e32 vcc_lo, 0, v15
	v_mov_b32_e32 v11, 0
	s_and_not1_b32 s12, s12, exec_lo
	s_and_b32 s13, vcc_lo, exec_lo
	s_delay_alu instid0(SALU_CYCLE_1)
	s_or_b32 s12, s12, s13
	s_or_b32 exec_lo, exec_lo, s14
	s_and_saveexec_b32 s13, s12
	s_cbranch_execnz .LBB127_1967
	s_branch .LBB127_1968
.LBB127_1985:
	s_mov_b32 s11, -1
                                        ; implicit-def: $vgpr11
	s_branch .LBB127_1990
.LBB127_1986:
	s_mov_b32 s11, -1
                                        ; implicit-def: $vgpr11
.LBB127_1987:
	s_delay_alu instid0(SALU_CYCLE_1)
	s_and_b32 vcc_lo, exec_lo, s11
	s_cbranch_vccz .LBB127_1989
; %bb.1988:
	global_load_u8 v11, v[9:10], off
	s_waitcnt vmcnt(0)
	v_lshlrev_b32_e32 v11, 24, v11
	s_delay_alu instid0(VALU_DEP_1) | instskip(NEXT) | instid1(VALU_DEP_1)
	v_and_b32_e32 v15, 0x7f000000, v11
	v_clz_i32_u32_e32 v16, v15
	v_cmp_ne_u32_e32 vcc_lo, 0, v15
	v_add_nc_u32_e32 v18, 0x1000000, v15
	s_delay_alu instid0(VALU_DEP_3) | instskip(NEXT) | instid1(VALU_DEP_1)
	v_min_u32_e32 v16, 32, v16
	v_sub_nc_u32_e64 v16, v16, 4 clamp
	s_delay_alu instid0(VALU_DEP_1) | instskip(SKIP_1) | instid1(VALU_DEP_2)
	v_lshlrev_b32_e32 v17, v16, v15
	v_lshlrev_b32_e32 v16, 23, v16
	v_lshrrev_b32_e32 v17, 4, v17
	s_delay_alu instid0(VALU_DEP_1) | instskip(SKIP_1) | instid1(VALU_DEP_2)
	v_sub_nc_u32_e32 v16, v17, v16
	v_ashrrev_i32_e32 v17, 8, v18
	v_add_nc_u32_e32 v16, 0x3c000000, v16
	s_delay_alu instid0(VALU_DEP_1) | instskip(NEXT) | instid1(VALU_DEP_1)
	v_and_or_b32 v16, 0x7f800000, v17, v16
	v_cndmask_b32_e32 v15, 0, v16, vcc_lo
	s_delay_alu instid0(VALU_DEP_1)
	v_and_or_b32 v11, 0x80000000, v11, v15
.LBB127_1989:
	s_mov_b32 s11, 0
.LBB127_1990:
	s_delay_alu instid0(SALU_CYCLE_1)
	s_and_not1_b32 vcc_lo, exec_lo, s11
	s_cbranch_vccnz .LBB127_1992
; %bb.1991:
	global_load_u8 v11, v[9:10], off
	s_waitcnt vmcnt(0)
	v_lshlrev_b32_e32 v15, 25, v11
	v_lshlrev_b16 v11, 8, v11
	s_delay_alu instid0(VALU_DEP_2) | instskip(NEXT) | instid1(VALU_DEP_2)
	v_lshrrev_b32_e32 v16, 4, v15
	v_and_or_b32 v17, 0x7f00, v11, 0.5
	v_bfe_i32 v11, v11, 0, 16
	s_delay_alu instid0(VALU_DEP_3) | instskip(NEXT) | instid1(VALU_DEP_1)
	v_or_b32_e32 v16, 0x70000000, v16
	v_dual_add_f32 v17, -0.5, v17 :: v_dual_mul_f32 v16, 0x7800000, v16
	v_cmp_gt_u32_e32 vcc_lo, 0x8000000, v15
	s_delay_alu instid0(VALU_DEP_2) | instskip(NEXT) | instid1(VALU_DEP_1)
	v_cndmask_b32_e32 v15, v16, v17, vcc_lo
	v_and_or_b32 v11, 0x80000000, v11, v15
.LBB127_1992:
	s_mov_b32 s11, 0
	s_mov_b32 s12, -1
.LBB127_1993:
	s_and_not1_b32 vcc_lo, exec_lo, s11
	s_mov_b32 s11, 0
	s_cbranch_vccnz .LBB127_2004
; %bb.1994:
	v_cmp_lt_i16_e32 vcc_lo, 14, v14
	s_cbranch_vccz .LBB127_1997
; %bb.1995:
	v_cmp_eq_u16_e32 vcc_lo, 15, v14
	s_cbranch_vccz .LBB127_2000
; %bb.1996:
	global_load_u16 v11, v[9:10], off
	s_mov_b32 s0, 0
	s_mov_b32 s12, -1
	s_waitcnt vmcnt(0)
	v_lshlrev_b32_e32 v11, 16, v11
	s_branch .LBB127_2002
.LBB127_1997:
	s_mov_b32 s11, -1
	s_branch .LBB127_2001
.LBB127_1998:
	s_or_saveexec_b32 s13, s13
	v_mov_b32_e32 v11, s12
	s_xor_b32 exec_lo, exec_lo, s13
	s_cbranch_execz .LBB127_1979
.LBB127_1999:
	v_cmp_ne_u16_e32 vcc_lo, 0, v15
	v_mov_b32_e32 v11, 0
	s_and_not1_b32 s11, s11, exec_lo
	s_and_b32 s12, vcc_lo, exec_lo
	s_delay_alu instid0(SALU_CYCLE_1)
	s_or_b32 s11, s11, s12
	s_or_b32 exec_lo, exec_lo, s13
	s_and_saveexec_b32 s12, s11
	s_cbranch_execnz .LBB127_1980
	s_branch .LBB127_1981
.LBB127_2000:
	s_mov_b32 s0, -1
.LBB127_2001:
                                        ; implicit-def: $vgpr11
.LBB127_2002:
	s_and_b32 vcc_lo, exec_lo, s11
	s_mov_b32 s11, 0
	s_cbranch_vccz .LBB127_2004
; %bb.2003:
	v_cmp_ne_u16_e64 s0, 11, v14
	s_mov_b32 s11, -1
                                        ; implicit-def: $vgpr11
.LBB127_2004:
	s_delay_alu instid0(VALU_DEP_1)
	s_and_b32 vcc_lo, exec_lo, s0
	s_cbranch_vccnz .LBB127_2020
; %bb.2005:
	s_and_not1_b32 vcc_lo, exec_lo, s11
	s_cbranch_vccnz .LBB127_2007
.LBB127_2006:
	global_load_u8 v11, v[9:10], off
	s_mov_b32 s12, -1
	s_waitcnt vmcnt(0)
	v_cmp_ne_u16_e32 vcc_lo, 0, v11
	v_cndmask_b32_e64 v11, 0, 1.0, vcc_lo
.LBB127_2007:
.LBB127_2008:
	s_and_not1_b32 vcc_lo, exec_lo, s12
	s_cbranch_vccnz .LBB127_3064
.LBB127_2009:
	v_cmp_gt_i16_e32 vcc_lo, 11, v12
	v_add_co_u32 v8, s0, s2, v8
	s_delay_alu instid0(VALU_DEP_1)
	v_add_co_ci_u32_e64 v9, null, s3, 0, s0
	s_mov_b32 s13, 0
	s_cbranch_vccnz .LBB127_2016
; %bb.2010:
	v_cmp_lt_i16_e32 vcc_lo, 25, v12
	s_mov_b32 s0, 0
	s_cbranch_vccz .LBB127_2017
; %bb.2011:
	v_cmp_lt_i16_e32 vcc_lo, 28, v12
	s_cbranch_vccz .LBB127_2018
; %bb.2012:
	v_cmp_lt_i16_e32 vcc_lo, 43, v12
	;; [unrolled: 3-line block ×3, first 2 shown]
	s_cbranch_vccz .LBB127_2022
; %bb.2014:
	v_cmp_eq_u16_e32 vcc_lo, 46, v12
	s_mov_b32 s14, 0
	s_cbranch_vccz .LBB127_2025
; %bb.2015:
	global_load_b32 v10, v[8:9], off
	s_mov_b32 s12, 0
	s_mov_b32 s13, -1
	s_waitcnt vmcnt(0)
	v_and_b32_e32 v10, 0x7fff7fff, v10
	s_delay_alu instid0(VALU_DEP_1)
	v_cmp_ne_u32_e32 vcc_lo, 0, v10
	s_and_b32 s11, vcc_lo, exec_lo
	s_branch .LBB127_2027
.LBB127_2016:
	s_mov_b32 s0, -1
                                        ; implicit-def: $sgpr11
	s_branch .LBB127_2091
.LBB127_2017:
	s_mov_b32 s14, -1
	s_mov_b32 s12, 0
                                        ; implicit-def: $sgpr11
	s_branch .LBB127_2054
.LBB127_2018:
	s_mov_b32 s14, -1
	s_mov_b32 s12, 0
                                        ; implicit-def: $sgpr11
	s_branch .LBB127_2035
.LBB127_2019:
	s_mov_b32 s14, -1
	s_mov_b32 s12, 0
                                        ; implicit-def: $sgpr11
	s_branch .LBB127_2030
.LBB127_2020:
	s_cbranch_execnz .LBB127_2023
; %bb.2021:
	s_or_b32 s1, s1, exec_lo
                                        ; implicit-def: $vgpr11
	s_cbranch_execz .LBB127_2006
	s_branch .LBB127_2007
.LBB127_2022:
	s_mov_b32 s14, -1
	s_mov_b32 s12, 0
	s_branch .LBB127_2026
.LBB127_2023:
	s_trap 2
	s_sendmsg_rtn_b32 s0, sendmsg(MSG_RTN_GET_DOORBELL)
	s_mov_b32 ttmp2, m0
	s_waitcnt lgkmcnt(0)
	s_and_b32 s0, s0, 0x3ff
	s_delay_alu instid0(SALU_CYCLE_1) | instskip(NEXT) | instid1(SALU_CYCLE_1)
	s_bitset1_b32 s0, 10
	s_mov_b32 m0, s0
	s_sendmsg sendmsg(MSG_INTERRUPT)
	s_mov_b32 m0, ttmp2
.LBB127_2024:                           ; =>This Inner Loop Header: Depth=1
	s_sethalt 5
	s_branch .LBB127_2024
.LBB127_2025:
	s_mov_b32 s12, -1
.LBB127_2026:
                                        ; implicit-def: $sgpr11
.LBB127_2027:
	s_and_b32 vcc_lo, exec_lo, s14
	s_cbranch_vccz .LBB127_2029
; %bb.2028:
	v_cmp_ne_u16_e64 s12, 44, v12
	s_mov_b32 s13, -1
	s_or_b32 s11, s11, exec_lo
.LBB127_2029:
	s_mov_b32 s14, 0
.LBB127_2030:
	s_delay_alu instid0(SALU_CYCLE_1)
	s_and_b32 vcc_lo, exec_lo, s14
	s_cbranch_vccz .LBB127_2034
; %bb.2031:
	v_cmp_eq_u16_e32 vcc_lo, 29, v12
	s_cbranch_vccz .LBB127_2033
; %bb.2032:
	global_load_b64 v[15:16], v[8:9], off
	s_mov_b32 s12, 0
	s_mov_b32 s13, -1
	s_mov_b32 s14, 0
	s_waitcnt vmcnt(0)
	v_cmp_ne_u64_e32 vcc_lo, 0, v[15:16]
	s_and_b32 s11, vcc_lo, exec_lo
	s_branch .LBB127_2035
.LBB127_2033:
	s_mov_b32 s12, -1
                                        ; implicit-def: $sgpr11
.LBB127_2034:
	s_mov_b32 s14, 0
.LBB127_2035:
	s_delay_alu instid0(SALU_CYCLE_1)
	s_and_b32 vcc_lo, exec_lo, s14
	s_cbranch_vccz .LBB127_2053
; %bb.2036:
	v_cmp_gt_i16_e32 vcc_lo, 27, v12
	s_cbranch_vccnz .LBB127_2039
; %bb.2037:
	v_cmp_lt_i16_e32 vcc_lo, 27, v12
	s_cbranch_vccz .LBB127_2040
; %bb.2038:
	global_load_b32 v10, v[8:9], off
	s_mov_b32 s13, 0
	s_waitcnt vmcnt(0)
	v_cmp_ne_u32_e32 vcc_lo, 0, v10
	s_and_b32 s11, vcc_lo, exec_lo
	s_branch .LBB127_2041
.LBB127_2039:
	s_mov_b32 s13, -1
                                        ; implicit-def: $sgpr11
	s_branch .LBB127_2044
.LBB127_2040:
	s_mov_b32 s13, -1
                                        ; implicit-def: $sgpr11
.LBB127_2041:
	s_delay_alu instid0(SALU_CYCLE_1)
	s_and_not1_b32 vcc_lo, exec_lo, s13
	s_cbranch_vccnz .LBB127_2043
; %bb.2042:
	global_load_u16 v10, v[8:9], off
	s_and_not1_b32 s11, s11, exec_lo
	s_waitcnt vmcnt(0)
	v_cmp_ne_u16_e32 vcc_lo, 0, v10
	s_and_b32 s13, vcc_lo, exec_lo
	s_delay_alu instid0(SALU_CYCLE_1)
	s_or_b32 s11, s11, s13
.LBB127_2043:
	s_mov_b32 s13, 0
.LBB127_2044:
	s_delay_alu instid0(SALU_CYCLE_1)
	s_and_not1_b32 vcc_lo, exec_lo, s13
	s_cbranch_vccnz .LBB127_2052
; %bb.2045:
	global_load_u8 v10, v[8:9], off
	s_mov_b32 s13, 0
	s_mov_b32 s14, exec_lo
                                        ; implicit-def: $sgpr11
	s_waitcnt vmcnt(0)
	v_cmpx_lt_i16_e32 0x7f, v10
	s_xor_b32 s14, exec_lo, s14
	s_cbranch_execz .LBB127_2066
; %bb.2046:
	s_mov_b32 s13, -1
	s_mov_b32 s15, exec_lo
                                        ; implicit-def: $sgpr11
	v_cmpx_eq_u16_e32 0x80, v10
; %bb.2047:
	s_mov_b32 s11, -1
	s_xor_b32 s13, exec_lo, -1
; %bb.2048:
	s_or_b32 exec_lo, exec_lo, s15
	s_delay_alu instid0(SALU_CYCLE_1)
	s_and_b32 s13, s13, exec_lo
	s_and_not1_saveexec_b32 s14, s14
	s_cbranch_execnz .LBB127_2067
.LBB127_2049:
	s_or_b32 exec_lo, exec_lo, s14
	s_and_saveexec_b32 s14, s13
	s_cbranch_execz .LBB127_2051
.LBB127_2050:
	v_and_b32_e32 v10, 0xffff, v10
	s_and_not1_b32 s11, s11, exec_lo
	s_delay_alu instid0(VALU_DEP_1) | instskip(NEXT) | instid1(VALU_DEP_1)
	v_and_b32_e32 v15, 7, v10
	v_clz_i32_u32_e32 v16, v15
	s_delay_alu instid0(VALU_DEP_1) | instskip(NEXT) | instid1(VALU_DEP_1)
	v_min_u32_e32 v16, 32, v16
	v_subrev_nc_u32_e32 v17, 28, v16
	v_sub_nc_u32_e32 v16, 29, v16
	s_delay_alu instid0(VALU_DEP_2) | instskip(SKIP_1) | instid1(VALU_DEP_2)
	v_lshlrev_b32_e32 v17, v17, v10
	v_bfe_u32 v10, v10, 3, 4
	v_and_b32_e32 v17, 7, v17
	s_delay_alu instid0(VALU_DEP_2) | instskip(NEXT) | instid1(VALU_DEP_2)
	v_cmp_eq_u32_e32 vcc_lo, 0, v10
	v_dual_cndmask_b32 v10, v10, v16 :: v_dual_cndmask_b32 v15, v15, v17
	s_delay_alu instid0(VALU_DEP_1) | instskip(NEXT) | instid1(VALU_DEP_2)
	v_lshl_add_u32 v10, v10, 23, 0x3b800000
	v_lshlrev_b32_e32 v15, 20, v15
	s_delay_alu instid0(VALU_DEP_1) | instskip(NEXT) | instid1(VALU_DEP_1)
	v_and_or_b32 v10, 0x7f800000, v10, v15
	v_cmp_ne_u32_e32 vcc_lo, 0, v10
	s_and_b32 s13, vcc_lo, exec_lo
	s_delay_alu instid0(SALU_CYCLE_1)
	s_or_b32 s11, s11, s13
.LBB127_2051:
	s_or_b32 exec_lo, exec_lo, s14
.LBB127_2052:
	s_mov_b32 s13, -1
.LBB127_2053:
	s_mov_b32 s14, 0
.LBB127_2054:
	s_delay_alu instid0(SALU_CYCLE_1)
	s_and_b32 vcc_lo, exec_lo, s14
	s_cbranch_vccz .LBB127_2087
; %bb.2055:
	v_cmp_lt_i16_e32 vcc_lo, 22, v12
	s_cbranch_vccz .LBB127_2065
; %bb.2056:
	v_cmp_gt_i16_e32 vcc_lo, 24, v12
	s_cbranch_vccnz .LBB127_2068
; %bb.2057:
	v_cmp_lt_i16_e32 vcc_lo, 24, v12
	s_cbranch_vccz .LBB127_2069
; %bb.2058:
	global_load_u8 v10, v[8:9], off
	s_mov_b32 s13, exec_lo
                                        ; implicit-def: $sgpr11
	s_waitcnt vmcnt(0)
	v_cmpx_lt_i16_e32 0x7f, v10
	s_xor_b32 s13, exec_lo, s13
	s_cbranch_execz .LBB127_2081
; %bb.2059:
	s_mov_b32 s0, -1
	s_mov_b32 s14, exec_lo
                                        ; implicit-def: $sgpr11
	v_cmpx_eq_u16_e32 0x80, v10
; %bb.2060:
	s_mov_b32 s11, -1
	s_xor_b32 s0, exec_lo, -1
; %bb.2061:
	s_or_b32 exec_lo, exec_lo, s14
	s_delay_alu instid0(SALU_CYCLE_1)
	s_and_b32 s0, s0, exec_lo
	s_and_not1_saveexec_b32 s13, s13
	s_cbranch_execnz .LBB127_2082
.LBB127_2062:
	s_or_b32 exec_lo, exec_lo, s13
	s_and_saveexec_b32 s13, s0
	s_cbranch_execz .LBB127_2064
.LBB127_2063:
	v_and_b32_e32 v10, 0xffff, v10
	s_and_not1_b32 s0, s11, exec_lo
	s_delay_alu instid0(VALU_DEP_1) | instskip(NEXT) | instid1(VALU_DEP_1)
	v_and_b32_e32 v15, 3, v10
	v_clz_i32_u32_e32 v16, v15
	s_delay_alu instid0(VALU_DEP_1) | instskip(NEXT) | instid1(VALU_DEP_1)
	v_min_u32_e32 v16, 32, v16
	v_subrev_nc_u32_e32 v17, 29, v16
	v_sub_nc_u32_e32 v16, 30, v16
	s_delay_alu instid0(VALU_DEP_2) | instskip(SKIP_1) | instid1(VALU_DEP_2)
	v_lshlrev_b32_e32 v17, v17, v10
	v_bfe_u32 v10, v10, 2, 5
	v_and_b32_e32 v17, 3, v17
	s_delay_alu instid0(VALU_DEP_2) | instskip(NEXT) | instid1(VALU_DEP_2)
	v_cmp_eq_u32_e32 vcc_lo, 0, v10
	v_dual_cndmask_b32 v10, v10, v16 :: v_dual_cndmask_b32 v15, v15, v17
	s_delay_alu instid0(VALU_DEP_1) | instskip(NEXT) | instid1(VALU_DEP_2)
	v_lshl_add_u32 v10, v10, 23, 0x37800000
	v_lshlrev_b32_e32 v15, 21, v15
	s_delay_alu instid0(VALU_DEP_1) | instskip(NEXT) | instid1(VALU_DEP_1)
	v_and_or_b32 v10, 0x7f800000, v10, v15
	v_cmp_ne_u32_e32 vcc_lo, 0, v10
	s_and_b32 s11, vcc_lo, exec_lo
	s_delay_alu instid0(SALU_CYCLE_1)
	s_or_b32 s11, s0, s11
.LBB127_2064:
	s_or_b32 exec_lo, exec_lo, s13
	s_mov_b32 s0, 0
	s_branch .LBB127_2070
.LBB127_2065:
	s_mov_b32 s0, -1
                                        ; implicit-def: $sgpr11
	s_branch .LBB127_2076
.LBB127_2066:
	s_and_not1_saveexec_b32 s14, s14
	s_cbranch_execz .LBB127_2049
.LBB127_2067:
	v_cmp_ne_u16_e32 vcc_lo, 0, v10
	s_and_not1_b32 s13, s13, exec_lo
	s_and_not1_b32 s11, s11, exec_lo
	s_and_b32 s15, vcc_lo, exec_lo
	s_delay_alu instid0(SALU_CYCLE_1)
	s_or_b32 s13, s13, s15
	s_or_b32 exec_lo, exec_lo, s14
	s_and_saveexec_b32 s14, s13
	s_cbranch_execnz .LBB127_2050
	s_branch .LBB127_2051
.LBB127_2068:
	s_mov_b32 s0, -1
                                        ; implicit-def: $sgpr11
	s_branch .LBB127_2073
.LBB127_2069:
	s_mov_b32 s0, -1
                                        ; implicit-def: $sgpr11
.LBB127_2070:
	s_delay_alu instid0(SALU_CYCLE_1)
	s_and_b32 vcc_lo, exec_lo, s0
	s_cbranch_vccz .LBB127_2072
; %bb.2071:
	global_load_u8 v10, v[8:9], off
	s_and_not1_b32 s11, s11, exec_lo
	s_waitcnt vmcnt(0)
	v_lshlrev_b32_e32 v10, 24, v10
	s_delay_alu instid0(VALU_DEP_1) | instskip(NEXT) | instid1(VALU_DEP_1)
	v_and_b32_e32 v10, 0x7f000000, v10
	v_clz_i32_u32_e32 v15, v10
	v_add_nc_u32_e32 v17, 0x1000000, v10
	v_cmp_ne_u32_e32 vcc_lo, 0, v10
	s_delay_alu instid0(VALU_DEP_3) | instskip(NEXT) | instid1(VALU_DEP_3)
	v_min_u32_e32 v15, 32, v15
	v_ashrrev_i32_e32 v17, 8, v17
	s_delay_alu instid0(VALU_DEP_2) | instskip(NEXT) | instid1(VALU_DEP_1)
	v_sub_nc_u32_e64 v15, v15, 4 clamp
	v_lshlrev_b32_e32 v16, v15, v10
	v_lshlrev_b32_e32 v15, 23, v15
	s_delay_alu instid0(VALU_DEP_2) | instskip(NEXT) | instid1(VALU_DEP_1)
	v_lshrrev_b32_e32 v16, 4, v16
	v_sub_nc_u32_e32 v15, v16, v15
	v_and_b32_e32 v16, 0x7f800000, v17
	s_delay_alu instid0(VALU_DEP_2) | instskip(NEXT) | instid1(VALU_DEP_1)
	v_add_nc_u32_e32 v15, 0x3c000000, v15
	v_and_or_b32 v15, 0x7ff00000, v15, v16
	s_delay_alu instid0(VALU_DEP_1) | instskip(NEXT) | instid1(VALU_DEP_1)
	v_cmp_ne_u32_e64 s0, 0, v15
	s_and_b32 s0, vcc_lo, s0
	s_delay_alu instid0(SALU_CYCLE_1) | instskip(NEXT) | instid1(SALU_CYCLE_1)
	s_and_b32 s0, s0, exec_lo
	s_or_b32 s11, s11, s0
.LBB127_2072:
	s_mov_b32 s0, 0
.LBB127_2073:
	s_delay_alu instid0(SALU_CYCLE_1)
	s_and_not1_b32 vcc_lo, exec_lo, s0
	s_cbranch_vccnz .LBB127_2075
; %bb.2074:
	global_load_u8 v10, v[8:9], off
	s_and_not1_b32 s0, s11, exec_lo
	s_waitcnt vmcnt(0)
	v_lshlrev_b32_e32 v15, 25, v10
	v_lshlrev_b32_e32 v10, 8, v10
	s_delay_alu instid0(VALU_DEP_2) | instskip(NEXT) | instid1(VALU_DEP_2)
	v_lshrrev_b32_e32 v16, 4, v15
	v_and_or_b32 v10, 0x7f00, v10, 0.5
	s_delay_alu instid0(VALU_DEP_2) | instskip(NEXT) | instid1(VALU_DEP_2)
	v_or_b32_e32 v16, 0x70000000, v16
	v_add_f32_e32 v10, -0.5, v10
	s_delay_alu instid0(VALU_DEP_2) | instskip(SKIP_1) | instid1(VALU_DEP_2)
	v_mul_f32_e32 v16, 0x7800000, v16
	v_cmp_gt_u32_e32 vcc_lo, 0x8000000, v15
	v_cndmask_b32_e32 v10, v16, v10, vcc_lo
	s_delay_alu instid0(VALU_DEP_1) | instskip(SKIP_1) | instid1(SALU_CYCLE_1)
	v_cmp_neq_f32_e32 vcc_lo, 0, v10
	s_and_b32 s11, vcc_lo, exec_lo
	s_or_b32 s11, s0, s11
.LBB127_2075:
	s_mov_b32 s0, 0
	s_mov_b32 s13, -1
.LBB127_2076:
	s_and_not1_b32 vcc_lo, exec_lo, s0
	s_mov_b32 s0, 0
	s_cbranch_vccnz .LBB127_2087
; %bb.2077:
	v_cmp_lt_i16_e32 vcc_lo, 14, v12
	s_cbranch_vccz .LBB127_2080
; %bb.2078:
	v_cmp_eq_u16_e32 vcc_lo, 15, v12
	s_cbranch_vccz .LBB127_2083
; %bb.2079:
	global_load_u16 v10, v[8:9], off
	s_mov_b32 s12, 0
	s_mov_b32 s13, -1
	s_waitcnt vmcnt(0)
	v_and_b32_e32 v10, 0x7fff, v10
	s_delay_alu instid0(VALU_DEP_1)
	v_cmp_ne_u16_e32 vcc_lo, 0, v10
	s_and_b32 s11, vcc_lo, exec_lo
	s_branch .LBB127_2085
.LBB127_2080:
	s_mov_b32 s0, -1
	s_branch .LBB127_2084
.LBB127_2081:
	s_and_not1_saveexec_b32 s13, s13
	s_cbranch_execz .LBB127_2062
.LBB127_2082:
	v_cmp_ne_u16_e32 vcc_lo, 0, v10
	s_and_not1_b32 s0, s0, exec_lo
	s_and_not1_b32 s11, s11, exec_lo
	s_and_b32 s14, vcc_lo, exec_lo
	s_delay_alu instid0(SALU_CYCLE_1)
	s_or_b32 s0, s0, s14
	s_or_b32 exec_lo, exec_lo, s13
	s_and_saveexec_b32 s13, s0
	s_cbranch_execnz .LBB127_2063
	s_branch .LBB127_2064
.LBB127_2083:
	s_mov_b32 s12, -1
.LBB127_2084:
                                        ; implicit-def: $sgpr11
.LBB127_2085:
	s_and_b32 vcc_lo, exec_lo, s0
	s_mov_b32 s0, 0
	s_cbranch_vccz .LBB127_2087
; %bb.2086:
	v_cmp_ne_u16_e64 s12, 11, v12
	s_mov_b32 s0, -1
	s_and_not1_b32 s11, s11, exec_lo
.LBB127_2087:
	s_delay_alu instid0(VALU_DEP_1)
	s_and_b32 vcc_lo, exec_lo, s12
	s_cbranch_vccnz .LBB127_2152
; %bb.2088:
	s_and_not1_b32 vcc_lo, exec_lo, s0
	s_cbranch_vccnz .LBB127_2090
.LBB127_2089:
	global_load_u8 v10, v[8:9], off
	s_and_not1_b32 s0, s11, exec_lo
	s_mov_b32 s13, -1
	s_waitcnt vmcnt(0)
	v_cmp_ne_u16_e32 vcc_lo, 0, v10
	s_and_b32 s11, vcc_lo, exec_lo
	s_delay_alu instid0(SALU_CYCLE_1)
	s_or_b32 s11, s0, s11
.LBB127_2090:
	s_mov_b32 s0, 0
.LBB127_2091:
	s_delay_alu instid0(SALU_CYCLE_1)
	s_and_b32 vcc_lo, exec_lo, s0
	s_cbranch_vccz .LBB127_2140
; %bb.2092:
	v_cmp_gt_i16_e32 vcc_lo, 5, v12
	s_cbranch_vccnz .LBB127_2097
; %bb.2093:
	v_cmp_gt_i16_e32 vcc_lo, 8, v12
	s_cbranch_vccnz .LBB127_2098
; %bb.2094:
	v_cmp_gt_i16_e32 vcc_lo, 9, v12
	s_cbranch_vccnz .LBB127_2099
; %bb.2095:
	v_cmp_lt_i16_e32 vcc_lo, 9, v12
	s_cbranch_vccz .LBB127_2100
; %bb.2096:
	global_load_b128 v[15:18], v[8:9], off
	s_waitcnt vmcnt(0)
	v_cmp_neq_f64_e32 vcc_lo, 0, v[15:16]
	v_cmp_neq_f64_e64 s0, 0, v[17:18]
	s_delay_alu instid0(VALU_DEP_1)
	s_or_b32 s11, vcc_lo, s0
	s_mov_b32 s0, 0
	s_and_b32 s11, s11, exec_lo
	s_branch .LBB127_2101
.LBB127_2097:
	s_mov_b32 s0, -1
                                        ; implicit-def: $sgpr11
	s_branch .LBB127_2119
.LBB127_2098:
	s_mov_b32 s0, -1
                                        ; implicit-def: $sgpr11
	s_branch .LBB127_2107
.LBB127_2099:
	s_mov_b32 s0, -1
                                        ; implicit-def: $sgpr11
	s_branch .LBB127_2104
.LBB127_2100:
	s_mov_b32 s0, -1
                                        ; implicit-def: $sgpr11
.LBB127_2101:
	s_delay_alu instid0(SALU_CYCLE_1)
	s_and_not1_b32 vcc_lo, exec_lo, s0
	s_cbranch_vccnz .LBB127_2103
; %bb.2102:
	global_load_b64 v[15:16], v[8:9], off
	s_and_not1_b32 s0, s11, exec_lo
	s_waitcnt vmcnt(0)
	v_or_b32_e32 v10, v15, v16
	s_delay_alu instid0(VALU_DEP_1) | instskip(NEXT) | instid1(VALU_DEP_1)
	v_and_b32_e32 v10, 0x7fffffff, v10
	v_cmp_ne_u32_e32 vcc_lo, 0, v10
	s_and_b32 s11, vcc_lo, exec_lo
	s_delay_alu instid0(SALU_CYCLE_1)
	s_or_b32 s11, s0, s11
.LBB127_2103:
	s_mov_b32 s0, 0
.LBB127_2104:
	s_delay_alu instid0(SALU_CYCLE_1)
	s_and_not1_b32 vcc_lo, exec_lo, s0
	s_cbranch_vccnz .LBB127_2106
; %bb.2105:
	global_load_b32 v10, v[8:9], off
	s_and_not1_b32 s0, s11, exec_lo
	s_waitcnt vmcnt(0)
	v_and_b32_e32 v10, 0x7fff7fff, v10
	s_delay_alu instid0(VALU_DEP_1) | instskip(SKIP_1) | instid1(SALU_CYCLE_1)
	v_cmp_ne_u32_e32 vcc_lo, 0, v10
	s_and_b32 s11, vcc_lo, exec_lo
	s_or_b32 s11, s0, s11
.LBB127_2106:
	s_mov_b32 s0, 0
.LBB127_2107:
	s_delay_alu instid0(SALU_CYCLE_1)
	s_and_not1_b32 vcc_lo, exec_lo, s0
	s_cbranch_vccnz .LBB127_2118
; %bb.2108:
	v_cmp_gt_i16_e32 vcc_lo, 6, v12
	s_cbranch_vccnz .LBB127_2111
; %bb.2109:
	v_cmp_lt_i16_e32 vcc_lo, 6, v12
	s_cbranch_vccz .LBB127_2112
; %bb.2110:
	global_load_b64 v[15:16], v[8:9], off
	s_mov_b32 s0, 0
	s_waitcnt vmcnt(0)
	v_cmp_neq_f64_e32 vcc_lo, 0, v[15:16]
	s_and_b32 s11, vcc_lo, exec_lo
	s_branch .LBB127_2113
.LBB127_2111:
	s_mov_b32 s0, -1
                                        ; implicit-def: $sgpr11
	s_branch .LBB127_2116
.LBB127_2112:
	s_mov_b32 s0, -1
                                        ; implicit-def: $sgpr11
.LBB127_2113:
	s_delay_alu instid0(SALU_CYCLE_1)
	s_and_not1_b32 vcc_lo, exec_lo, s0
	s_cbranch_vccnz .LBB127_2115
; %bb.2114:
	global_load_b32 v10, v[8:9], off
	s_and_not1_b32 s0, s11, exec_lo
	s_waitcnt vmcnt(0)
	v_cmp_neq_f32_e32 vcc_lo, 0, v10
	s_and_b32 s11, vcc_lo, exec_lo
	s_delay_alu instid0(SALU_CYCLE_1)
	s_or_b32 s11, s0, s11
.LBB127_2115:
	s_mov_b32 s0, 0
.LBB127_2116:
	s_delay_alu instid0(SALU_CYCLE_1)
	s_and_not1_b32 vcc_lo, exec_lo, s0
	s_cbranch_vccnz .LBB127_2118
; %bb.2117:
	global_load_u16 v10, v[8:9], off
	s_and_not1_b32 s0, s11, exec_lo
	s_waitcnt vmcnt(0)
	v_and_b32_e32 v10, 0x7fff, v10
	s_delay_alu instid0(VALU_DEP_1) | instskip(SKIP_1) | instid1(SALU_CYCLE_1)
	v_cmp_ne_u16_e32 vcc_lo, 0, v10
	s_and_b32 s11, vcc_lo, exec_lo
	s_or_b32 s11, s0, s11
.LBB127_2118:
	s_mov_b32 s0, 0
.LBB127_2119:
	s_delay_alu instid0(SALU_CYCLE_1)
	s_and_not1_b32 vcc_lo, exec_lo, s0
	s_cbranch_vccnz .LBB127_2139
; %bb.2120:
	v_cmp_gt_i16_e32 vcc_lo, 2, v12
	s_cbranch_vccnz .LBB127_2124
; %bb.2121:
	v_cmp_gt_i16_e32 vcc_lo, 3, v12
	s_cbranch_vccnz .LBB127_2125
; %bb.2122:
	v_cmp_lt_i16_e32 vcc_lo, 3, v12
	s_cbranch_vccz .LBB127_2126
; %bb.2123:
	global_load_b64 v[15:16], v[8:9], off
	s_mov_b32 s0, 0
	s_waitcnt vmcnt(0)
	v_cmp_ne_u64_e32 vcc_lo, 0, v[15:16]
	s_and_b32 s11, vcc_lo, exec_lo
	s_branch .LBB127_2127
.LBB127_2124:
	s_mov_b32 s0, -1
                                        ; implicit-def: $sgpr11
	s_branch .LBB127_2133
.LBB127_2125:
	s_mov_b32 s0, -1
                                        ; implicit-def: $sgpr11
	s_branch .LBB127_2130
.LBB127_2126:
	s_mov_b32 s0, -1
                                        ; implicit-def: $sgpr11
.LBB127_2127:
	s_delay_alu instid0(SALU_CYCLE_1)
	s_and_not1_b32 vcc_lo, exec_lo, s0
	s_cbranch_vccnz .LBB127_2129
; %bb.2128:
	global_load_b32 v10, v[8:9], off
	s_and_not1_b32 s0, s11, exec_lo
	s_waitcnt vmcnt(0)
	v_cmp_ne_u32_e32 vcc_lo, 0, v10
	s_and_b32 s11, vcc_lo, exec_lo
	s_delay_alu instid0(SALU_CYCLE_1)
	s_or_b32 s11, s0, s11
.LBB127_2129:
	s_mov_b32 s0, 0
.LBB127_2130:
	s_delay_alu instid0(SALU_CYCLE_1)
	s_and_not1_b32 vcc_lo, exec_lo, s0
	s_cbranch_vccnz .LBB127_2132
; %bb.2131:
	global_load_u16 v10, v[8:9], off
	s_and_not1_b32 s0, s11, exec_lo
	s_waitcnt vmcnt(0)
	v_cmp_ne_u16_e32 vcc_lo, 0, v10
	s_and_b32 s11, vcc_lo, exec_lo
	s_delay_alu instid0(SALU_CYCLE_1)
	s_or_b32 s11, s0, s11
.LBB127_2132:
	s_mov_b32 s0, 0
.LBB127_2133:
	s_delay_alu instid0(SALU_CYCLE_1)
	s_and_not1_b32 vcc_lo, exec_lo, s0
	s_cbranch_vccnz .LBB127_2139
; %bb.2134:
	v_cmp_lt_i16_e32 vcc_lo, 0, v12
	s_mov_b32 s0, 0
	s_cbranch_vccz .LBB127_2136
; %bb.2135:
	global_load_u8 v10, v[8:9], off
	s_waitcnt vmcnt(0)
	v_cmp_ne_u16_e32 vcc_lo, 0, v10
	s_and_b32 s11, vcc_lo, exec_lo
	s_branch .LBB127_2137
.LBB127_2136:
	s_mov_b32 s0, -1
                                        ; implicit-def: $sgpr11
.LBB127_2137:
	s_delay_alu instid0(SALU_CYCLE_1)
	s_and_not1_b32 vcc_lo, exec_lo, s0
	s_cbranch_vccnz .LBB127_2139
; %bb.2138:
	global_load_u8 v8, v[8:9], off
	s_and_not1_b32 s0, s11, exec_lo
	s_waitcnt vmcnt(0)
	v_cmp_ne_u16_e32 vcc_lo, 0, v8
	s_and_b32 s11, vcc_lo, exec_lo
	s_delay_alu instid0(SALU_CYCLE_1)
	s_or_b32 s11, s0, s11
.LBB127_2139:
	s_mov_b32 s13, -1
.LBB127_2140:
	s_delay_alu instid0(SALU_CYCLE_1)
	s_and_not1_b32 vcc_lo, exec_lo, s13
	s_cbranch_vccnz .LBB127_3064
; %bb.2141:
	v_cmp_gt_i16_e32 vcc_lo, 11, v14
	v_add_co_u32 v7, s0, s6, v7
	s_delay_alu instid0(VALU_DEP_1)
	v_add_co_ci_u32_e64 v8, null, s7, 0, s0
	s_mov_b32 s13, 0
	s_cbranch_vccnz .LBB127_2148
; %bb.2142:
	v_cmp_lt_i16_e32 vcc_lo, 25, v14
	s_mov_b32 s12, 0
	s_cbranch_vccz .LBB127_2149
; %bb.2143:
	v_cmp_lt_i16_e32 vcc_lo, 28, v14
	s_cbranch_vccz .LBB127_2150
; %bb.2144:
	v_cmp_lt_i16_e32 vcc_lo, 43, v14
	;; [unrolled: 3-line block ×3, first 2 shown]
	s_cbranch_vccz .LBB127_2154
; %bb.2146:
	v_cmp_eq_u16_e32 vcc_lo, 46, v14
	s_mov_b32 s14, 0
	s_cbranch_vccz .LBB127_2157
; %bb.2147:
	global_load_b32 v9, v[7:8], off
	s_mov_b32 s0, 0
	s_mov_b32 s13, -1
	s_waitcnt vmcnt(0)
	v_lshlrev_b32_e32 v9, 16, v9
	s_branch .LBB127_2159
.LBB127_2148:
	s_mov_b32 s0, -1
                                        ; implicit-def: $vgpr9
	s_branch .LBB127_2225
.LBB127_2149:
	s_mov_b32 s14, -1
	s_mov_b32 s0, 0
                                        ; implicit-def: $vgpr9
	s_branch .LBB127_2188
.LBB127_2150:
	s_mov_b32 s14, -1
	s_mov_b32 s0, 0
                                        ; implicit-def: $vgpr9
	s_branch .LBB127_2169
.LBB127_2151:
	s_mov_b32 s14, -1
	s_mov_b32 s0, 0
                                        ; implicit-def: $vgpr9
	s_branch .LBB127_2164
.LBB127_2152:
	s_cbranch_execnz .LBB127_2155
; %bb.2153:
	s_mov_b32 s13, 0
	s_and_not1_b32 s11, s11, exec_lo
	s_or_b32 s1, s1, exec_lo
	s_cbranch_execz .LBB127_2089
	s_branch .LBB127_2090
.LBB127_2154:
	s_mov_b32 s14, -1
	s_mov_b32 s0, 0
	s_branch .LBB127_2158
.LBB127_2155:
	s_trap 2
	s_sendmsg_rtn_b32 s0, sendmsg(MSG_RTN_GET_DOORBELL)
	s_mov_b32 ttmp2, m0
	s_waitcnt lgkmcnt(0)
	s_and_b32 s0, s0, 0x3ff
	s_delay_alu instid0(SALU_CYCLE_1) | instskip(NEXT) | instid1(SALU_CYCLE_1)
	s_bitset1_b32 s0, 10
	s_mov_b32 m0, s0
	s_sendmsg sendmsg(MSG_INTERRUPT)
	s_mov_b32 m0, ttmp2
.LBB127_2156:                           ; =>This Inner Loop Header: Depth=1
	s_sethalt 5
	s_branch .LBB127_2156
.LBB127_2157:
	s_mov_b32 s0, -1
.LBB127_2158:
                                        ; implicit-def: $vgpr9
.LBB127_2159:
	s_and_b32 vcc_lo, exec_lo, s14
	s_cbranch_vccz .LBB127_2163
; %bb.2160:
	v_cmp_eq_u16_e32 vcc_lo, 44, v14
	s_cbranch_vccz .LBB127_2162
; %bb.2161:
	global_load_u8 v9, v[7:8], off
	s_mov_b32 s0, 0
	s_mov_b32 s13, -1
	s_waitcnt vmcnt(0)
	v_lshlrev_b32_e32 v10, 23, v9
	v_cmp_ne_u32_e32 vcc_lo, 0xff, v9
	s_delay_alu instid0(VALU_DEP_2) | instskip(SKIP_1) | instid1(VALU_DEP_2)
	v_cndmask_b32_e32 v10, 0x7f800001, v10, vcc_lo
	v_cmp_ne_u32_e32 vcc_lo, 0, v9
	v_cndmask_b32_e32 v9, 0x400000, v10, vcc_lo
	s_branch .LBB127_2163
.LBB127_2162:
	s_mov_b32 s0, -1
                                        ; implicit-def: $vgpr9
.LBB127_2163:
	s_mov_b32 s14, 0
.LBB127_2164:
	s_delay_alu instid0(SALU_CYCLE_1)
	s_and_b32 vcc_lo, exec_lo, s14
	s_cbranch_vccz .LBB127_2168
; %bb.2165:
	v_cmp_eq_u16_e32 vcc_lo, 29, v14
	s_cbranch_vccz .LBB127_2167
; %bb.2166:
	global_load_b64 v[9:10], v[7:8], off
	s_mov_b32 s0, 0
	s_mov_b32 s13, -1
	s_mov_b32 s14, 0
	s_waitcnt vmcnt(0)
	v_clz_i32_u32_e32 v15, v10
	s_delay_alu instid0(VALU_DEP_1) | instskip(NEXT) | instid1(VALU_DEP_1)
	v_min_u32_e32 v15, 32, v15
	v_lshlrev_b64 v[9:10], v15, v[9:10]
	s_delay_alu instid0(VALU_DEP_1) | instskip(NEXT) | instid1(VALU_DEP_1)
	v_min_u32_e32 v9, 1, v9
	v_or_b32_e32 v9, v10, v9
	v_sub_nc_u32_e32 v10, 32, v15
	s_delay_alu instid0(VALU_DEP_2) | instskip(NEXT) | instid1(VALU_DEP_1)
	v_cvt_f32_u32_e32 v9, v9
	v_ldexp_f32 v9, v9, v10
	s_branch .LBB127_2169
.LBB127_2167:
	s_mov_b32 s0, -1
                                        ; implicit-def: $vgpr9
.LBB127_2168:
	s_mov_b32 s14, 0
.LBB127_2169:
	s_delay_alu instid0(SALU_CYCLE_1)
	s_and_b32 vcc_lo, exec_lo, s14
	s_cbranch_vccz .LBB127_2187
; %bb.2170:
	v_cmp_gt_i16_e32 vcc_lo, 27, v14
	s_cbranch_vccnz .LBB127_2173
; %bb.2171:
	v_cmp_lt_i16_e32 vcc_lo, 27, v14
	s_cbranch_vccz .LBB127_2174
; %bb.2172:
	global_load_b32 v9, v[7:8], off
	s_mov_b32 s13, 0
	s_waitcnt vmcnt(0)
	v_cvt_f32_u32_e32 v9, v9
	s_branch .LBB127_2175
.LBB127_2173:
	s_mov_b32 s13, -1
                                        ; implicit-def: $vgpr9
	s_branch .LBB127_2178
.LBB127_2174:
	s_mov_b32 s13, -1
                                        ; implicit-def: $vgpr9
.LBB127_2175:
	s_delay_alu instid0(SALU_CYCLE_1)
	s_and_not1_b32 vcc_lo, exec_lo, s13
	s_cbranch_vccnz .LBB127_2177
; %bb.2176:
	global_load_u16 v9, v[7:8], off
	s_waitcnt vmcnt(0)
	v_cvt_f32_u32_e32 v9, v9
.LBB127_2177:
	s_mov_b32 s13, 0
.LBB127_2178:
	s_delay_alu instid0(SALU_CYCLE_1)
	s_and_not1_b32 vcc_lo, exec_lo, s13
	s_cbranch_vccnz .LBB127_2186
; %bb.2179:
	global_load_u8 v10, v[7:8], off
	s_mov_b32 s13, 0
	s_mov_b32 s15, exec_lo
                                        ; implicit-def: $sgpr14
	s_waitcnt vmcnt(0)
	v_cmpx_lt_i16_e32 0x7f, v10
	s_xor_b32 s15, exec_lo, s15
	s_cbranch_execz .LBB127_2200
; %bb.2180:
	s_mov_b32 s13, -1
	s_mov_b32 s16, exec_lo
                                        ; implicit-def: $sgpr14
	v_cmpx_eq_u16_e32 0x80, v10
; %bb.2181:
	s_mov_b32 s14, 0x7f800001
	s_xor_b32 s13, exec_lo, -1
; %bb.2182:
	s_or_b32 exec_lo, exec_lo, s16
	s_delay_alu instid0(SALU_CYCLE_1)
	s_and_b32 s13, s13, exec_lo
	s_or_saveexec_b32 s15, s15
	v_mov_b32_e32 v9, s14
	s_xor_b32 exec_lo, exec_lo, s15
	s_cbranch_execnz .LBB127_2201
.LBB127_2183:
	s_or_b32 exec_lo, exec_lo, s15
	s_and_saveexec_b32 s14, s13
	s_cbranch_execz .LBB127_2185
.LBB127_2184:
	v_and_b32_e32 v9, 0xffff, v10
	s_delay_alu instid0(VALU_DEP_1) | instskip(NEXT) | instid1(VALU_DEP_1)
	v_and_b32_e32 v15, 7, v9
	v_clz_i32_u32_e32 v16, v15
	s_delay_alu instid0(VALU_DEP_1) | instskip(NEXT) | instid1(VALU_DEP_1)
	v_min_u32_e32 v16, 32, v16
	v_subrev_nc_u32_e32 v17, 28, v16
	v_sub_nc_u32_e32 v16, 29, v16
	s_delay_alu instid0(VALU_DEP_2) | instskip(SKIP_1) | instid1(VALU_DEP_2)
	v_lshlrev_b32_e32 v17, v17, v9
	v_bfe_u32 v9, v9, 3, 4
	v_and_b32_e32 v17, 7, v17
	s_delay_alu instid0(VALU_DEP_2) | instskip(SKIP_1) | instid1(VALU_DEP_1)
	v_cmp_eq_u32_e32 vcc_lo, 0, v9
	v_dual_cndmask_b32 v9, v9, v16 :: v_dual_lshlrev_b32 v10, 24, v10
	v_dual_cndmask_b32 v15, v15, v17 :: v_dual_and_b32 v10, 0x80000000, v10
	s_delay_alu instid0(VALU_DEP_2) | instskip(NEXT) | instid1(VALU_DEP_2)
	v_lshl_add_u32 v9, v9, 23, 0x3b800000
	v_lshlrev_b32_e32 v15, 20, v15
	s_delay_alu instid0(VALU_DEP_1)
	v_or3_b32 v9, v10, v9, v15
.LBB127_2185:
	s_or_b32 exec_lo, exec_lo, s14
.LBB127_2186:
	s_mov_b32 s13, -1
.LBB127_2187:
	s_mov_b32 s14, 0
.LBB127_2188:
	s_delay_alu instid0(SALU_CYCLE_1)
	s_and_b32 vcc_lo, exec_lo, s14
	s_cbranch_vccz .LBB127_2221
; %bb.2189:
	v_cmp_lt_i16_e32 vcc_lo, 22, v14
	s_cbranch_vccz .LBB127_2199
; %bb.2190:
	v_cmp_gt_i16_e32 vcc_lo, 24, v14
	s_cbranch_vccnz .LBB127_2202
; %bb.2191:
	v_cmp_lt_i16_e32 vcc_lo, 24, v14
	s_cbranch_vccz .LBB127_2203
; %bb.2192:
	global_load_u8 v10, v[7:8], off
	s_mov_b32 s14, exec_lo
                                        ; implicit-def: $sgpr13
	s_waitcnt vmcnt(0)
	v_cmpx_lt_i16_e32 0x7f, v10
	s_xor_b32 s14, exec_lo, s14
	s_cbranch_execz .LBB127_2215
; %bb.2193:
	s_mov_b32 s12, -1
	s_mov_b32 s15, exec_lo
                                        ; implicit-def: $sgpr13
	v_cmpx_eq_u16_e32 0x80, v10
; %bb.2194:
	s_mov_b32 s13, 0x7f800001
	s_xor_b32 s12, exec_lo, -1
; %bb.2195:
	s_or_b32 exec_lo, exec_lo, s15
	s_delay_alu instid0(SALU_CYCLE_1)
	s_and_b32 s12, s12, exec_lo
	s_or_saveexec_b32 s14, s14
	v_mov_b32_e32 v9, s13
	s_xor_b32 exec_lo, exec_lo, s14
	s_cbranch_execnz .LBB127_2216
.LBB127_2196:
	s_or_b32 exec_lo, exec_lo, s14
	s_and_saveexec_b32 s13, s12
	s_cbranch_execz .LBB127_2198
.LBB127_2197:
	v_and_b32_e32 v9, 0xffff, v10
	s_delay_alu instid0(VALU_DEP_1) | instskip(NEXT) | instid1(VALU_DEP_1)
	v_and_b32_e32 v15, 3, v9
	v_clz_i32_u32_e32 v16, v15
	s_delay_alu instid0(VALU_DEP_1) | instskip(NEXT) | instid1(VALU_DEP_1)
	v_min_u32_e32 v16, 32, v16
	v_subrev_nc_u32_e32 v17, 29, v16
	v_sub_nc_u32_e32 v16, 30, v16
	s_delay_alu instid0(VALU_DEP_2) | instskip(SKIP_1) | instid1(VALU_DEP_2)
	v_lshlrev_b32_e32 v17, v17, v9
	v_bfe_u32 v9, v9, 2, 5
	v_and_b32_e32 v17, 3, v17
	s_delay_alu instid0(VALU_DEP_2) | instskip(SKIP_1) | instid1(VALU_DEP_1)
	v_cmp_eq_u32_e32 vcc_lo, 0, v9
	v_dual_cndmask_b32 v9, v9, v16 :: v_dual_lshlrev_b32 v10, 24, v10
	v_dual_cndmask_b32 v15, v15, v17 :: v_dual_and_b32 v10, 0x80000000, v10
	s_delay_alu instid0(VALU_DEP_2) | instskip(NEXT) | instid1(VALU_DEP_2)
	v_lshl_add_u32 v9, v9, 23, 0x37800000
	v_lshlrev_b32_e32 v15, 21, v15
	s_delay_alu instid0(VALU_DEP_1)
	v_or3_b32 v9, v10, v9, v15
.LBB127_2198:
	s_or_b32 exec_lo, exec_lo, s13
	s_mov_b32 s12, 0
	s_branch .LBB127_2204
.LBB127_2199:
	s_mov_b32 s12, -1
                                        ; implicit-def: $vgpr9
	s_branch .LBB127_2210
.LBB127_2200:
	s_or_saveexec_b32 s15, s15
	v_mov_b32_e32 v9, s14
	s_xor_b32 exec_lo, exec_lo, s15
	s_cbranch_execz .LBB127_2183
.LBB127_2201:
	v_cmp_ne_u16_e32 vcc_lo, 0, v10
	v_mov_b32_e32 v9, 0
	s_and_not1_b32 s13, s13, exec_lo
	s_and_b32 s14, vcc_lo, exec_lo
	s_delay_alu instid0(SALU_CYCLE_1)
	s_or_b32 s13, s13, s14
	s_or_b32 exec_lo, exec_lo, s15
	s_and_saveexec_b32 s14, s13
	s_cbranch_execnz .LBB127_2184
	s_branch .LBB127_2185
.LBB127_2202:
	s_mov_b32 s12, -1
                                        ; implicit-def: $vgpr9
	s_branch .LBB127_2207
.LBB127_2203:
	s_mov_b32 s12, -1
                                        ; implicit-def: $vgpr9
.LBB127_2204:
	s_delay_alu instid0(SALU_CYCLE_1)
	s_and_b32 vcc_lo, exec_lo, s12
	s_cbranch_vccz .LBB127_2206
; %bb.2205:
	global_load_u8 v9, v[7:8], off
	s_waitcnt vmcnt(0)
	v_lshlrev_b32_e32 v9, 24, v9
	s_delay_alu instid0(VALU_DEP_1) | instskip(NEXT) | instid1(VALU_DEP_1)
	v_and_b32_e32 v10, 0x7f000000, v9
	v_clz_i32_u32_e32 v15, v10
	v_add_nc_u32_e32 v17, 0x1000000, v10
	v_cmp_ne_u32_e32 vcc_lo, 0, v10
	s_delay_alu instid0(VALU_DEP_3) | instskip(NEXT) | instid1(VALU_DEP_1)
	v_min_u32_e32 v15, 32, v15
	v_sub_nc_u32_e64 v15, v15, 4 clamp
	s_delay_alu instid0(VALU_DEP_1) | instskip(SKIP_1) | instid1(VALU_DEP_2)
	v_lshlrev_b32_e32 v16, v15, v10
	v_lshlrev_b32_e32 v15, 23, v15
	v_lshrrev_b32_e32 v16, 4, v16
	s_delay_alu instid0(VALU_DEP_1) | instskip(SKIP_1) | instid1(VALU_DEP_2)
	v_sub_nc_u32_e32 v15, v16, v15
	v_ashrrev_i32_e32 v16, 8, v17
	v_add_nc_u32_e32 v15, 0x3c000000, v15
	s_delay_alu instid0(VALU_DEP_1) | instskip(NEXT) | instid1(VALU_DEP_1)
	v_and_or_b32 v15, 0x7f800000, v16, v15
	v_cndmask_b32_e32 v10, 0, v15, vcc_lo
	s_delay_alu instid0(VALU_DEP_1)
	v_and_or_b32 v9, 0x80000000, v9, v10
.LBB127_2206:
	s_mov_b32 s12, 0
.LBB127_2207:
	s_delay_alu instid0(SALU_CYCLE_1)
	s_and_not1_b32 vcc_lo, exec_lo, s12
	s_cbranch_vccnz .LBB127_2209
; %bb.2208:
	global_load_u8 v9, v[7:8], off
	s_waitcnt vmcnt(0)
	v_lshlrev_b32_e32 v10, 25, v9
	v_lshlrev_b16 v9, 8, v9
	s_delay_alu instid0(VALU_DEP_2) | instskip(NEXT) | instid1(VALU_DEP_2)
	v_lshrrev_b32_e32 v15, 4, v10
	v_and_or_b32 v16, 0x7f00, v9, 0.5
	v_bfe_i32 v9, v9, 0, 16
	s_delay_alu instid0(VALU_DEP_3) | instskip(NEXT) | instid1(VALU_DEP_1)
	v_or_b32_e32 v15, 0x70000000, v15
	v_dual_add_f32 v16, -0.5, v16 :: v_dual_mul_f32 v15, 0x7800000, v15
	v_cmp_gt_u32_e32 vcc_lo, 0x8000000, v10
	s_delay_alu instid0(VALU_DEP_2) | instskip(NEXT) | instid1(VALU_DEP_1)
	v_cndmask_b32_e32 v10, v15, v16, vcc_lo
	v_and_or_b32 v9, 0x80000000, v9, v10
.LBB127_2209:
	s_mov_b32 s12, 0
	s_mov_b32 s13, -1
.LBB127_2210:
	s_and_not1_b32 vcc_lo, exec_lo, s12
	s_mov_b32 s12, 0
	s_cbranch_vccnz .LBB127_2221
; %bb.2211:
	v_cmp_lt_i16_e32 vcc_lo, 14, v14
	s_cbranch_vccz .LBB127_2214
; %bb.2212:
	v_cmp_eq_u16_e32 vcc_lo, 15, v14
	s_cbranch_vccz .LBB127_2217
; %bb.2213:
	global_load_u16 v9, v[7:8], off
	s_mov_b32 s0, 0
	s_mov_b32 s13, -1
	s_waitcnt vmcnt(0)
	v_lshlrev_b32_e32 v9, 16, v9
	s_branch .LBB127_2219
.LBB127_2214:
	s_mov_b32 s12, -1
	s_branch .LBB127_2218
.LBB127_2215:
	s_or_saveexec_b32 s14, s14
	v_mov_b32_e32 v9, s13
	s_xor_b32 exec_lo, exec_lo, s14
	s_cbranch_execz .LBB127_2196
.LBB127_2216:
	v_cmp_ne_u16_e32 vcc_lo, 0, v10
	v_mov_b32_e32 v9, 0
	s_and_not1_b32 s12, s12, exec_lo
	s_and_b32 s13, vcc_lo, exec_lo
	s_delay_alu instid0(SALU_CYCLE_1)
	s_or_b32 s12, s12, s13
	s_or_b32 exec_lo, exec_lo, s14
	s_and_saveexec_b32 s13, s12
	s_cbranch_execnz .LBB127_2197
	s_branch .LBB127_2198
.LBB127_2217:
	s_mov_b32 s0, -1
.LBB127_2218:
                                        ; implicit-def: $vgpr9
.LBB127_2219:
	s_and_b32 vcc_lo, exec_lo, s12
	s_mov_b32 s12, 0
	s_cbranch_vccz .LBB127_2221
; %bb.2220:
	v_cmp_ne_u16_e64 s0, 11, v14
	s_mov_b32 s12, -1
                                        ; implicit-def: $vgpr9
.LBB127_2221:
	s_delay_alu instid0(VALU_DEP_1)
	s_and_b32 vcc_lo, exec_lo, s0
	s_cbranch_vccnz .LBB127_2286
; %bb.2222:
	s_and_not1_b32 vcc_lo, exec_lo, s12
	s_cbranch_vccnz .LBB127_2224
.LBB127_2223:
	global_load_u8 v9, v[7:8], off
	s_mov_b32 s13, -1
	s_waitcnt vmcnt(0)
	v_cmp_ne_u16_e32 vcc_lo, 0, v9
	v_cndmask_b32_e64 v9, 0, 1.0, vcc_lo
.LBB127_2224:
	s_mov_b32 s0, 0
.LBB127_2225:
	s_delay_alu instid0(SALU_CYCLE_1)
	s_and_b32 vcc_lo, exec_lo, s0
	s_cbranch_vccz .LBB127_2274
; %bb.2226:
	v_cmp_gt_i16_e32 vcc_lo, 5, v14
	s_cbranch_vccnz .LBB127_2231
; %bb.2227:
	v_cmp_gt_i16_e32 vcc_lo, 8, v14
	s_cbranch_vccnz .LBB127_2232
	;; [unrolled: 3-line block ×3, first 2 shown]
; %bb.2229:
	v_cmp_lt_i16_e32 vcc_lo, 9, v14
	s_cbranch_vccz .LBB127_2234
; %bb.2230:
	global_load_b64 v[9:10], v[7:8], off
	s_mov_b32 s0, 0
	s_waitcnt vmcnt(0)
	v_cvt_f32_f64_e32 v9, v[9:10]
	s_branch .LBB127_2235
.LBB127_2231:
	s_mov_b32 s0, -1
                                        ; implicit-def: $vgpr9
	s_branch .LBB127_2253
.LBB127_2232:
	s_mov_b32 s0, -1
                                        ; implicit-def: $vgpr9
	s_branch .LBB127_2241
.LBB127_2233:
	s_mov_b32 s0, -1
                                        ; implicit-def: $vgpr9
	s_branch .LBB127_2238
.LBB127_2234:
	s_mov_b32 s0, -1
                                        ; implicit-def: $vgpr9
.LBB127_2235:
	s_delay_alu instid0(SALU_CYCLE_1)
	s_and_not1_b32 vcc_lo, exec_lo, s0
	s_cbranch_vccnz .LBB127_2237
; %bb.2236:
	global_load_b32 v9, v[7:8], off
.LBB127_2237:
	s_mov_b32 s0, 0
.LBB127_2238:
	s_delay_alu instid0(SALU_CYCLE_1)
	s_and_not1_b32 vcc_lo, exec_lo, s0
	s_cbranch_vccnz .LBB127_2240
; %bb.2239:
	global_load_b32 v9, v[7:8], off
	s_waitcnt vmcnt(0)
	v_cvt_f32_f16_e32 v9, v9
.LBB127_2240:
	s_mov_b32 s0, 0
.LBB127_2241:
	s_delay_alu instid0(SALU_CYCLE_1)
	s_and_not1_b32 vcc_lo, exec_lo, s0
	s_cbranch_vccnz .LBB127_2252
; %bb.2242:
	v_cmp_gt_i16_e32 vcc_lo, 6, v14
	s_cbranch_vccnz .LBB127_2245
; %bb.2243:
	v_cmp_lt_i16_e32 vcc_lo, 6, v14
	s_cbranch_vccz .LBB127_2246
; %bb.2244:
	global_load_b64 v[9:10], v[7:8], off
	s_mov_b32 s0, 0
	s_waitcnt vmcnt(0)
	v_cvt_f32_f64_e32 v9, v[9:10]
	s_branch .LBB127_2247
.LBB127_2245:
	s_mov_b32 s0, -1
                                        ; implicit-def: $vgpr9
	s_branch .LBB127_2250
.LBB127_2246:
	s_mov_b32 s0, -1
                                        ; implicit-def: $vgpr9
.LBB127_2247:
	s_delay_alu instid0(SALU_CYCLE_1)
	s_and_not1_b32 vcc_lo, exec_lo, s0
	s_cbranch_vccnz .LBB127_2249
; %bb.2248:
	global_load_b32 v9, v[7:8], off
.LBB127_2249:
	s_mov_b32 s0, 0
.LBB127_2250:
	s_delay_alu instid0(SALU_CYCLE_1)
	s_and_not1_b32 vcc_lo, exec_lo, s0
	s_cbranch_vccnz .LBB127_2252
; %bb.2251:
	global_load_u16 v9, v[7:8], off
	s_waitcnt vmcnt(0)
	v_cvt_f32_f16_e32 v9, v9
.LBB127_2252:
	s_mov_b32 s0, 0
.LBB127_2253:
	s_delay_alu instid0(SALU_CYCLE_1)
	s_and_not1_b32 vcc_lo, exec_lo, s0
	s_cbranch_vccnz .LBB127_2273
; %bb.2254:
	v_cmp_gt_i16_e32 vcc_lo, 2, v14
	s_cbranch_vccnz .LBB127_2258
; %bb.2255:
	v_cmp_gt_i16_e32 vcc_lo, 3, v14
	s_cbranch_vccnz .LBB127_2259
; %bb.2256:
	v_cmp_lt_i16_e32 vcc_lo, 3, v14
	s_cbranch_vccz .LBB127_2260
; %bb.2257:
	global_load_b64 v[9:10], v[7:8], off
	s_mov_b32 s0, 0
	s_waitcnt vmcnt(0)
	v_xor_b32_e32 v15, v9, v10
	v_cls_i32_e32 v16, v10
	s_delay_alu instid0(VALU_DEP_2) | instskip(NEXT) | instid1(VALU_DEP_2)
	v_ashrrev_i32_e32 v15, 31, v15
	v_add_nc_u32_e32 v16, -1, v16
	s_delay_alu instid0(VALU_DEP_2) | instskip(NEXT) | instid1(VALU_DEP_1)
	v_add_nc_u32_e32 v15, 32, v15
	v_min_u32_e32 v15, v16, v15
	s_delay_alu instid0(VALU_DEP_1) | instskip(NEXT) | instid1(VALU_DEP_1)
	v_lshlrev_b64 v[9:10], v15, v[9:10]
	v_min_u32_e32 v9, 1, v9
	s_delay_alu instid0(VALU_DEP_1) | instskip(SKIP_1) | instid1(VALU_DEP_2)
	v_or_b32_e32 v9, v10, v9
	v_sub_nc_u32_e32 v10, 32, v15
	v_cvt_f32_i32_e32 v9, v9
	s_delay_alu instid0(VALU_DEP_1)
	v_ldexp_f32 v9, v9, v10
	s_branch .LBB127_2261
.LBB127_2258:
	s_mov_b32 s0, -1
                                        ; implicit-def: $vgpr9
	s_branch .LBB127_2267
.LBB127_2259:
	s_mov_b32 s0, -1
                                        ; implicit-def: $vgpr9
	s_branch .LBB127_2264
.LBB127_2260:
	s_mov_b32 s0, -1
                                        ; implicit-def: $vgpr9
.LBB127_2261:
	s_delay_alu instid0(SALU_CYCLE_1)
	s_and_not1_b32 vcc_lo, exec_lo, s0
	s_cbranch_vccnz .LBB127_2263
; %bb.2262:
	global_load_b32 v9, v[7:8], off
	s_waitcnt vmcnt(0)
	v_cvt_f32_i32_e32 v9, v9
.LBB127_2263:
	s_mov_b32 s0, 0
.LBB127_2264:
	s_delay_alu instid0(SALU_CYCLE_1)
	s_and_not1_b32 vcc_lo, exec_lo, s0
	s_cbranch_vccnz .LBB127_2266
; %bb.2265:
	global_load_i16 v9, v[7:8], off
	s_waitcnt vmcnt(0)
	v_cvt_f32_i32_e32 v9, v9
.LBB127_2266:
	s_mov_b32 s0, 0
.LBB127_2267:
	s_delay_alu instid0(SALU_CYCLE_1)
	s_and_not1_b32 vcc_lo, exec_lo, s0
	s_cbranch_vccnz .LBB127_2273
; %bb.2268:
	v_cmp_lt_i16_e32 vcc_lo, 0, v14
	s_mov_b32 s0, 0
	s_cbranch_vccz .LBB127_2270
; %bb.2269:
	global_load_i8 v9, v[7:8], off
	s_waitcnt vmcnt(0)
	v_cvt_f32_i32_e32 v9, v9
	s_branch .LBB127_2271
.LBB127_2270:
	s_mov_b32 s0, -1
                                        ; implicit-def: $vgpr9
.LBB127_2271:
	s_delay_alu instid0(SALU_CYCLE_1)
	s_and_not1_b32 vcc_lo, exec_lo, s0
	s_cbranch_vccnz .LBB127_2273
; %bb.2272:
	global_load_u8 v7, v[7:8], off
	s_waitcnt vmcnt(0)
	v_cvt_f32_ubyte0_e32 v9, v7
.LBB127_2273:
	s_mov_b32 s13, -1
.LBB127_2274:
	s_delay_alu instid0(SALU_CYCLE_1)
	s_and_not1_b32 vcc_lo, exec_lo, s13
	s_cbranch_vccnz .LBB127_3064
; %bb.2275:
	v_cmp_gt_i16_e32 vcc_lo, 11, v12
	v_add_co_u32 v6, s0, s2, v6
	s_delay_alu instid0(VALU_DEP_1)
	v_add_co_ci_u32_e64 v7, null, s3, 0, s0
	s_mov_b32 s14, 0
	s_cbranch_vccnz .LBB127_2282
; %bb.2276:
	v_cmp_lt_i16_e32 vcc_lo, 25, v12
	s_mov_b32 s0, 0
	s_cbranch_vccz .LBB127_2283
; %bb.2277:
	v_cmp_lt_i16_e32 vcc_lo, 28, v12
	s_cbranch_vccz .LBB127_2284
; %bb.2278:
	v_cmp_lt_i16_e32 vcc_lo, 43, v12
	;; [unrolled: 3-line block ×3, first 2 shown]
	s_cbranch_vccz .LBB127_2288
; %bb.2280:
	v_cmp_eq_u16_e32 vcc_lo, 46, v12
	s_mov_b32 s15, 0
	s_cbranch_vccz .LBB127_2293
; %bb.2281:
	global_load_b32 v8, v[6:7], off
	s_mov_b32 s13, 0
	s_mov_b32 s14, -1
	s_waitcnt vmcnt(0)
	v_and_b32_e32 v8, 0x7fff7fff, v8
	s_delay_alu instid0(VALU_DEP_1)
	v_cmp_ne_u32_e32 vcc_lo, 0, v8
	s_and_b32 s12, vcc_lo, exec_lo
	s_branch .LBB127_2295
.LBB127_2282:
	s_mov_b32 s0, -1
                                        ; implicit-def: $sgpr12
	s_branch .LBB127_2359
.LBB127_2283:
	s_mov_b32 s15, -1
	s_mov_b32 s13, 0
                                        ; implicit-def: $sgpr12
	s_branch .LBB127_2322
.LBB127_2284:
	s_mov_b32 s15, -1
	s_mov_b32 s13, 0
                                        ; implicit-def: $sgpr12
	s_branch .LBB127_2303
.LBB127_2285:
	s_mov_b32 s15, -1
	s_mov_b32 s13, 0
                                        ; implicit-def: $sgpr12
	s_branch .LBB127_2298
.LBB127_2286:
	s_cbranch_execnz .LBB127_2289
; %bb.2287:
	s_or_b32 s1, s1, exec_lo
                                        ; implicit-def: $vgpr9
	s_cbranch_execz .LBB127_2223
	s_branch .LBB127_2224
.LBB127_2288:
	s_mov_b32 s15, -1
	s_mov_b32 s13, 0
	s_branch .LBB127_2294
.LBB127_2289:
	s_trap 2
	s_sendmsg_rtn_b32 s0, sendmsg(MSG_RTN_GET_DOORBELL)
	s_mov_b32 ttmp2, m0
	s_waitcnt lgkmcnt(0)
	s_and_b32 s0, s0, 0x3ff
	s_delay_alu instid0(SALU_CYCLE_1) | instskip(NEXT) | instid1(SALU_CYCLE_1)
	s_bitset1_b32 s0, 10
	s_mov_b32 m0, s0
	s_sendmsg sendmsg(MSG_INTERRUPT)
	s_mov_b32 m0, ttmp2
.LBB127_2290:                           ; =>This Inner Loop Header: Depth=1
	s_sethalt 5
	s_branch .LBB127_2290
.LBB127_2291:
	s_or_saveexec_b32 s49, s49
                                        ; implicit-def: $sgpr50
	s_delay_alu instid0(SALU_CYCLE_1)
	s_xor_b32 exec_lo, exec_lo, s49
	s_cbranch_execz .LBB127_1167
.LBB127_2292:
	v_add_f32_e64 v3, 0x42800000, |v2|
	s_and_not1_b32 s48, s48, exec_lo
	s_mov_b32 s50, 0
	s_delay_alu instid0(VALU_DEP_1) | instskip(NEXT) | instid1(VALU_DEP_1)
	v_and_b32_e32 v3, 0xff, v3
	v_cmp_ne_u32_e32 vcc_lo, 0, v3
	s_and_b32 s51, vcc_lo, exec_lo
	s_delay_alu instid0(SALU_CYCLE_1)
	s_or_b32 s48, s48, s51
	s_or_b32 exec_lo, exec_lo, s49
	v_mov_b32_e32 v5, s50
	s_and_saveexec_b32 s49, s48
	s_cbranch_execnz .LBB127_1168
	s_branch .LBB127_1169
.LBB127_2293:
	s_mov_b32 s13, -1
.LBB127_2294:
                                        ; implicit-def: $sgpr12
.LBB127_2295:
	s_and_b32 vcc_lo, exec_lo, s15
	s_cbranch_vccz .LBB127_2297
; %bb.2296:
	v_cmp_ne_u16_e64 s13, 44, v12
	s_mov_b32 s14, -1
	s_or_b32 s12, s12, exec_lo
.LBB127_2297:
	s_mov_b32 s15, 0
.LBB127_2298:
	s_delay_alu instid0(SALU_CYCLE_1)
	s_and_b32 vcc_lo, exec_lo, s15
	s_cbranch_vccz .LBB127_2302
; %bb.2299:
	v_cmp_eq_u16_e32 vcc_lo, 29, v12
	s_cbranch_vccz .LBB127_2301
; %bb.2300:
	global_load_b64 v[15:16], v[6:7], off
	s_mov_b32 s13, 0
	s_mov_b32 s14, -1
	s_mov_b32 s15, 0
	s_waitcnt vmcnt(0)
	v_cmp_ne_u64_e32 vcc_lo, 0, v[15:16]
	s_and_b32 s12, vcc_lo, exec_lo
	s_branch .LBB127_2303
.LBB127_2301:
	s_mov_b32 s13, -1
                                        ; implicit-def: $sgpr12
.LBB127_2302:
	s_mov_b32 s15, 0
.LBB127_2303:
	s_delay_alu instid0(SALU_CYCLE_1)
	s_and_b32 vcc_lo, exec_lo, s15
	s_cbranch_vccz .LBB127_2321
; %bb.2304:
	v_cmp_gt_i16_e32 vcc_lo, 27, v12
	s_cbranch_vccnz .LBB127_2307
; %bb.2305:
	v_cmp_lt_i16_e32 vcc_lo, 27, v12
	s_cbranch_vccz .LBB127_2308
; %bb.2306:
	global_load_b32 v8, v[6:7], off
	s_mov_b32 s14, 0
	s_waitcnt vmcnt(0)
	v_cmp_ne_u32_e32 vcc_lo, 0, v8
	s_and_b32 s12, vcc_lo, exec_lo
	s_branch .LBB127_2309
.LBB127_2307:
	s_mov_b32 s14, -1
                                        ; implicit-def: $sgpr12
	s_branch .LBB127_2312
.LBB127_2308:
	s_mov_b32 s14, -1
                                        ; implicit-def: $sgpr12
.LBB127_2309:
	s_delay_alu instid0(SALU_CYCLE_1)
	s_and_not1_b32 vcc_lo, exec_lo, s14
	s_cbranch_vccnz .LBB127_2311
; %bb.2310:
	global_load_u16 v8, v[6:7], off
	s_and_not1_b32 s12, s12, exec_lo
	s_waitcnt vmcnt(0)
	v_cmp_ne_u16_e32 vcc_lo, 0, v8
	s_and_b32 s14, vcc_lo, exec_lo
	s_delay_alu instid0(SALU_CYCLE_1)
	s_or_b32 s12, s12, s14
.LBB127_2311:
	s_mov_b32 s14, 0
.LBB127_2312:
	s_delay_alu instid0(SALU_CYCLE_1)
	s_and_not1_b32 vcc_lo, exec_lo, s14
	s_cbranch_vccnz .LBB127_2320
; %bb.2313:
	global_load_u8 v8, v[6:7], off
	s_mov_b32 s14, 0
	s_mov_b32 s15, exec_lo
                                        ; implicit-def: $sgpr12
	s_waitcnt vmcnt(0)
	v_cmpx_lt_i16_e32 0x7f, v8
	s_xor_b32 s15, exec_lo, s15
	s_cbranch_execz .LBB127_2334
; %bb.2314:
	s_mov_b32 s14, -1
	s_mov_b32 s16, exec_lo
                                        ; implicit-def: $sgpr12
	v_cmpx_eq_u16_e32 0x80, v8
; %bb.2315:
	s_mov_b32 s12, -1
	s_xor_b32 s14, exec_lo, -1
; %bb.2316:
	s_or_b32 exec_lo, exec_lo, s16
	s_delay_alu instid0(SALU_CYCLE_1)
	s_and_b32 s14, s14, exec_lo
	s_and_not1_saveexec_b32 s15, s15
	s_cbranch_execnz .LBB127_2335
.LBB127_2317:
	s_or_b32 exec_lo, exec_lo, s15
	s_and_saveexec_b32 s15, s14
	s_cbranch_execz .LBB127_2319
.LBB127_2318:
	v_and_b32_e32 v8, 0xffff, v8
	s_and_not1_b32 s12, s12, exec_lo
	s_delay_alu instid0(VALU_DEP_1) | instskip(NEXT) | instid1(VALU_DEP_1)
	v_and_b32_e32 v10, 7, v8
	v_clz_i32_u32_e32 v15, v10
	s_delay_alu instid0(VALU_DEP_1) | instskip(NEXT) | instid1(VALU_DEP_1)
	v_min_u32_e32 v15, 32, v15
	v_subrev_nc_u32_e32 v16, 28, v15
	v_sub_nc_u32_e32 v15, 29, v15
	s_delay_alu instid0(VALU_DEP_2) | instskip(SKIP_1) | instid1(VALU_DEP_2)
	v_lshlrev_b32_e32 v16, v16, v8
	v_bfe_u32 v8, v8, 3, 4
	v_and_b32_e32 v16, 7, v16
	s_delay_alu instid0(VALU_DEP_2) | instskip(SKIP_1) | instid1(VALU_DEP_3)
	v_cmp_eq_u32_e32 vcc_lo, 0, v8
	v_cndmask_b32_e32 v8, v8, v15, vcc_lo
	v_cndmask_b32_e32 v10, v10, v16, vcc_lo
	s_delay_alu instid0(VALU_DEP_2) | instskip(NEXT) | instid1(VALU_DEP_2)
	v_lshl_add_u32 v8, v8, 23, 0x3b800000
	v_lshlrev_b32_e32 v10, 20, v10
	s_delay_alu instid0(VALU_DEP_1) | instskip(NEXT) | instid1(VALU_DEP_1)
	v_and_or_b32 v8, 0x7f800000, v8, v10
	v_cmp_ne_u32_e32 vcc_lo, 0, v8
	s_and_b32 s14, vcc_lo, exec_lo
	s_delay_alu instid0(SALU_CYCLE_1)
	s_or_b32 s12, s12, s14
.LBB127_2319:
	s_or_b32 exec_lo, exec_lo, s15
.LBB127_2320:
	s_mov_b32 s14, -1
.LBB127_2321:
	s_mov_b32 s15, 0
.LBB127_2322:
	s_delay_alu instid0(SALU_CYCLE_1)
	s_and_b32 vcc_lo, exec_lo, s15
	s_cbranch_vccz .LBB127_2355
; %bb.2323:
	v_cmp_lt_i16_e32 vcc_lo, 22, v12
	s_cbranch_vccz .LBB127_2333
; %bb.2324:
	v_cmp_gt_i16_e32 vcc_lo, 24, v12
	s_cbranch_vccnz .LBB127_2336
; %bb.2325:
	v_cmp_lt_i16_e32 vcc_lo, 24, v12
	s_cbranch_vccz .LBB127_2337
; %bb.2326:
	global_load_u8 v8, v[6:7], off
	s_mov_b32 s14, exec_lo
                                        ; implicit-def: $sgpr12
	s_waitcnt vmcnt(0)
	v_cmpx_lt_i16_e32 0x7f, v8
	s_xor_b32 s14, exec_lo, s14
	s_cbranch_execz .LBB127_2349
; %bb.2327:
	s_mov_b32 s0, -1
	s_mov_b32 s15, exec_lo
                                        ; implicit-def: $sgpr12
	v_cmpx_eq_u16_e32 0x80, v8
; %bb.2328:
	s_mov_b32 s12, -1
	s_xor_b32 s0, exec_lo, -1
; %bb.2329:
	s_or_b32 exec_lo, exec_lo, s15
	s_delay_alu instid0(SALU_CYCLE_1)
	s_and_b32 s0, s0, exec_lo
	s_and_not1_saveexec_b32 s14, s14
	s_cbranch_execnz .LBB127_2350
.LBB127_2330:
	s_or_b32 exec_lo, exec_lo, s14
	s_and_saveexec_b32 s14, s0
	s_cbranch_execz .LBB127_2332
.LBB127_2331:
	v_and_b32_e32 v8, 0xffff, v8
	s_and_not1_b32 s0, s12, exec_lo
	s_delay_alu instid0(VALU_DEP_1) | instskip(NEXT) | instid1(VALU_DEP_1)
	v_and_b32_e32 v10, 3, v8
	v_clz_i32_u32_e32 v15, v10
	s_delay_alu instid0(VALU_DEP_1) | instskip(NEXT) | instid1(VALU_DEP_1)
	v_min_u32_e32 v15, 32, v15
	v_subrev_nc_u32_e32 v16, 29, v15
	v_sub_nc_u32_e32 v15, 30, v15
	s_delay_alu instid0(VALU_DEP_2) | instskip(SKIP_1) | instid1(VALU_DEP_2)
	v_lshlrev_b32_e32 v16, v16, v8
	v_bfe_u32 v8, v8, 2, 5
	v_and_b32_e32 v16, 3, v16
	s_delay_alu instid0(VALU_DEP_2) | instskip(SKIP_1) | instid1(VALU_DEP_3)
	v_cmp_eq_u32_e32 vcc_lo, 0, v8
	v_cndmask_b32_e32 v8, v8, v15, vcc_lo
	v_cndmask_b32_e32 v10, v10, v16, vcc_lo
	s_delay_alu instid0(VALU_DEP_2) | instskip(NEXT) | instid1(VALU_DEP_2)
	v_lshl_add_u32 v8, v8, 23, 0x37800000
	v_lshlrev_b32_e32 v10, 21, v10
	s_delay_alu instid0(VALU_DEP_1) | instskip(NEXT) | instid1(VALU_DEP_1)
	v_and_or_b32 v8, 0x7f800000, v8, v10
	v_cmp_ne_u32_e32 vcc_lo, 0, v8
	s_and_b32 s12, vcc_lo, exec_lo
	s_delay_alu instid0(SALU_CYCLE_1)
	s_or_b32 s12, s0, s12
.LBB127_2332:
	s_or_b32 exec_lo, exec_lo, s14
	s_mov_b32 s0, 0
	s_branch .LBB127_2338
.LBB127_2333:
	s_mov_b32 s0, -1
                                        ; implicit-def: $sgpr12
	s_branch .LBB127_2344
.LBB127_2334:
	s_and_not1_saveexec_b32 s15, s15
	s_cbranch_execz .LBB127_2317
.LBB127_2335:
	v_cmp_ne_u16_e32 vcc_lo, 0, v8
	s_and_not1_b32 s14, s14, exec_lo
	s_and_not1_b32 s12, s12, exec_lo
	s_and_b32 s16, vcc_lo, exec_lo
	s_delay_alu instid0(SALU_CYCLE_1)
	s_or_b32 s14, s14, s16
	s_or_b32 exec_lo, exec_lo, s15
	s_and_saveexec_b32 s15, s14
	s_cbranch_execnz .LBB127_2318
	s_branch .LBB127_2319
.LBB127_2336:
	s_mov_b32 s0, -1
                                        ; implicit-def: $sgpr12
	s_branch .LBB127_2341
.LBB127_2337:
	s_mov_b32 s0, -1
                                        ; implicit-def: $sgpr12
.LBB127_2338:
	s_delay_alu instid0(SALU_CYCLE_1)
	s_and_b32 vcc_lo, exec_lo, s0
	s_cbranch_vccz .LBB127_2340
; %bb.2339:
	global_load_u8 v8, v[6:7], off
	s_and_not1_b32 s12, s12, exec_lo
	s_waitcnt vmcnt(0)
	v_lshlrev_b32_e32 v8, 24, v8
	s_delay_alu instid0(VALU_DEP_1) | instskip(NEXT) | instid1(VALU_DEP_1)
	v_and_b32_e32 v8, 0x7f000000, v8
	v_clz_i32_u32_e32 v10, v8
	v_add_nc_u32_e32 v16, 0x1000000, v8
	v_cmp_ne_u32_e32 vcc_lo, 0, v8
	s_delay_alu instid0(VALU_DEP_3) | instskip(NEXT) | instid1(VALU_DEP_3)
	v_min_u32_e32 v10, 32, v10
	v_ashrrev_i32_e32 v16, 8, v16
	s_delay_alu instid0(VALU_DEP_2) | instskip(NEXT) | instid1(VALU_DEP_1)
	v_sub_nc_u32_e64 v10, v10, 4 clamp
	v_lshlrev_b32_e32 v15, v10, v8
	v_lshlrev_b32_e32 v10, 23, v10
	s_delay_alu instid0(VALU_DEP_2) | instskip(NEXT) | instid1(VALU_DEP_1)
	v_lshrrev_b32_e32 v15, 4, v15
	v_sub_nc_u32_e32 v10, v15, v10
	v_and_b32_e32 v15, 0x7f800000, v16
	s_delay_alu instid0(VALU_DEP_2) | instskip(NEXT) | instid1(VALU_DEP_1)
	v_add_nc_u32_e32 v10, 0x3c000000, v10
	v_and_or_b32 v10, 0x7ff00000, v10, v15
	s_delay_alu instid0(VALU_DEP_1) | instskip(NEXT) | instid1(VALU_DEP_1)
	v_cmp_ne_u32_e64 s0, 0, v10
	s_and_b32 s0, vcc_lo, s0
	s_delay_alu instid0(SALU_CYCLE_1) | instskip(NEXT) | instid1(SALU_CYCLE_1)
	s_and_b32 s0, s0, exec_lo
	s_or_b32 s12, s12, s0
.LBB127_2340:
	s_mov_b32 s0, 0
.LBB127_2341:
	s_delay_alu instid0(SALU_CYCLE_1)
	s_and_not1_b32 vcc_lo, exec_lo, s0
	s_cbranch_vccnz .LBB127_2343
; %bb.2342:
	global_load_u8 v8, v[6:7], off
	s_and_not1_b32 s0, s12, exec_lo
	s_waitcnt vmcnt(0)
	v_lshlrev_b32_e32 v10, 25, v8
	v_lshlrev_b32_e32 v8, 8, v8
	s_delay_alu instid0(VALU_DEP_2) | instskip(NEXT) | instid1(VALU_DEP_2)
	v_lshrrev_b32_e32 v15, 4, v10
	v_and_or_b32 v8, 0x7f00, v8, 0.5
	s_delay_alu instid0(VALU_DEP_2) | instskip(NEXT) | instid1(VALU_DEP_1)
	v_or_b32_e32 v15, 0x70000000, v15
	v_dual_add_f32 v8, -0.5, v8 :: v_dual_mul_f32 v15, 0x7800000, v15
	v_cmp_gt_u32_e32 vcc_lo, 0x8000000, v10
	s_delay_alu instid0(VALU_DEP_2) | instskip(NEXT) | instid1(VALU_DEP_1)
	v_cndmask_b32_e32 v8, v15, v8, vcc_lo
	v_cmp_neq_f32_e32 vcc_lo, 0, v8
	s_and_b32 s12, vcc_lo, exec_lo
	s_delay_alu instid0(SALU_CYCLE_1)
	s_or_b32 s12, s0, s12
.LBB127_2343:
	s_mov_b32 s0, 0
	s_mov_b32 s14, -1
.LBB127_2344:
	s_and_not1_b32 vcc_lo, exec_lo, s0
	s_mov_b32 s0, 0
	s_cbranch_vccnz .LBB127_2355
; %bb.2345:
	v_cmp_lt_i16_e32 vcc_lo, 14, v12
	s_cbranch_vccz .LBB127_2348
; %bb.2346:
	v_cmp_eq_u16_e32 vcc_lo, 15, v12
	s_cbranch_vccz .LBB127_2351
; %bb.2347:
	global_load_u16 v8, v[6:7], off
	s_mov_b32 s13, 0
	s_mov_b32 s14, -1
	s_waitcnt vmcnt(0)
	v_and_b32_e32 v8, 0x7fff, v8
	s_delay_alu instid0(VALU_DEP_1)
	v_cmp_ne_u16_e32 vcc_lo, 0, v8
	s_and_b32 s12, vcc_lo, exec_lo
	s_branch .LBB127_2353
.LBB127_2348:
	s_mov_b32 s0, -1
	s_branch .LBB127_2352
.LBB127_2349:
	s_and_not1_saveexec_b32 s14, s14
	s_cbranch_execz .LBB127_2330
.LBB127_2350:
	v_cmp_ne_u16_e32 vcc_lo, 0, v8
	s_and_not1_b32 s0, s0, exec_lo
	s_and_not1_b32 s12, s12, exec_lo
	s_and_b32 s15, vcc_lo, exec_lo
	s_delay_alu instid0(SALU_CYCLE_1)
	s_or_b32 s0, s0, s15
	s_or_b32 exec_lo, exec_lo, s14
	s_and_saveexec_b32 s14, s0
	s_cbranch_execnz .LBB127_2331
	s_branch .LBB127_2332
.LBB127_2351:
	s_mov_b32 s13, -1
.LBB127_2352:
                                        ; implicit-def: $sgpr12
.LBB127_2353:
	s_and_b32 vcc_lo, exec_lo, s0
	s_mov_b32 s0, 0
	s_cbranch_vccz .LBB127_2355
; %bb.2354:
	v_cmp_ne_u16_e64 s13, 11, v12
	s_mov_b32 s0, -1
	s_and_not1_b32 s12, s12, exec_lo
.LBB127_2355:
	s_delay_alu instid0(VALU_DEP_1)
	s_and_b32 vcc_lo, exec_lo, s13
	s_cbranch_vccnz .LBB127_2420
; %bb.2356:
	s_and_not1_b32 vcc_lo, exec_lo, s0
	s_cbranch_vccnz .LBB127_2358
.LBB127_2357:
	global_load_u8 v8, v[6:7], off
	s_and_not1_b32 s0, s12, exec_lo
	s_mov_b32 s14, -1
	s_waitcnt vmcnt(0)
	v_cmp_ne_u16_e32 vcc_lo, 0, v8
	s_and_b32 s12, vcc_lo, exec_lo
	s_delay_alu instid0(SALU_CYCLE_1)
	s_or_b32 s12, s0, s12
.LBB127_2358:
	s_mov_b32 s0, 0
.LBB127_2359:
	s_delay_alu instid0(SALU_CYCLE_1)
	s_and_b32 vcc_lo, exec_lo, s0
	s_cbranch_vccz .LBB127_2408
; %bb.2360:
	v_cmp_gt_i16_e32 vcc_lo, 5, v12
	s_cbranch_vccnz .LBB127_2365
; %bb.2361:
	v_cmp_gt_i16_e32 vcc_lo, 8, v12
	s_cbranch_vccnz .LBB127_2366
	;; [unrolled: 3-line block ×3, first 2 shown]
; %bb.2363:
	v_cmp_lt_i16_e32 vcc_lo, 9, v12
	s_cbranch_vccz .LBB127_2368
; %bb.2364:
	global_load_b128 v[15:18], v[6:7], off
	s_waitcnt vmcnt(0)
	v_cmp_neq_f64_e32 vcc_lo, 0, v[15:16]
	v_cmp_neq_f64_e64 s0, 0, v[17:18]
	s_delay_alu instid0(VALU_DEP_1)
	s_or_b32 s12, vcc_lo, s0
	s_mov_b32 s0, 0
	s_and_b32 s12, s12, exec_lo
	s_branch .LBB127_2369
.LBB127_2365:
	s_mov_b32 s0, -1
                                        ; implicit-def: $sgpr12
	s_branch .LBB127_2387
.LBB127_2366:
	s_mov_b32 s0, -1
                                        ; implicit-def: $sgpr12
	s_branch .LBB127_2375
.LBB127_2367:
	s_mov_b32 s0, -1
                                        ; implicit-def: $sgpr12
	s_branch .LBB127_2372
.LBB127_2368:
	s_mov_b32 s0, -1
                                        ; implicit-def: $sgpr12
.LBB127_2369:
	s_delay_alu instid0(SALU_CYCLE_1)
	s_and_not1_b32 vcc_lo, exec_lo, s0
	s_cbranch_vccnz .LBB127_2371
; %bb.2370:
	global_load_b64 v[15:16], v[6:7], off
	s_and_not1_b32 s0, s12, exec_lo
	s_waitcnt vmcnt(0)
	v_or_b32_e32 v8, v15, v16
	s_delay_alu instid0(VALU_DEP_1) | instskip(NEXT) | instid1(VALU_DEP_1)
	v_and_b32_e32 v8, 0x7fffffff, v8
	v_cmp_ne_u32_e32 vcc_lo, 0, v8
	s_and_b32 s12, vcc_lo, exec_lo
	s_delay_alu instid0(SALU_CYCLE_1)
	s_or_b32 s12, s0, s12
.LBB127_2371:
	s_mov_b32 s0, 0
.LBB127_2372:
	s_delay_alu instid0(SALU_CYCLE_1)
	s_and_not1_b32 vcc_lo, exec_lo, s0
	s_cbranch_vccnz .LBB127_2374
; %bb.2373:
	global_load_b32 v8, v[6:7], off
	s_and_not1_b32 s0, s12, exec_lo
	s_waitcnt vmcnt(0)
	v_and_b32_e32 v8, 0x7fff7fff, v8
	s_delay_alu instid0(VALU_DEP_1) | instskip(SKIP_1) | instid1(SALU_CYCLE_1)
	v_cmp_ne_u32_e32 vcc_lo, 0, v8
	s_and_b32 s12, vcc_lo, exec_lo
	s_or_b32 s12, s0, s12
.LBB127_2374:
	s_mov_b32 s0, 0
.LBB127_2375:
	s_delay_alu instid0(SALU_CYCLE_1)
	s_and_not1_b32 vcc_lo, exec_lo, s0
	s_cbranch_vccnz .LBB127_2386
; %bb.2376:
	v_cmp_gt_i16_e32 vcc_lo, 6, v12
	s_cbranch_vccnz .LBB127_2379
; %bb.2377:
	v_cmp_lt_i16_e32 vcc_lo, 6, v12
	s_cbranch_vccz .LBB127_2380
; %bb.2378:
	global_load_b64 v[15:16], v[6:7], off
	s_mov_b32 s0, 0
	s_waitcnt vmcnt(0)
	v_cmp_neq_f64_e32 vcc_lo, 0, v[15:16]
	s_and_b32 s12, vcc_lo, exec_lo
	s_branch .LBB127_2381
.LBB127_2379:
	s_mov_b32 s0, -1
                                        ; implicit-def: $sgpr12
	s_branch .LBB127_2384
.LBB127_2380:
	s_mov_b32 s0, -1
                                        ; implicit-def: $sgpr12
.LBB127_2381:
	s_delay_alu instid0(SALU_CYCLE_1)
	s_and_not1_b32 vcc_lo, exec_lo, s0
	s_cbranch_vccnz .LBB127_2383
; %bb.2382:
	global_load_b32 v8, v[6:7], off
	s_and_not1_b32 s0, s12, exec_lo
	s_waitcnt vmcnt(0)
	v_cmp_neq_f32_e32 vcc_lo, 0, v8
	s_and_b32 s12, vcc_lo, exec_lo
	s_delay_alu instid0(SALU_CYCLE_1)
	s_or_b32 s12, s0, s12
.LBB127_2383:
	s_mov_b32 s0, 0
.LBB127_2384:
	s_delay_alu instid0(SALU_CYCLE_1)
	s_and_not1_b32 vcc_lo, exec_lo, s0
	s_cbranch_vccnz .LBB127_2386
; %bb.2385:
	global_load_u16 v8, v[6:7], off
	s_and_not1_b32 s0, s12, exec_lo
	s_waitcnt vmcnt(0)
	v_and_b32_e32 v8, 0x7fff, v8
	s_delay_alu instid0(VALU_DEP_1) | instskip(SKIP_1) | instid1(SALU_CYCLE_1)
	v_cmp_ne_u16_e32 vcc_lo, 0, v8
	s_and_b32 s12, vcc_lo, exec_lo
	s_or_b32 s12, s0, s12
.LBB127_2386:
	s_mov_b32 s0, 0
.LBB127_2387:
	s_delay_alu instid0(SALU_CYCLE_1)
	s_and_not1_b32 vcc_lo, exec_lo, s0
	s_cbranch_vccnz .LBB127_2407
; %bb.2388:
	v_cmp_gt_i16_e32 vcc_lo, 2, v12
	s_cbranch_vccnz .LBB127_2392
; %bb.2389:
	v_cmp_gt_i16_e32 vcc_lo, 3, v12
	s_cbranch_vccnz .LBB127_2393
; %bb.2390:
	v_cmp_lt_i16_e32 vcc_lo, 3, v12
	s_cbranch_vccz .LBB127_2394
; %bb.2391:
	global_load_b64 v[15:16], v[6:7], off
	s_mov_b32 s0, 0
	s_waitcnt vmcnt(0)
	v_cmp_ne_u64_e32 vcc_lo, 0, v[15:16]
	s_and_b32 s12, vcc_lo, exec_lo
	s_branch .LBB127_2395
.LBB127_2392:
	s_mov_b32 s0, -1
                                        ; implicit-def: $sgpr12
	s_branch .LBB127_2401
.LBB127_2393:
	s_mov_b32 s0, -1
                                        ; implicit-def: $sgpr12
	s_branch .LBB127_2398
.LBB127_2394:
	s_mov_b32 s0, -1
                                        ; implicit-def: $sgpr12
.LBB127_2395:
	s_delay_alu instid0(SALU_CYCLE_1)
	s_and_not1_b32 vcc_lo, exec_lo, s0
	s_cbranch_vccnz .LBB127_2397
; %bb.2396:
	global_load_b32 v8, v[6:7], off
	s_and_not1_b32 s0, s12, exec_lo
	s_waitcnt vmcnt(0)
	v_cmp_ne_u32_e32 vcc_lo, 0, v8
	s_and_b32 s12, vcc_lo, exec_lo
	s_delay_alu instid0(SALU_CYCLE_1)
	s_or_b32 s12, s0, s12
.LBB127_2397:
	s_mov_b32 s0, 0
.LBB127_2398:
	s_delay_alu instid0(SALU_CYCLE_1)
	s_and_not1_b32 vcc_lo, exec_lo, s0
	s_cbranch_vccnz .LBB127_2400
; %bb.2399:
	global_load_u16 v8, v[6:7], off
	s_and_not1_b32 s0, s12, exec_lo
	s_waitcnt vmcnt(0)
	v_cmp_ne_u16_e32 vcc_lo, 0, v8
	s_and_b32 s12, vcc_lo, exec_lo
	s_delay_alu instid0(SALU_CYCLE_1)
	s_or_b32 s12, s0, s12
.LBB127_2400:
	s_mov_b32 s0, 0
.LBB127_2401:
	s_delay_alu instid0(SALU_CYCLE_1)
	s_and_not1_b32 vcc_lo, exec_lo, s0
	s_cbranch_vccnz .LBB127_2407
; %bb.2402:
	v_cmp_lt_i16_e32 vcc_lo, 0, v12
	s_mov_b32 s0, 0
	s_cbranch_vccz .LBB127_2404
; %bb.2403:
	global_load_u8 v8, v[6:7], off
	s_waitcnt vmcnt(0)
	v_cmp_ne_u16_e32 vcc_lo, 0, v8
	s_and_b32 s12, vcc_lo, exec_lo
	s_branch .LBB127_2405
.LBB127_2404:
	s_mov_b32 s0, -1
                                        ; implicit-def: $sgpr12
.LBB127_2405:
	s_delay_alu instid0(SALU_CYCLE_1)
	s_and_not1_b32 vcc_lo, exec_lo, s0
	s_cbranch_vccnz .LBB127_2407
; %bb.2406:
	global_load_u8 v6, v[6:7], off
	s_and_not1_b32 s0, s12, exec_lo
	s_waitcnt vmcnt(0)
	v_cmp_ne_u16_e32 vcc_lo, 0, v6
	s_and_b32 s12, vcc_lo, exec_lo
	s_delay_alu instid0(SALU_CYCLE_1)
	s_or_b32 s12, s0, s12
.LBB127_2407:
	s_mov_b32 s14, -1
.LBB127_2408:
	s_delay_alu instid0(SALU_CYCLE_1)
	s_and_not1_b32 vcc_lo, exec_lo, s14
	s_cbranch_vccnz .LBB127_3064
; %bb.2409:
	v_cmp_gt_i16_e32 vcc_lo, 11, v14
	s_waitcnt vmcnt(0)
	v_add_co_u32 v5, s0, s6, v5
	s_delay_alu instid0(VALU_DEP_1)
	v_add_co_ci_u32_e64 v6, null, s7, 0, s0
	s_mov_b32 s7, 0
	s_cbranch_vccnz .LBB127_2416
; %bb.2410:
	v_cmp_lt_i16_e32 vcc_lo, 25, v14
	s_mov_b32 s6, 0
	s_cbranch_vccz .LBB127_2417
; %bb.2411:
	v_cmp_lt_i16_e32 vcc_lo, 28, v14
	s_cbranch_vccz .LBB127_2418
; %bb.2412:
	v_cmp_lt_i16_e32 vcc_lo, 43, v14
	;; [unrolled: 3-line block ×3, first 2 shown]
	s_cbranch_vccz .LBB127_2422
; %bb.2414:
	v_cmp_eq_u16_e32 vcc_lo, 46, v14
	s_mov_b32 s13, 0
	s_cbranch_vccz .LBB127_2425
; %bb.2415:
	global_load_b32 v7, v[5:6], off
	s_mov_b32 s0, 0
	s_mov_b32 s7, -1
	s_waitcnt vmcnt(0)
	v_lshlrev_b32_e32 v8, 16, v7
	s_branch .LBB127_2427
.LBB127_2416:
	s_mov_b32 s0, -1
                                        ; implicit-def: $vgpr8
	s_branch .LBB127_2493
.LBB127_2417:
	s_mov_b32 s13, -1
	s_mov_b32 s0, 0
                                        ; implicit-def: $vgpr8
	s_branch .LBB127_2456
.LBB127_2418:
	s_mov_b32 s13, -1
	s_mov_b32 s0, 0
                                        ; implicit-def: $vgpr8
	s_branch .LBB127_2437
.LBB127_2419:
	s_mov_b32 s13, -1
	s_mov_b32 s0, 0
                                        ; implicit-def: $vgpr8
	s_branch .LBB127_2432
.LBB127_2420:
	s_cbranch_execnz .LBB127_2423
; %bb.2421:
	s_mov_b32 s14, 0
	s_and_not1_b32 s12, s12, exec_lo
	s_or_b32 s1, s1, exec_lo
	s_cbranch_execz .LBB127_2357
	s_branch .LBB127_2358
.LBB127_2422:
	s_mov_b32 s13, -1
	s_mov_b32 s0, 0
	s_branch .LBB127_2426
.LBB127_2423:
	s_trap 2
	s_sendmsg_rtn_b32 s0, sendmsg(MSG_RTN_GET_DOORBELL)
	s_mov_b32 ttmp2, m0
	s_waitcnt lgkmcnt(0)
	s_and_b32 s0, s0, 0x3ff
	s_delay_alu instid0(SALU_CYCLE_1) | instskip(NEXT) | instid1(SALU_CYCLE_1)
	s_bitset1_b32 s0, 10
	s_mov_b32 m0, s0
	s_sendmsg sendmsg(MSG_INTERRUPT)
	s_mov_b32 m0, ttmp2
.LBB127_2424:                           ; =>This Inner Loop Header: Depth=1
	s_sethalt 5
	s_branch .LBB127_2424
.LBB127_2425:
	s_mov_b32 s0, -1
.LBB127_2426:
                                        ; implicit-def: $vgpr8
.LBB127_2427:
	s_and_b32 vcc_lo, exec_lo, s13
	s_cbranch_vccz .LBB127_2431
; %bb.2428:
	v_cmp_eq_u16_e32 vcc_lo, 44, v14
	s_cbranch_vccz .LBB127_2430
; %bb.2429:
	global_load_u8 v7, v[5:6], off
	s_mov_b32 s0, 0
	s_mov_b32 s7, -1
	s_waitcnt vmcnt(0)
	v_lshlrev_b32_e32 v8, 23, v7
	v_cmp_ne_u32_e32 vcc_lo, 0xff, v7
	s_delay_alu instid0(VALU_DEP_2) | instskip(SKIP_1) | instid1(VALU_DEP_2)
	v_cndmask_b32_e32 v8, 0x7f800001, v8, vcc_lo
	v_cmp_ne_u32_e32 vcc_lo, 0, v7
	v_cndmask_b32_e32 v8, 0x400000, v8, vcc_lo
	s_branch .LBB127_2431
.LBB127_2430:
	s_mov_b32 s0, -1
                                        ; implicit-def: $vgpr8
.LBB127_2431:
	s_mov_b32 s13, 0
.LBB127_2432:
	s_delay_alu instid0(SALU_CYCLE_1)
	s_and_b32 vcc_lo, exec_lo, s13
	s_cbranch_vccz .LBB127_2436
; %bb.2433:
	v_cmp_eq_u16_e32 vcc_lo, 29, v14
	s_cbranch_vccz .LBB127_2435
; %bb.2434:
	global_load_b64 v[7:8], v[5:6], off
	s_mov_b32 s0, 0
	s_mov_b32 s7, -1
	s_mov_b32 s13, 0
	s_waitcnt vmcnt(0)
	v_clz_i32_u32_e32 v10, v8
	s_delay_alu instid0(VALU_DEP_1) | instskip(NEXT) | instid1(VALU_DEP_1)
	v_min_u32_e32 v10, 32, v10
	v_lshlrev_b64 v[7:8], v10, v[7:8]
	s_delay_alu instid0(VALU_DEP_1) | instskip(NEXT) | instid1(VALU_DEP_1)
	v_min_u32_e32 v7, 1, v7
	v_or_b32_e32 v7, v8, v7
	v_sub_nc_u32_e32 v8, 32, v10
	s_delay_alu instid0(VALU_DEP_2) | instskip(NEXT) | instid1(VALU_DEP_1)
	v_cvt_f32_u32_e32 v7, v7
	v_ldexp_f32 v8, v7, v8
	s_branch .LBB127_2437
.LBB127_2435:
	s_mov_b32 s0, -1
                                        ; implicit-def: $vgpr8
.LBB127_2436:
	s_mov_b32 s13, 0
.LBB127_2437:
	s_delay_alu instid0(SALU_CYCLE_1)
	s_and_b32 vcc_lo, exec_lo, s13
	s_cbranch_vccz .LBB127_2455
; %bb.2438:
	v_cmp_gt_i16_e32 vcc_lo, 27, v14
	s_cbranch_vccnz .LBB127_2441
; %bb.2439:
	v_cmp_lt_i16_e32 vcc_lo, 27, v14
	s_cbranch_vccz .LBB127_2442
; %bb.2440:
	global_load_b32 v7, v[5:6], off
	s_mov_b32 s7, 0
	s_waitcnt vmcnt(0)
	v_cvt_f32_u32_e32 v8, v7
	s_branch .LBB127_2443
.LBB127_2441:
	s_mov_b32 s7, -1
                                        ; implicit-def: $vgpr8
	s_branch .LBB127_2446
.LBB127_2442:
	s_mov_b32 s7, -1
                                        ; implicit-def: $vgpr8
.LBB127_2443:
	s_delay_alu instid0(SALU_CYCLE_1)
	s_and_not1_b32 vcc_lo, exec_lo, s7
	s_cbranch_vccnz .LBB127_2445
; %bb.2444:
	global_load_u16 v7, v[5:6], off
	s_waitcnt vmcnt(0)
	v_cvt_f32_u32_e32 v8, v7
.LBB127_2445:
	s_mov_b32 s7, 0
.LBB127_2446:
	s_delay_alu instid0(SALU_CYCLE_1)
	s_and_not1_b32 vcc_lo, exec_lo, s7
	s_cbranch_vccnz .LBB127_2454
; %bb.2447:
	global_load_u8 v7, v[5:6], off
	s_mov_b32 s7, 0
	s_mov_b32 s14, exec_lo
                                        ; implicit-def: $sgpr13
	s_waitcnt vmcnt(0)
	v_cmpx_lt_i16_e32 0x7f, v7
	s_xor_b32 s14, exec_lo, s14
	s_cbranch_execz .LBB127_2468
; %bb.2448:
	s_mov_b32 s7, -1
	s_mov_b32 s15, exec_lo
                                        ; implicit-def: $sgpr13
	v_cmpx_eq_u16_e32 0x80, v7
; %bb.2449:
	s_mov_b32 s13, 0x7f800001
	s_xor_b32 s7, exec_lo, -1
; %bb.2450:
	s_or_b32 exec_lo, exec_lo, s15
	s_delay_alu instid0(SALU_CYCLE_1)
	s_and_b32 s7, s7, exec_lo
	s_or_saveexec_b32 s14, s14
	v_mov_b32_e32 v8, s13
	s_xor_b32 exec_lo, exec_lo, s14
	s_cbranch_execnz .LBB127_2469
.LBB127_2451:
	s_or_b32 exec_lo, exec_lo, s14
	s_and_saveexec_b32 s13, s7
	s_cbranch_execz .LBB127_2453
.LBB127_2452:
	v_and_b32_e32 v8, 0xffff, v7
	s_delay_alu instid0(VALU_DEP_1) | instskip(NEXT) | instid1(VALU_DEP_1)
	v_and_b32_e32 v10, 7, v8
	v_clz_i32_u32_e32 v15, v10
	s_delay_alu instid0(VALU_DEP_1) | instskip(NEXT) | instid1(VALU_DEP_1)
	v_min_u32_e32 v15, 32, v15
	v_subrev_nc_u32_e32 v16, 28, v15
	v_sub_nc_u32_e32 v15, 29, v15
	s_delay_alu instid0(VALU_DEP_2) | instskip(SKIP_1) | instid1(VALU_DEP_2)
	v_lshlrev_b32_e32 v16, v16, v8
	v_bfe_u32 v8, v8, 3, 4
	v_and_b32_e32 v16, 7, v16
	s_delay_alu instid0(VALU_DEP_2) | instskip(NEXT) | instid1(VALU_DEP_2)
	v_cmp_eq_u32_e32 vcc_lo, 0, v8
	v_dual_cndmask_b32 v10, v10, v16 :: v_dual_lshlrev_b32 v7, 24, v7
	v_cndmask_b32_e32 v8, v8, v15, vcc_lo
	s_delay_alu instid0(VALU_DEP_2) | instskip(NEXT) | instid1(VALU_DEP_3)
	v_and_b32_e32 v7, 0x80000000, v7
	v_lshlrev_b32_e32 v10, 20, v10
	s_delay_alu instid0(VALU_DEP_3) | instskip(NEXT) | instid1(VALU_DEP_1)
	v_lshl_add_u32 v8, v8, 23, 0x3b800000
	v_or3_b32 v8, v7, v8, v10
.LBB127_2453:
	s_or_b32 exec_lo, exec_lo, s13
.LBB127_2454:
	s_mov_b32 s7, -1
.LBB127_2455:
	s_mov_b32 s13, 0
.LBB127_2456:
	s_delay_alu instid0(SALU_CYCLE_1)
	s_and_b32 vcc_lo, exec_lo, s13
	s_cbranch_vccz .LBB127_2489
; %bb.2457:
	v_cmp_lt_i16_e32 vcc_lo, 22, v14
	s_cbranch_vccz .LBB127_2467
; %bb.2458:
	v_cmp_gt_i16_e32 vcc_lo, 24, v14
	s_cbranch_vccnz .LBB127_2470
; %bb.2459:
	v_cmp_lt_i16_e32 vcc_lo, 24, v14
	s_cbranch_vccz .LBB127_2471
; %bb.2460:
	global_load_u8 v7, v[5:6], off
	s_mov_b32 s13, exec_lo
                                        ; implicit-def: $sgpr7
	s_waitcnt vmcnt(0)
	v_cmpx_lt_i16_e32 0x7f, v7
	s_xor_b32 s13, exec_lo, s13
	s_cbranch_execz .LBB127_2483
; %bb.2461:
	s_mov_b32 s6, -1
	s_mov_b32 s14, exec_lo
                                        ; implicit-def: $sgpr7
	v_cmpx_eq_u16_e32 0x80, v7
; %bb.2462:
	s_mov_b32 s7, 0x7f800001
	s_xor_b32 s6, exec_lo, -1
; %bb.2463:
	s_or_b32 exec_lo, exec_lo, s14
	s_delay_alu instid0(SALU_CYCLE_1)
	s_and_b32 s6, s6, exec_lo
	s_or_saveexec_b32 s13, s13
	v_mov_b32_e32 v8, s7
	s_xor_b32 exec_lo, exec_lo, s13
	s_cbranch_execnz .LBB127_2484
.LBB127_2464:
	s_or_b32 exec_lo, exec_lo, s13
	s_and_saveexec_b32 s7, s6
	s_cbranch_execz .LBB127_2466
.LBB127_2465:
	v_and_b32_e32 v8, 0xffff, v7
	s_delay_alu instid0(VALU_DEP_1) | instskip(NEXT) | instid1(VALU_DEP_1)
	v_and_b32_e32 v10, 3, v8
	v_clz_i32_u32_e32 v15, v10
	s_delay_alu instid0(VALU_DEP_1) | instskip(NEXT) | instid1(VALU_DEP_1)
	v_min_u32_e32 v15, 32, v15
	v_subrev_nc_u32_e32 v16, 29, v15
	v_sub_nc_u32_e32 v15, 30, v15
	s_delay_alu instid0(VALU_DEP_2) | instskip(SKIP_1) | instid1(VALU_DEP_2)
	v_lshlrev_b32_e32 v16, v16, v8
	v_bfe_u32 v8, v8, 2, 5
	v_and_b32_e32 v16, 3, v16
	s_delay_alu instid0(VALU_DEP_2) | instskip(NEXT) | instid1(VALU_DEP_2)
	v_cmp_eq_u32_e32 vcc_lo, 0, v8
	v_dual_cndmask_b32 v10, v10, v16 :: v_dual_lshlrev_b32 v7, 24, v7
	v_cndmask_b32_e32 v8, v8, v15, vcc_lo
	s_delay_alu instid0(VALU_DEP_2) | instskip(NEXT) | instid1(VALU_DEP_3)
	v_and_b32_e32 v7, 0x80000000, v7
	v_lshlrev_b32_e32 v10, 21, v10
	s_delay_alu instid0(VALU_DEP_3) | instskip(NEXT) | instid1(VALU_DEP_1)
	v_lshl_add_u32 v8, v8, 23, 0x37800000
	v_or3_b32 v8, v7, v8, v10
.LBB127_2466:
	s_or_b32 exec_lo, exec_lo, s7
	s_mov_b32 s6, 0
	s_branch .LBB127_2472
.LBB127_2467:
	s_mov_b32 s6, -1
                                        ; implicit-def: $vgpr8
	s_branch .LBB127_2478
.LBB127_2468:
	s_or_saveexec_b32 s14, s14
	v_mov_b32_e32 v8, s13
	s_xor_b32 exec_lo, exec_lo, s14
	s_cbranch_execz .LBB127_2451
.LBB127_2469:
	v_cmp_ne_u16_e32 vcc_lo, 0, v7
	v_mov_b32_e32 v8, 0
	s_and_not1_b32 s7, s7, exec_lo
	s_and_b32 s13, vcc_lo, exec_lo
	s_delay_alu instid0(SALU_CYCLE_1)
	s_or_b32 s7, s7, s13
	s_or_b32 exec_lo, exec_lo, s14
	s_and_saveexec_b32 s13, s7
	s_cbranch_execnz .LBB127_2452
	s_branch .LBB127_2453
.LBB127_2470:
	s_mov_b32 s6, -1
                                        ; implicit-def: $vgpr8
	s_branch .LBB127_2475
.LBB127_2471:
	s_mov_b32 s6, -1
                                        ; implicit-def: $vgpr8
.LBB127_2472:
	s_delay_alu instid0(SALU_CYCLE_1)
	s_and_b32 vcc_lo, exec_lo, s6
	s_cbranch_vccz .LBB127_2474
; %bb.2473:
	global_load_u8 v7, v[5:6], off
	s_waitcnt vmcnt(0)
	v_lshlrev_b32_e32 v7, 24, v7
	s_delay_alu instid0(VALU_DEP_1) | instskip(NEXT) | instid1(VALU_DEP_1)
	v_and_b32_e32 v8, 0x7f000000, v7
	v_clz_i32_u32_e32 v10, v8
	v_add_nc_u32_e32 v16, 0x1000000, v8
	v_cmp_ne_u32_e32 vcc_lo, 0, v8
	s_delay_alu instid0(VALU_DEP_3) | instskip(NEXT) | instid1(VALU_DEP_1)
	v_min_u32_e32 v10, 32, v10
	v_sub_nc_u32_e64 v10, v10, 4 clamp
	s_delay_alu instid0(VALU_DEP_1) | instskip(SKIP_1) | instid1(VALU_DEP_2)
	v_lshlrev_b32_e32 v15, v10, v8
	v_lshlrev_b32_e32 v10, 23, v10
	v_lshrrev_b32_e32 v15, 4, v15
	s_delay_alu instid0(VALU_DEP_1) | instskip(SKIP_1) | instid1(VALU_DEP_2)
	v_sub_nc_u32_e32 v10, v15, v10
	v_ashrrev_i32_e32 v15, 8, v16
	v_add_nc_u32_e32 v10, 0x3c000000, v10
	s_delay_alu instid0(VALU_DEP_1) | instskip(NEXT) | instid1(VALU_DEP_1)
	v_and_or_b32 v10, 0x7f800000, v15, v10
	v_cndmask_b32_e32 v8, 0, v10, vcc_lo
	s_delay_alu instid0(VALU_DEP_1)
	v_and_or_b32 v8, 0x80000000, v7, v8
.LBB127_2474:
	s_mov_b32 s6, 0
.LBB127_2475:
	s_delay_alu instid0(SALU_CYCLE_1)
	s_and_not1_b32 vcc_lo, exec_lo, s6
	s_cbranch_vccnz .LBB127_2477
; %bb.2476:
	global_load_u8 v7, v[5:6], off
	s_waitcnt vmcnt(0)
	v_lshlrev_b32_e32 v8, 25, v7
	v_lshlrev_b16 v7, 8, v7
	s_delay_alu instid0(VALU_DEP_2) | instskip(NEXT) | instid1(VALU_DEP_2)
	v_lshrrev_b32_e32 v10, 4, v8
	v_and_or_b32 v15, 0x7f00, v7, 0.5
	v_cmp_gt_u32_e32 vcc_lo, 0x8000000, v8
	v_bfe_i32 v7, v7, 0, 16
	s_delay_alu instid0(VALU_DEP_4) | instskip(NEXT) | instid1(VALU_DEP_1)
	v_or_b32_e32 v10, 0x70000000, v10
	v_dual_add_f32 v15, -0.5, v15 :: v_dual_mul_f32 v10, 0x7800000, v10
	s_delay_alu instid0(VALU_DEP_1) | instskip(NEXT) | instid1(VALU_DEP_1)
	v_cndmask_b32_e32 v8, v10, v15, vcc_lo
	v_and_or_b32 v8, 0x80000000, v7, v8
.LBB127_2477:
	s_mov_b32 s6, 0
	s_mov_b32 s7, -1
.LBB127_2478:
	s_and_not1_b32 vcc_lo, exec_lo, s6
	s_mov_b32 s6, 0
	s_cbranch_vccnz .LBB127_2489
; %bb.2479:
	v_cmp_lt_i16_e32 vcc_lo, 14, v14
	s_cbranch_vccz .LBB127_2482
; %bb.2480:
	v_cmp_eq_u16_e32 vcc_lo, 15, v14
	s_cbranch_vccz .LBB127_2485
; %bb.2481:
	global_load_u16 v7, v[5:6], off
	s_mov_b32 s0, 0
	s_mov_b32 s7, -1
	s_waitcnt vmcnt(0)
	v_lshlrev_b32_e32 v8, 16, v7
	s_branch .LBB127_2487
.LBB127_2482:
	s_mov_b32 s6, -1
	s_branch .LBB127_2486
.LBB127_2483:
	s_or_saveexec_b32 s13, s13
	v_mov_b32_e32 v8, s7
	s_xor_b32 exec_lo, exec_lo, s13
	s_cbranch_execz .LBB127_2464
.LBB127_2484:
	v_cmp_ne_u16_e32 vcc_lo, 0, v7
	v_mov_b32_e32 v8, 0
	s_and_not1_b32 s6, s6, exec_lo
	s_and_b32 s7, vcc_lo, exec_lo
	s_delay_alu instid0(SALU_CYCLE_1)
	s_or_b32 s6, s6, s7
	s_or_b32 exec_lo, exec_lo, s13
	s_and_saveexec_b32 s7, s6
	s_cbranch_execnz .LBB127_2465
	s_branch .LBB127_2466
.LBB127_2485:
	s_mov_b32 s0, -1
.LBB127_2486:
                                        ; implicit-def: $vgpr8
.LBB127_2487:
	s_and_b32 vcc_lo, exec_lo, s6
	s_mov_b32 s6, 0
	s_cbranch_vccz .LBB127_2489
; %bb.2488:
	v_cmp_ne_u16_e64 s0, 11, v14
	s_mov_b32 s6, -1
                                        ; implicit-def: $vgpr8
.LBB127_2489:
	s_delay_alu instid0(VALU_DEP_1)
	s_and_b32 vcc_lo, exec_lo, s0
	s_cbranch_vccnz .LBB127_2554
; %bb.2490:
	s_and_not1_b32 vcc_lo, exec_lo, s6
	s_cbranch_vccnz .LBB127_2492
.LBB127_2491:
	global_load_u8 v7, v[5:6], off
	s_mov_b32 s7, -1
	s_waitcnt vmcnt(0)
	v_cmp_ne_u16_e32 vcc_lo, 0, v7
	v_cndmask_b32_e64 v8, 0, 1.0, vcc_lo
.LBB127_2492:
	s_mov_b32 s0, 0
.LBB127_2493:
	s_delay_alu instid0(SALU_CYCLE_1)
	s_and_b32 vcc_lo, exec_lo, s0
	s_cbranch_vccz .LBB127_2542
; %bb.2494:
	v_cmp_gt_i16_e32 vcc_lo, 5, v14
	s_cbranch_vccnz .LBB127_2499
; %bb.2495:
	v_cmp_gt_i16_e32 vcc_lo, 8, v14
	s_cbranch_vccnz .LBB127_2500
	;; [unrolled: 3-line block ×3, first 2 shown]
; %bb.2497:
	v_cmp_lt_i16_e32 vcc_lo, 9, v14
	s_cbranch_vccz .LBB127_2502
; %bb.2498:
	global_load_b64 v[7:8], v[5:6], off
	s_mov_b32 s0, 0
	s_waitcnt vmcnt(0)
	v_cvt_f32_f64_e32 v8, v[7:8]
	s_branch .LBB127_2503
.LBB127_2499:
	s_mov_b32 s0, -1
                                        ; implicit-def: $vgpr8
	s_branch .LBB127_2521
.LBB127_2500:
	s_mov_b32 s0, -1
                                        ; implicit-def: $vgpr8
	s_branch .LBB127_2509
.LBB127_2501:
	s_mov_b32 s0, -1
                                        ; implicit-def: $vgpr8
	s_branch .LBB127_2506
.LBB127_2502:
	s_mov_b32 s0, -1
                                        ; implicit-def: $vgpr8
.LBB127_2503:
	s_delay_alu instid0(SALU_CYCLE_1)
	s_and_not1_b32 vcc_lo, exec_lo, s0
	s_cbranch_vccnz .LBB127_2505
; %bb.2504:
	global_load_b32 v8, v[5:6], off
.LBB127_2505:
	s_mov_b32 s0, 0
.LBB127_2506:
	s_delay_alu instid0(SALU_CYCLE_1)
	s_and_not1_b32 vcc_lo, exec_lo, s0
	s_cbranch_vccnz .LBB127_2508
; %bb.2507:
	global_load_b32 v7, v[5:6], off
	s_waitcnt vmcnt(0)
	v_cvt_f32_f16_e32 v8, v7
.LBB127_2508:
	s_mov_b32 s0, 0
.LBB127_2509:
	s_delay_alu instid0(SALU_CYCLE_1)
	s_and_not1_b32 vcc_lo, exec_lo, s0
	s_cbranch_vccnz .LBB127_2520
; %bb.2510:
	v_cmp_gt_i16_e32 vcc_lo, 6, v14
	s_cbranch_vccnz .LBB127_2513
; %bb.2511:
	v_cmp_lt_i16_e32 vcc_lo, 6, v14
	s_cbranch_vccz .LBB127_2514
; %bb.2512:
	global_load_b64 v[7:8], v[5:6], off
	s_mov_b32 s0, 0
	s_waitcnt vmcnt(0)
	v_cvt_f32_f64_e32 v8, v[7:8]
	s_branch .LBB127_2515
.LBB127_2513:
	s_mov_b32 s0, -1
                                        ; implicit-def: $vgpr8
	s_branch .LBB127_2518
.LBB127_2514:
	s_mov_b32 s0, -1
                                        ; implicit-def: $vgpr8
.LBB127_2515:
	s_delay_alu instid0(SALU_CYCLE_1)
	s_and_not1_b32 vcc_lo, exec_lo, s0
	s_cbranch_vccnz .LBB127_2517
; %bb.2516:
	global_load_b32 v8, v[5:6], off
.LBB127_2517:
	s_mov_b32 s0, 0
.LBB127_2518:
	s_delay_alu instid0(SALU_CYCLE_1)
	s_and_not1_b32 vcc_lo, exec_lo, s0
	s_cbranch_vccnz .LBB127_2520
; %bb.2519:
	global_load_u16 v7, v[5:6], off
	s_waitcnt vmcnt(0)
	v_cvt_f32_f16_e32 v8, v7
.LBB127_2520:
	s_mov_b32 s0, 0
.LBB127_2521:
	s_delay_alu instid0(SALU_CYCLE_1)
	s_and_not1_b32 vcc_lo, exec_lo, s0
	s_cbranch_vccnz .LBB127_2541
; %bb.2522:
	v_cmp_gt_i16_e32 vcc_lo, 2, v14
	s_cbranch_vccnz .LBB127_2526
; %bb.2523:
	v_cmp_gt_i16_e32 vcc_lo, 3, v14
	s_cbranch_vccnz .LBB127_2527
; %bb.2524:
	v_cmp_lt_i16_e32 vcc_lo, 3, v14
	s_cbranch_vccz .LBB127_2528
; %bb.2525:
	global_load_b64 v[7:8], v[5:6], off
	s_mov_b32 s0, 0
	s_waitcnt vmcnt(0)
	v_xor_b32_e32 v10, v7, v8
	v_cls_i32_e32 v15, v8
	s_delay_alu instid0(VALU_DEP_2) | instskip(NEXT) | instid1(VALU_DEP_2)
	v_ashrrev_i32_e32 v10, 31, v10
	v_add_nc_u32_e32 v15, -1, v15
	s_delay_alu instid0(VALU_DEP_2) | instskip(NEXT) | instid1(VALU_DEP_1)
	v_add_nc_u32_e32 v10, 32, v10
	v_min_u32_e32 v10, v15, v10
	s_delay_alu instid0(VALU_DEP_1) | instskip(NEXT) | instid1(VALU_DEP_1)
	v_lshlrev_b64 v[7:8], v10, v[7:8]
	v_min_u32_e32 v7, 1, v7
	s_delay_alu instid0(VALU_DEP_1) | instskip(SKIP_1) | instid1(VALU_DEP_2)
	v_or_b32_e32 v7, v8, v7
	v_sub_nc_u32_e32 v8, 32, v10
	v_cvt_f32_i32_e32 v7, v7
	s_delay_alu instid0(VALU_DEP_1)
	v_ldexp_f32 v8, v7, v8
	s_branch .LBB127_2529
.LBB127_2526:
	s_mov_b32 s0, -1
                                        ; implicit-def: $vgpr8
	s_branch .LBB127_2535
.LBB127_2527:
	s_mov_b32 s0, -1
                                        ; implicit-def: $vgpr8
	s_branch .LBB127_2532
.LBB127_2528:
	s_mov_b32 s0, -1
                                        ; implicit-def: $vgpr8
.LBB127_2529:
	s_delay_alu instid0(SALU_CYCLE_1)
	s_and_not1_b32 vcc_lo, exec_lo, s0
	s_cbranch_vccnz .LBB127_2531
; %bb.2530:
	global_load_b32 v7, v[5:6], off
	s_waitcnt vmcnt(0)
	v_cvt_f32_i32_e32 v8, v7
.LBB127_2531:
	s_mov_b32 s0, 0
.LBB127_2532:
	s_delay_alu instid0(SALU_CYCLE_1)
	s_and_not1_b32 vcc_lo, exec_lo, s0
	s_cbranch_vccnz .LBB127_2534
; %bb.2533:
	global_load_i16 v7, v[5:6], off
	s_waitcnt vmcnt(0)
	v_cvt_f32_i32_e32 v8, v7
.LBB127_2534:
	s_mov_b32 s0, 0
.LBB127_2535:
	s_delay_alu instid0(SALU_CYCLE_1)
	s_and_not1_b32 vcc_lo, exec_lo, s0
	s_cbranch_vccnz .LBB127_2541
; %bb.2536:
	v_cmp_lt_i16_e32 vcc_lo, 0, v14
	s_mov_b32 s0, 0
	s_cbranch_vccz .LBB127_2538
; %bb.2537:
	global_load_i8 v7, v[5:6], off
	s_waitcnt vmcnt(0)
	v_cvt_f32_i32_e32 v8, v7
	s_branch .LBB127_2539
.LBB127_2538:
	s_mov_b32 s0, -1
                                        ; implicit-def: $vgpr8
.LBB127_2539:
	s_delay_alu instid0(SALU_CYCLE_1)
	s_and_not1_b32 vcc_lo, exec_lo, s0
	s_cbranch_vccnz .LBB127_2541
; %bb.2540:
	global_load_u8 v5, v[5:6], off
	s_waitcnt vmcnt(0)
	v_cvt_f32_ubyte0_e32 v8, v5
.LBB127_2541:
	s_mov_b32 s7, -1
.LBB127_2542:
	s_delay_alu instid0(SALU_CYCLE_1)
	s_and_not1_b32 vcc_lo, exec_lo, s7
	s_cbranch_vccnz .LBB127_3064
; %bb.2543:
	v_cmp_gt_i16_e32 vcc_lo, 11, v12
	v_add_co_u32 v4, s0, s2, v4
	s_delay_alu instid0(VALU_DEP_1)
	v_add_co_ci_u32_e64 v5, null, s3, 0, s0
	s_mov_b32 s3, 0
	s_cbranch_vccnz .LBB127_2550
; %bb.2544:
	v_cmp_lt_i16_e32 vcc_lo, 25, v12
	s_mov_b32 s0, 0
	s_cbranch_vccz .LBB127_2551
; %bb.2545:
	v_cmp_lt_i16_e32 vcc_lo, 28, v12
	s_cbranch_vccz .LBB127_2552
; %bb.2546:
	v_cmp_lt_i16_e32 vcc_lo, 43, v12
	s_cbranch_vccz .LBB127_2553
; %bb.2547:
	v_cmp_lt_i16_e32 vcc_lo, 45, v12
	s_cbranch_vccz .LBB127_2556
; %bb.2548:
	v_cmp_eq_u16_e32 vcc_lo, 46, v12
	s_mov_b32 s7, 0
	s_cbranch_vccz .LBB127_2559
; %bb.2549:
	global_load_b32 v6, v[4:5], off
	s_mov_b32 s2, 0
	s_mov_b32 s3, -1
	s_waitcnt vmcnt(0)
	v_and_b32_e32 v6, 0x7fff7fff, v6
	s_delay_alu instid0(VALU_DEP_1)
	v_cmp_ne_u32_e32 vcc_lo, 0, v6
	s_and_b32 s6, vcc_lo, exec_lo
	s_branch .LBB127_2561
.LBB127_2550:
	s_mov_b32 s0, -1
                                        ; implicit-def: $sgpr6
	s_branch .LBB127_2625
.LBB127_2551:
	s_mov_b32 s7, -1
	s_mov_b32 s2, 0
                                        ; implicit-def: $sgpr6
	s_branch .LBB127_2588
.LBB127_2552:
	s_mov_b32 s7, -1
	s_mov_b32 s2, 0
                                        ; implicit-def: $sgpr6
	s_branch .LBB127_2569
.LBB127_2553:
	s_mov_b32 s7, -1
	s_mov_b32 s2, 0
                                        ; implicit-def: $sgpr6
	s_branch .LBB127_2564
.LBB127_2554:
	s_cbranch_execnz .LBB127_2557
; %bb.2555:
	s_or_b32 s1, s1, exec_lo
                                        ; implicit-def: $vgpr8
	s_cbranch_execz .LBB127_2491
	s_branch .LBB127_2492
.LBB127_2556:
	s_mov_b32 s7, -1
	s_mov_b32 s2, 0
	s_branch .LBB127_2560
.LBB127_2557:
	s_trap 2
	s_sendmsg_rtn_b32 s0, sendmsg(MSG_RTN_GET_DOORBELL)
	s_mov_b32 ttmp2, m0
	s_waitcnt lgkmcnt(0)
	s_and_b32 s0, s0, 0x3ff
	s_delay_alu instid0(SALU_CYCLE_1) | instskip(NEXT) | instid1(SALU_CYCLE_1)
	s_bitset1_b32 s0, 10
	s_mov_b32 m0, s0
	s_sendmsg sendmsg(MSG_INTERRUPT)
	s_mov_b32 m0, ttmp2
.LBB127_2558:                           ; =>This Inner Loop Header: Depth=1
	s_sethalt 5
	s_branch .LBB127_2558
.LBB127_2559:
	s_mov_b32 s2, -1
.LBB127_2560:
                                        ; implicit-def: $sgpr6
.LBB127_2561:
	s_and_b32 vcc_lo, exec_lo, s7
	s_cbranch_vccz .LBB127_2563
; %bb.2562:
	v_cmp_ne_u16_e64 s2, 44, v12
	s_mov_b32 s3, -1
	s_or_b32 s6, s6, exec_lo
.LBB127_2563:
	s_mov_b32 s7, 0
.LBB127_2564:
	s_delay_alu instid0(SALU_CYCLE_1)
	s_and_b32 vcc_lo, exec_lo, s7
	s_cbranch_vccz .LBB127_2568
; %bb.2565:
	v_cmp_eq_u16_e32 vcc_lo, 29, v12
	s_cbranch_vccz .LBB127_2567
; %bb.2566:
	global_load_b64 v[6:7], v[4:5], off
	s_mov_b32 s2, 0
	s_mov_b32 s3, -1
	s_mov_b32 s7, 0
	s_waitcnt vmcnt(0)
	v_cmp_ne_u64_e32 vcc_lo, 0, v[6:7]
	s_and_b32 s6, vcc_lo, exec_lo
	s_branch .LBB127_2569
.LBB127_2567:
	s_mov_b32 s2, -1
                                        ; implicit-def: $sgpr6
.LBB127_2568:
	s_mov_b32 s7, 0
.LBB127_2569:
	s_delay_alu instid0(SALU_CYCLE_1)
	s_and_b32 vcc_lo, exec_lo, s7
	s_cbranch_vccz .LBB127_2587
; %bb.2570:
	v_cmp_gt_i16_e32 vcc_lo, 27, v12
	s_cbranch_vccnz .LBB127_2573
; %bb.2571:
	v_cmp_lt_i16_e32 vcc_lo, 27, v12
	s_cbranch_vccz .LBB127_2574
; %bb.2572:
	global_load_b32 v6, v[4:5], off
	s_mov_b32 s3, 0
	s_waitcnt vmcnt(0)
	v_cmp_ne_u32_e32 vcc_lo, 0, v6
	s_and_b32 s6, vcc_lo, exec_lo
	s_branch .LBB127_2575
.LBB127_2573:
	s_mov_b32 s3, -1
                                        ; implicit-def: $sgpr6
	s_branch .LBB127_2578
.LBB127_2574:
	s_mov_b32 s3, -1
                                        ; implicit-def: $sgpr6
.LBB127_2575:
	s_delay_alu instid0(SALU_CYCLE_1)
	s_and_not1_b32 vcc_lo, exec_lo, s3
	s_cbranch_vccnz .LBB127_2577
; %bb.2576:
	global_load_u16 v6, v[4:5], off
	s_and_not1_b32 s3, s6, exec_lo
	s_waitcnt vmcnt(0)
	v_cmp_ne_u16_e32 vcc_lo, 0, v6
	s_and_b32 s6, vcc_lo, exec_lo
	s_delay_alu instid0(SALU_CYCLE_1)
	s_or_b32 s6, s3, s6
.LBB127_2577:
	s_mov_b32 s3, 0
.LBB127_2578:
	s_delay_alu instid0(SALU_CYCLE_1)
	s_and_not1_b32 vcc_lo, exec_lo, s3
	s_cbranch_vccnz .LBB127_2586
; %bb.2579:
	global_load_u8 v6, v[4:5], off
	s_mov_b32 s3, 0
	s_mov_b32 s7, exec_lo
                                        ; implicit-def: $sgpr6
	s_waitcnt vmcnt(0)
	v_cmpx_lt_i16_e32 0x7f, v6
	s_xor_b32 s7, exec_lo, s7
	s_cbranch_execz .LBB127_2600
; %bb.2580:
	s_mov_b32 s3, -1
	s_mov_b32 s13, exec_lo
                                        ; implicit-def: $sgpr6
	v_cmpx_eq_u16_e32 0x80, v6
; %bb.2581:
	s_mov_b32 s6, -1
	s_xor_b32 s3, exec_lo, -1
; %bb.2582:
	s_or_b32 exec_lo, exec_lo, s13
	s_delay_alu instid0(SALU_CYCLE_1)
	s_and_b32 s3, s3, exec_lo
	s_and_not1_saveexec_b32 s7, s7
	s_cbranch_execnz .LBB127_2601
.LBB127_2583:
	s_or_b32 exec_lo, exec_lo, s7
	s_and_saveexec_b32 s7, s3
	s_cbranch_execz .LBB127_2585
.LBB127_2584:
	v_and_b32_e32 v6, 0xffff, v6
	s_and_not1_b32 s3, s6, exec_lo
	s_delay_alu instid0(VALU_DEP_1) | instskip(NEXT) | instid1(VALU_DEP_1)
	v_and_b32_e32 v7, 7, v6
	v_clz_i32_u32_e32 v10, v7
	s_delay_alu instid0(VALU_DEP_1) | instskip(NEXT) | instid1(VALU_DEP_1)
	v_min_u32_e32 v10, 32, v10
	v_subrev_nc_u32_e32 v14, 28, v10
	v_sub_nc_u32_e32 v10, 29, v10
	s_delay_alu instid0(VALU_DEP_2) | instskip(SKIP_1) | instid1(VALU_DEP_2)
	v_lshlrev_b32_e32 v14, v14, v6
	v_bfe_u32 v6, v6, 3, 4
	v_and_b32_e32 v14, 7, v14
	s_delay_alu instid0(VALU_DEP_2) | instskip(NEXT) | instid1(VALU_DEP_2)
	v_cmp_eq_u32_e32 vcc_lo, 0, v6
	v_cndmask_b32_e32 v7, v7, v14, vcc_lo
	s_delay_alu instid0(VALU_DEP_1) | instskip(NEXT) | instid1(VALU_DEP_1)
	v_dual_cndmask_b32 v6, v6, v10 :: v_dual_lshlrev_b32 v7, 20, v7
	v_lshl_add_u32 v6, v6, 23, 0x3b800000
	s_delay_alu instid0(VALU_DEP_1) | instskip(NEXT) | instid1(VALU_DEP_1)
	v_and_or_b32 v6, 0x7f800000, v6, v7
	v_cmp_ne_u32_e32 vcc_lo, 0, v6
	s_and_b32 s6, vcc_lo, exec_lo
	s_delay_alu instid0(SALU_CYCLE_1)
	s_or_b32 s6, s3, s6
.LBB127_2585:
	s_or_b32 exec_lo, exec_lo, s7
.LBB127_2586:
	s_mov_b32 s3, -1
.LBB127_2587:
	s_mov_b32 s7, 0
.LBB127_2588:
	s_delay_alu instid0(SALU_CYCLE_1)
	s_and_b32 vcc_lo, exec_lo, s7
	s_cbranch_vccz .LBB127_2621
; %bb.2589:
	v_cmp_lt_i16_e32 vcc_lo, 22, v12
	s_cbranch_vccz .LBB127_2599
; %bb.2590:
	v_cmp_gt_i16_e32 vcc_lo, 24, v12
	s_cbranch_vccnz .LBB127_2602
; %bb.2591:
	v_cmp_lt_i16_e32 vcc_lo, 24, v12
	s_cbranch_vccz .LBB127_2603
; %bb.2592:
	global_load_u8 v6, v[4:5], off
	s_mov_b32 s3, exec_lo
                                        ; implicit-def: $sgpr6
	s_waitcnt vmcnt(0)
	v_cmpx_lt_i16_e32 0x7f, v6
	s_xor_b32 s3, exec_lo, s3
	s_cbranch_execz .LBB127_2615
; %bb.2593:
	s_mov_b32 s0, -1
	s_mov_b32 s7, exec_lo
                                        ; implicit-def: $sgpr6
	v_cmpx_eq_u16_e32 0x80, v6
; %bb.2594:
	s_mov_b32 s6, -1
	s_xor_b32 s0, exec_lo, -1
; %bb.2595:
	s_or_b32 exec_lo, exec_lo, s7
	s_delay_alu instid0(SALU_CYCLE_1)
	s_and_b32 s0, s0, exec_lo
	s_and_not1_saveexec_b32 s3, s3
	s_cbranch_execnz .LBB127_2616
.LBB127_2596:
	s_or_b32 exec_lo, exec_lo, s3
	s_and_saveexec_b32 s3, s0
	s_cbranch_execz .LBB127_2598
.LBB127_2597:
	v_and_b32_e32 v6, 0xffff, v6
	s_and_not1_b32 s0, s6, exec_lo
	s_delay_alu instid0(VALU_DEP_1) | instskip(NEXT) | instid1(VALU_DEP_1)
	v_and_b32_e32 v7, 3, v6
	v_clz_i32_u32_e32 v10, v7
	s_delay_alu instid0(VALU_DEP_1) | instskip(NEXT) | instid1(VALU_DEP_1)
	v_min_u32_e32 v10, 32, v10
	v_subrev_nc_u32_e32 v14, 29, v10
	v_sub_nc_u32_e32 v10, 30, v10
	s_delay_alu instid0(VALU_DEP_2) | instskip(SKIP_1) | instid1(VALU_DEP_2)
	v_lshlrev_b32_e32 v14, v14, v6
	v_bfe_u32 v6, v6, 2, 5
	v_and_b32_e32 v14, 3, v14
	s_delay_alu instid0(VALU_DEP_2) | instskip(NEXT) | instid1(VALU_DEP_2)
	v_cmp_eq_u32_e32 vcc_lo, 0, v6
	v_cndmask_b32_e32 v7, v7, v14, vcc_lo
	s_delay_alu instid0(VALU_DEP_1) | instskip(NEXT) | instid1(VALU_DEP_1)
	v_dual_cndmask_b32 v6, v6, v10 :: v_dual_lshlrev_b32 v7, 21, v7
	v_lshl_add_u32 v6, v6, 23, 0x37800000
	s_delay_alu instid0(VALU_DEP_1) | instskip(NEXT) | instid1(VALU_DEP_1)
	v_and_or_b32 v6, 0x7f800000, v6, v7
	v_cmp_ne_u32_e32 vcc_lo, 0, v6
	s_and_b32 s6, vcc_lo, exec_lo
	s_delay_alu instid0(SALU_CYCLE_1)
	s_or_b32 s6, s0, s6
.LBB127_2598:
	s_or_b32 exec_lo, exec_lo, s3
	s_mov_b32 s0, 0
	s_branch .LBB127_2604
.LBB127_2599:
	s_mov_b32 s0, -1
                                        ; implicit-def: $sgpr6
	s_branch .LBB127_2610
.LBB127_2600:
	s_and_not1_saveexec_b32 s7, s7
	s_cbranch_execz .LBB127_2583
.LBB127_2601:
	v_cmp_ne_u16_e32 vcc_lo, 0, v6
	s_and_not1_b32 s3, s3, exec_lo
	s_and_not1_b32 s6, s6, exec_lo
	s_and_b32 s13, vcc_lo, exec_lo
	s_delay_alu instid0(SALU_CYCLE_1)
	s_or_b32 s3, s3, s13
	s_or_b32 exec_lo, exec_lo, s7
	s_and_saveexec_b32 s7, s3
	s_cbranch_execnz .LBB127_2584
	s_branch .LBB127_2585
.LBB127_2602:
	s_mov_b32 s0, -1
                                        ; implicit-def: $sgpr6
	s_branch .LBB127_2607
.LBB127_2603:
	s_mov_b32 s0, -1
                                        ; implicit-def: $sgpr6
.LBB127_2604:
	s_delay_alu instid0(SALU_CYCLE_1)
	s_and_b32 vcc_lo, exec_lo, s0
	s_cbranch_vccz .LBB127_2606
; %bb.2605:
	global_load_u8 v6, v[4:5], off
	s_and_not1_b32 s3, s6, exec_lo
	s_waitcnt vmcnt(0)
	v_lshlrev_b32_e32 v6, 24, v6
	s_delay_alu instid0(VALU_DEP_1) | instskip(NEXT) | instid1(VALU_DEP_1)
	v_and_b32_e32 v6, 0x7f000000, v6
	v_clz_i32_u32_e32 v7, v6
	v_add_nc_u32_e32 v14, 0x1000000, v6
	v_cmp_ne_u32_e32 vcc_lo, 0, v6
	s_delay_alu instid0(VALU_DEP_3) | instskip(NEXT) | instid1(VALU_DEP_3)
	v_min_u32_e32 v7, 32, v7
	v_ashrrev_i32_e32 v14, 8, v14
	s_delay_alu instid0(VALU_DEP_2) | instskip(NEXT) | instid1(VALU_DEP_1)
	v_sub_nc_u32_e64 v7, v7, 4 clamp
	v_lshlrev_b32_e32 v10, v7, v6
	v_lshlrev_b32_e32 v7, 23, v7
	s_delay_alu instid0(VALU_DEP_2) | instskip(NEXT) | instid1(VALU_DEP_1)
	v_lshrrev_b32_e32 v10, 4, v10
	v_sub_nc_u32_e32 v7, v10, v7
	v_and_b32_e32 v10, 0x7f800000, v14
	s_delay_alu instid0(VALU_DEP_2) | instskip(NEXT) | instid1(VALU_DEP_1)
	v_add_nc_u32_e32 v7, 0x3c000000, v7
	v_and_or_b32 v7, 0x7ff00000, v7, v10
	s_delay_alu instid0(VALU_DEP_1) | instskip(NEXT) | instid1(VALU_DEP_1)
	v_cmp_ne_u32_e64 s0, 0, v7
	s_and_b32 s0, vcc_lo, s0
	s_delay_alu instid0(SALU_CYCLE_1) | instskip(NEXT) | instid1(SALU_CYCLE_1)
	s_and_b32 s0, s0, exec_lo
	s_or_b32 s6, s3, s0
.LBB127_2606:
	s_mov_b32 s0, 0
.LBB127_2607:
	s_delay_alu instid0(SALU_CYCLE_1)
	s_and_not1_b32 vcc_lo, exec_lo, s0
	s_cbranch_vccnz .LBB127_2609
; %bb.2608:
	global_load_u8 v6, v[4:5], off
	s_and_not1_b32 s0, s6, exec_lo
	s_waitcnt vmcnt(0)
	v_lshlrev_b32_e32 v7, 25, v6
	v_lshlrev_b32_e32 v6, 8, v6
	s_delay_alu instid0(VALU_DEP_2) | instskip(NEXT) | instid1(VALU_DEP_2)
	v_lshrrev_b32_e32 v10, 4, v7
	v_and_or_b32 v6, 0x7f00, v6, 0.5
	v_cmp_gt_u32_e32 vcc_lo, 0x8000000, v7
	s_delay_alu instid0(VALU_DEP_3) | instskip(NEXT) | instid1(VALU_DEP_3)
	v_or_b32_e32 v10, 0x70000000, v10
	v_add_f32_e32 v6, -0.5, v6
	s_delay_alu instid0(VALU_DEP_2) | instskip(NEXT) | instid1(VALU_DEP_1)
	v_mul_f32_e32 v10, 0x7800000, v10
	v_cndmask_b32_e32 v6, v10, v6, vcc_lo
	s_delay_alu instid0(VALU_DEP_1) | instskip(SKIP_1) | instid1(SALU_CYCLE_1)
	v_cmp_neq_f32_e32 vcc_lo, 0, v6
	s_and_b32 s3, vcc_lo, exec_lo
	s_or_b32 s6, s0, s3
.LBB127_2609:
	s_mov_b32 s0, 0
	s_mov_b32 s3, -1
.LBB127_2610:
	s_and_not1_b32 vcc_lo, exec_lo, s0
	s_mov_b32 s0, 0
	s_cbranch_vccnz .LBB127_2621
; %bb.2611:
	v_cmp_lt_i16_e32 vcc_lo, 14, v12
	s_cbranch_vccz .LBB127_2614
; %bb.2612:
	v_cmp_eq_u16_e32 vcc_lo, 15, v12
	s_cbranch_vccz .LBB127_2617
; %bb.2613:
	global_load_u16 v6, v[4:5], off
	s_mov_b32 s2, 0
	s_mov_b32 s3, -1
	s_waitcnt vmcnt(0)
	v_and_b32_e32 v6, 0x7fff, v6
	s_delay_alu instid0(VALU_DEP_1)
	v_cmp_ne_u16_e32 vcc_lo, 0, v6
	s_and_b32 s6, vcc_lo, exec_lo
	s_branch .LBB127_2619
.LBB127_2614:
	s_mov_b32 s0, -1
	s_branch .LBB127_2618
.LBB127_2615:
	s_and_not1_saveexec_b32 s3, s3
	s_cbranch_execz .LBB127_2596
.LBB127_2616:
	v_cmp_ne_u16_e32 vcc_lo, 0, v6
	s_and_not1_b32 s0, s0, exec_lo
	s_and_not1_b32 s6, s6, exec_lo
	s_and_b32 s7, vcc_lo, exec_lo
	s_delay_alu instid0(SALU_CYCLE_1)
	s_or_b32 s0, s0, s7
	s_or_b32 exec_lo, exec_lo, s3
	s_and_saveexec_b32 s3, s0
	s_cbranch_execnz .LBB127_2597
	s_branch .LBB127_2598
.LBB127_2617:
	s_mov_b32 s2, -1
.LBB127_2618:
                                        ; implicit-def: $sgpr6
.LBB127_2619:
	s_and_b32 vcc_lo, exec_lo, s0
	s_mov_b32 s0, 0
	s_cbranch_vccz .LBB127_2621
; %bb.2620:
	v_cmp_ne_u16_e64 s2, 11, v12
	s_mov_b32 s0, -1
	s_and_not1_b32 s6, s6, exec_lo
.LBB127_2621:
	s_delay_alu instid0(VALU_DEP_1)
	s_and_b32 vcc_lo, exec_lo, s2
	s_cbranch_vccnz .LBB127_2684
; %bb.2622:
	s_and_not1_b32 vcc_lo, exec_lo, s0
	s_cbranch_vccnz .LBB127_2624
.LBB127_2623:
	global_load_u8 v6, v[4:5], off
	s_and_not1_b32 s0, s6, exec_lo
	s_mov_b32 s3, -1
	s_waitcnt vmcnt(0)
	v_cmp_ne_u16_e32 vcc_lo, 0, v6
	s_and_b32 s2, vcc_lo, exec_lo
	s_delay_alu instid0(SALU_CYCLE_1)
	s_or_b32 s6, s0, s2
.LBB127_2624:
	s_mov_b32 s0, 0
.LBB127_2625:
	s_delay_alu instid0(SALU_CYCLE_1)
	s_and_b32 vcc_lo, exec_lo, s0
	s_cbranch_vccz .LBB127_2674
; %bb.2626:
	v_cmp_gt_i16_e32 vcc_lo, 5, v12
	s_cbranch_vccnz .LBB127_2631
; %bb.2627:
	v_cmp_gt_i16_e32 vcc_lo, 8, v12
	s_cbranch_vccnz .LBB127_2632
; %bb.2628:
	v_cmp_gt_i16_e32 vcc_lo, 9, v12
	s_cbranch_vccnz .LBB127_2633
; %bb.2629:
	v_cmp_lt_i16_e32 vcc_lo, 9, v12
	s_cbranch_vccz .LBB127_2634
; %bb.2630:
	global_load_b128 v[14:17], v[4:5], off
	s_waitcnt vmcnt(0)
	v_cmp_neq_f64_e32 vcc_lo, 0, v[14:15]
	v_cmp_neq_f64_e64 s0, 0, v[16:17]
	s_delay_alu instid0(VALU_DEP_1)
	s_or_b32 s2, vcc_lo, s0
	s_mov_b32 s0, 0
	s_and_b32 s6, s2, exec_lo
	s_branch .LBB127_2635
.LBB127_2631:
	s_mov_b32 s0, -1
                                        ; implicit-def: $sgpr6
	s_branch .LBB127_2653
.LBB127_2632:
	s_mov_b32 s0, -1
                                        ; implicit-def: $sgpr6
	s_branch .LBB127_2641
.LBB127_2633:
	s_mov_b32 s0, -1
                                        ; implicit-def: $sgpr6
	s_branch .LBB127_2638
.LBB127_2634:
	s_mov_b32 s0, -1
                                        ; implicit-def: $sgpr6
.LBB127_2635:
	s_delay_alu instid0(SALU_CYCLE_1)
	s_and_not1_b32 vcc_lo, exec_lo, s0
	s_cbranch_vccnz .LBB127_2637
; %bb.2636:
	global_load_b64 v[6:7], v[4:5], off
	s_and_not1_b32 s0, s6, exec_lo
	s_waitcnt vmcnt(0)
	v_or_b32_e32 v6, v6, v7
	s_delay_alu instid0(VALU_DEP_1) | instskip(NEXT) | instid1(VALU_DEP_1)
	v_and_b32_e32 v6, 0x7fffffff, v6
	v_cmp_ne_u32_e32 vcc_lo, 0, v6
	s_and_b32 s2, vcc_lo, exec_lo
	s_delay_alu instid0(SALU_CYCLE_1)
	s_or_b32 s6, s0, s2
.LBB127_2637:
	s_mov_b32 s0, 0
.LBB127_2638:
	s_delay_alu instid0(SALU_CYCLE_1)
	s_and_not1_b32 vcc_lo, exec_lo, s0
	s_cbranch_vccnz .LBB127_2640
; %bb.2639:
	global_load_b32 v6, v[4:5], off
	s_and_not1_b32 s0, s6, exec_lo
	s_waitcnt vmcnt(0)
	v_and_b32_e32 v6, 0x7fff7fff, v6
	s_delay_alu instid0(VALU_DEP_1) | instskip(SKIP_1) | instid1(SALU_CYCLE_1)
	v_cmp_ne_u32_e32 vcc_lo, 0, v6
	s_and_b32 s2, vcc_lo, exec_lo
	s_or_b32 s6, s0, s2
.LBB127_2640:
	s_mov_b32 s0, 0
.LBB127_2641:
	s_delay_alu instid0(SALU_CYCLE_1)
	s_and_not1_b32 vcc_lo, exec_lo, s0
	s_cbranch_vccnz .LBB127_2652
; %bb.2642:
	v_cmp_gt_i16_e32 vcc_lo, 6, v12
	s_cbranch_vccnz .LBB127_2645
; %bb.2643:
	v_cmp_lt_i16_e32 vcc_lo, 6, v12
	s_cbranch_vccz .LBB127_2646
; %bb.2644:
	global_load_b64 v[6:7], v[4:5], off
	s_mov_b32 s0, 0
	s_waitcnt vmcnt(0)
	v_cmp_neq_f64_e32 vcc_lo, 0, v[6:7]
	s_and_b32 s6, vcc_lo, exec_lo
	s_branch .LBB127_2647
.LBB127_2645:
	s_mov_b32 s0, -1
                                        ; implicit-def: $sgpr6
	s_branch .LBB127_2650
.LBB127_2646:
	s_mov_b32 s0, -1
                                        ; implicit-def: $sgpr6
.LBB127_2647:
	s_delay_alu instid0(SALU_CYCLE_1)
	s_and_not1_b32 vcc_lo, exec_lo, s0
	s_cbranch_vccnz .LBB127_2649
; %bb.2648:
	global_load_b32 v6, v[4:5], off
	s_and_not1_b32 s0, s6, exec_lo
	s_waitcnt vmcnt(0)
	v_cmp_neq_f32_e32 vcc_lo, 0, v6
	s_and_b32 s2, vcc_lo, exec_lo
	s_delay_alu instid0(SALU_CYCLE_1)
	s_or_b32 s6, s0, s2
.LBB127_2649:
	s_mov_b32 s0, 0
.LBB127_2650:
	s_delay_alu instid0(SALU_CYCLE_1)
	s_and_not1_b32 vcc_lo, exec_lo, s0
	s_cbranch_vccnz .LBB127_2652
; %bb.2651:
	global_load_u16 v6, v[4:5], off
	s_and_not1_b32 s0, s6, exec_lo
	s_waitcnt vmcnt(0)
	v_and_b32_e32 v6, 0x7fff, v6
	s_delay_alu instid0(VALU_DEP_1) | instskip(SKIP_1) | instid1(SALU_CYCLE_1)
	v_cmp_ne_u16_e32 vcc_lo, 0, v6
	s_and_b32 s2, vcc_lo, exec_lo
	s_or_b32 s6, s0, s2
.LBB127_2652:
	s_mov_b32 s0, 0
.LBB127_2653:
	s_delay_alu instid0(SALU_CYCLE_1)
	s_and_not1_b32 vcc_lo, exec_lo, s0
	s_cbranch_vccnz .LBB127_2673
; %bb.2654:
	v_cmp_gt_i16_e32 vcc_lo, 2, v12
	s_cbranch_vccnz .LBB127_2658
; %bb.2655:
	v_cmp_gt_i16_e32 vcc_lo, 3, v12
	s_cbranch_vccnz .LBB127_2659
; %bb.2656:
	v_cmp_lt_i16_e32 vcc_lo, 3, v12
	s_cbranch_vccz .LBB127_2660
; %bb.2657:
	global_load_b64 v[6:7], v[4:5], off
	s_mov_b32 s0, 0
	s_waitcnt vmcnt(0)
	v_cmp_ne_u64_e32 vcc_lo, 0, v[6:7]
	s_and_b32 s6, vcc_lo, exec_lo
	s_branch .LBB127_2661
.LBB127_2658:
	s_mov_b32 s0, -1
                                        ; implicit-def: $sgpr6
	s_branch .LBB127_2667
.LBB127_2659:
	s_mov_b32 s0, -1
                                        ; implicit-def: $sgpr6
	s_branch .LBB127_2664
.LBB127_2660:
	s_mov_b32 s0, -1
                                        ; implicit-def: $sgpr6
.LBB127_2661:
	s_delay_alu instid0(SALU_CYCLE_1)
	s_and_not1_b32 vcc_lo, exec_lo, s0
	s_cbranch_vccnz .LBB127_2663
; %bb.2662:
	global_load_b32 v6, v[4:5], off
	s_and_not1_b32 s0, s6, exec_lo
	s_waitcnt vmcnt(0)
	v_cmp_ne_u32_e32 vcc_lo, 0, v6
	s_and_b32 s2, vcc_lo, exec_lo
	s_delay_alu instid0(SALU_CYCLE_1)
	s_or_b32 s6, s0, s2
.LBB127_2663:
	s_mov_b32 s0, 0
.LBB127_2664:
	s_delay_alu instid0(SALU_CYCLE_1)
	s_and_not1_b32 vcc_lo, exec_lo, s0
	s_cbranch_vccnz .LBB127_2666
; %bb.2665:
	global_load_u16 v6, v[4:5], off
	s_and_not1_b32 s0, s6, exec_lo
	s_waitcnt vmcnt(0)
	v_cmp_ne_u16_e32 vcc_lo, 0, v6
	s_and_b32 s2, vcc_lo, exec_lo
	s_delay_alu instid0(SALU_CYCLE_1)
	s_or_b32 s6, s0, s2
.LBB127_2666:
	s_mov_b32 s0, 0
.LBB127_2667:
	s_delay_alu instid0(SALU_CYCLE_1)
	s_and_not1_b32 vcc_lo, exec_lo, s0
	s_cbranch_vccnz .LBB127_2673
; %bb.2668:
	v_cmp_lt_i16_e32 vcc_lo, 0, v12
	s_mov_b32 s0, 0
	s_cbranch_vccz .LBB127_2670
; %bb.2669:
	global_load_u8 v6, v[4:5], off
	s_waitcnt vmcnt(0)
	v_cmp_ne_u16_e32 vcc_lo, 0, v6
	s_and_b32 s6, vcc_lo, exec_lo
	s_branch .LBB127_2671
.LBB127_2670:
	s_mov_b32 s0, -1
                                        ; implicit-def: $sgpr6
.LBB127_2671:
	s_delay_alu instid0(SALU_CYCLE_1)
	s_and_not1_b32 vcc_lo, exec_lo, s0
	s_cbranch_vccnz .LBB127_2673
; %bb.2672:
	global_load_u8 v4, v[4:5], off
	s_and_not1_b32 s0, s6, exec_lo
	s_waitcnt vmcnt(0)
	v_cmp_ne_u16_e32 vcc_lo, 0, v4
	s_and_b32 s2, vcc_lo, exec_lo
	s_delay_alu instid0(SALU_CYCLE_1)
	s_or_b32 s6, s0, s2
.LBB127_2673:
	s_mov_b32 s3, -1
.LBB127_2674:
	s_delay_alu instid0(SALU_CYCLE_1)
	s_and_not1_b32 vcc_lo, exec_lo, s3
	s_cbranch_vccnz .LBB127_3064
; %bb.2675:
	s_load_b64 s[2:3], s[20:21], 0x1a0
	v_cndmask_b32_e64 v4, 0, 1.0, s10
	v_add_co_u32 v6, s7, s4, v3
	s_delay_alu instid0(VALU_DEP_1) | instskip(NEXT) | instid1(VALU_DEP_3)
	v_add_co_ci_u32_e64 v7, null, s5, 0, s7
	v_mul_f32_e32 v4, v13, v4
	s_mov_b32 s10, 0
	s_waitcnt lgkmcnt(0)
	s_and_b32 s3, s3, 0xff
	s_delay_alu instid0(VALU_DEP_1) | instskip(SKIP_1) | instid1(VALU_DEP_1)
	v_mul_f32_e32 v4, s2, v4
	v_cmp_lt_i16_e64 s0, s3, 11
	s_and_b32 vcc_lo, exec_lo, s0
	s_mov_b32 s0, -1
	s_cbranch_vccnz .LBB127_2758
; %bb.2676:
	v_cmp_gt_i16_e64 s0, s3, 25
	s_mov_b32 s13, -1
	s_mov_b32 s7, 0
	s_delay_alu instid0(VALU_DEP_1)
	s_and_b32 vcc_lo, exec_lo, s0
	s_mov_b32 s0, 0
	s_cbranch_vccz .LBB127_2714
; %bb.2677:
	v_cmp_gt_i16_e64 s0, s3, 28
	s_delay_alu instid0(VALU_DEP_1)
	s_and_b32 vcc_lo, exec_lo, s0
	s_cbranch_vccz .LBB127_2682
; %bb.2678:
	v_cmp_gt_i16_e64 s0, s3, 43
	s_delay_alu instid0(VALU_DEP_1)
	s_and_b32 vcc_lo, exec_lo, s0
	s_cbranch_vccz .LBB127_2683
; %bb.2679:
	v_cmp_gt_i16_e64 s0, s3, 45
	s_delay_alu instid0(VALU_DEP_1)
	s_and_b32 vcc_lo, exec_lo, s0
	s_cbranch_vccz .LBB127_2686
; %bb.2680:
	v_cmp_eq_u16_e64 s10, s3, 46
	s_mov_b32 s0, -1
	s_mov_b32 s13, 0
	s_delay_alu instid0(VALU_DEP_1)
	s_and_b32 vcc_lo, exec_lo, s10
	s_mov_b32 s10, 0
	s_cbranch_vccz .LBB127_2687
; %bb.2681:
	v_bfe_u32 v3, v4, 16, 1
	v_cmp_o_f32_e32 vcc_lo, v4, v4
	s_mov_b32 s0, 0
	s_mov_b32 s10, -1
	s_delay_alu instid0(VALU_DEP_2) | instskip(NEXT) | instid1(VALU_DEP_1)
	v_add3_u32 v3, v4, v3, 0x7fff
	v_lshrrev_b32_e32 v3, 16, v3
	s_delay_alu instid0(VALU_DEP_1)
	v_cndmask_b32_e32 v3, 0x7fc0, v3, vcc_lo
	global_store_b32 v[6:7], v3, off
	s_branch .LBB127_2687
.LBB127_2682:
	s_mov_b32 s0, 0
	s_branch .LBB127_2697
.LBB127_2683:
	s_mov_b32 s0, 0
	s_branch .LBB127_2693
.LBB127_2684:
	s_cbranch_execnz .LBB127_2809
; %bb.2685:
	s_mov_b32 s3, 0
	s_and_not1_b32 s6, s6, exec_lo
	s_or_b32 s1, s1, exec_lo
	s_cbranch_execz .LBB127_2623
	s_branch .LBB127_2624
.LBB127_2686:
	s_mov_b32 s0, 0
.LBB127_2687:
	s_and_b32 vcc_lo, exec_lo, s13
	s_cbranch_vccz .LBB127_2692
; %bb.2688:
	v_cmp_eq_u16_e64 s0, s3, 44
	s_delay_alu instid0(VALU_DEP_1)
	s_and_b32 vcc_lo, exec_lo, s0
	s_mov_b32 s0, -1
	s_cbranch_vccz .LBB127_2692
; %bb.2689:
	v_bfe_u32 v5, v4, 23, 8
	v_mov_b32_e32 v3, 0xff
	s_mov_b32 s10, exec_lo
	s_delay_alu instid0(VALU_DEP_2)
	v_cmpx_ne_u32_e32 0xff, v5
; %bb.2690:
	v_and_b32_e32 v3, 0x400000, v4
	v_and_or_b32 v5, 0x3fffff, v4, v5
	s_delay_alu instid0(VALU_DEP_2) | instskip(NEXT) | instid1(VALU_DEP_2)
	v_cmp_ne_u32_e32 vcc_lo, 0, v3
	v_cmp_ne_u32_e64 s0, 0, v5
	v_lshrrev_b32_e32 v3, 23, v4
	s_delay_alu instid0(VALU_DEP_2) | instskip(NEXT) | instid1(SALU_CYCLE_1)
	s_and_b32 s0, vcc_lo, s0
	v_cndmask_b32_e64 v5, 0, 1, s0
	s_delay_alu instid0(VALU_DEP_1)
	v_add_nc_u32_e32 v3, v3, v5
; %bb.2691:
	s_or_b32 exec_lo, exec_lo, s10
	s_mov_b32 s0, 0
	s_mov_b32 s10, -1
	global_store_b8 v[6:7], v3, off
.LBB127_2692:
	s_mov_b32 s13, 0
.LBB127_2693:
	s_delay_alu instid0(SALU_CYCLE_1)
	s_and_b32 vcc_lo, exec_lo, s13
	s_cbranch_vccz .LBB127_2696
; %bb.2694:
	v_cmp_eq_u16_e64 s0, s3, 29
	s_delay_alu instid0(VALU_DEP_1)
	s_and_b32 vcc_lo, exec_lo, s0
	s_mov_b32 s0, -1
	s_cbranch_vccz .LBB127_2696
; %bb.2695:
	v_trunc_f32_e32 v3, v4
	s_mov_b32 s0, 0
	s_mov_b32 s10, -1
	s_mov_b32 s13, 0
	s_delay_alu instid0(VALU_DEP_1) | instskip(NEXT) | instid1(VALU_DEP_1)
	v_mul_f32_e32 v5, 0x2f800000, v3
	v_floor_f32_e32 v5, v5
	s_delay_alu instid0(VALU_DEP_1) | instskip(SKIP_1) | instid1(VALU_DEP_2)
	v_fmamk_f32 v3, v5, 0xcf800000, v3
	v_cvt_u32_f32_e32 v13, v5
	v_cvt_u32_f32_e32 v12, v3
	global_store_b64 v[6:7], v[12:13], off
	s_branch .LBB127_2697
.LBB127_2696:
	s_mov_b32 s13, 0
.LBB127_2697:
	s_delay_alu instid0(SALU_CYCLE_1)
	s_and_b32 vcc_lo, exec_lo, s13
	s_cbranch_vccz .LBB127_2713
; %bb.2698:
	v_cmp_lt_i16_e64 s10, s3, 27
	s_delay_alu instid0(VALU_DEP_1)
	s_and_b32 vcc_lo, exec_lo, s10
	s_mov_b32 s10, -1
	s_cbranch_vccnz .LBB127_2704
; %bb.2699:
	v_cmp_gt_i16_e64 s10, s3, 27
	v_cvt_u32_f32_e32 v3, v4
	s_delay_alu instid0(VALU_DEP_2)
	s_and_b32 vcc_lo, exec_lo, s10
	s_mov_b32 s10, -1
	s_cbranch_vccz .LBB127_2701
; %bb.2700:
	s_mov_b32 s10, 0
	global_store_b32 v[6:7], v3, off
.LBB127_2701:
	s_and_not1_b32 vcc_lo, exec_lo, s10
	s_cbranch_vccnz .LBB127_2703
; %bb.2702:
	global_store_b16 v[6:7], v3, off
.LBB127_2703:
	s_mov_b32 s10, 0
.LBB127_2704:
	s_delay_alu instid0(SALU_CYCLE_1)
	s_and_not1_b32 vcc_lo, exec_lo, s10
	s_cbranch_vccnz .LBB127_2712
; %bb.2705:
	v_and_b32_e32 v3, 0x7fffffff, v4
	v_mov_b32_e32 v5, 0x80
	s_mov_b32 s10, exec_lo
	s_delay_alu instid0(VALU_DEP_2)
	v_cmpx_gt_u32_e32 0x43800000, v3
	s_cbranch_execz .LBB127_2711
; %bb.2706:
	v_cmp_lt_u32_e32 vcc_lo, 0x3bffffff, v3
	s_mov_b32 s13, 0
                                        ; implicit-def: $vgpr3
	s_and_saveexec_b32 s14, vcc_lo
	s_delay_alu instid0(SALU_CYCLE_1)
	s_xor_b32 s14, exec_lo, s14
	s_cbranch_execz .LBB127_2806
; %bb.2707:
	v_bfe_u32 v3, v4, 20, 1
	s_mov_b32 s13, exec_lo
	s_delay_alu instid0(VALU_DEP_1) | instskip(NEXT) | instid1(VALU_DEP_1)
	v_add3_u32 v3, v4, v3, 0x487ffff
	v_lshrrev_b32_e32 v3, 20, v3
	s_or_saveexec_b32 s14, s14
                                        ; implicit-def: $sgpr15
	s_delay_alu instid0(SALU_CYCLE_1)
	s_xor_b32 exec_lo, exec_lo, s14
	s_cbranch_execnz .LBB127_2807
.LBB127_2708:
	s_or_b32 exec_lo, exec_lo, s14
	v_mov_b32_e32 v5, s15
	s_and_saveexec_b32 s14, s13
.LBB127_2709:
	v_lshrrev_b32_e32 v5, 24, v4
	s_delay_alu instid0(VALU_DEP_1)
	v_and_or_b32 v5, 0x80, v5, v3
.LBB127_2710:
	s_or_b32 exec_lo, exec_lo, s14
.LBB127_2711:
	s_delay_alu instid0(SALU_CYCLE_1)
	s_or_b32 exec_lo, exec_lo, s10
	global_store_b8 v[6:7], v5, off
.LBB127_2712:
	s_mov_b32 s10, -1
.LBB127_2713:
	s_mov_b32 s13, 0
.LBB127_2714:
	s_delay_alu instid0(SALU_CYCLE_1)
	s_and_b32 vcc_lo, exec_lo, s13
	s_cbranch_vccz .LBB127_2754
; %bb.2715:
	v_cmp_gt_i16_e64 s7, s3, 22
	s_delay_alu instid0(VALU_DEP_1)
	s_and_b32 vcc_lo, exec_lo, s7
	s_mov_b32 s7, -1
	s_cbranch_vccz .LBB127_2747
; %bb.2716:
	v_cmp_lt_i16_e64 s7, s3, 24
	s_delay_alu instid0(VALU_DEP_1)
	s_and_b32 vcc_lo, exec_lo, s7
	s_mov_b32 s7, -1
	s_cbranch_vccnz .LBB127_2736
; %bb.2717:
	v_cmp_gt_i16_e64 s7, s3, 24
	s_delay_alu instid0(VALU_DEP_1)
	s_and_b32 vcc_lo, exec_lo, s7
	s_mov_b32 s7, -1
	s_cbranch_vccz .LBB127_2725
; %bb.2718:
	v_and_b32_e32 v3, 0x7fffffff, v4
	v_mov_b32_e32 v5, 0x80
	s_mov_b32 s7, exec_lo
	s_delay_alu instid0(VALU_DEP_2)
	v_cmpx_gt_u32_e32 0x47800000, v3
	s_cbranch_execz .LBB127_2724
; %bb.2719:
	v_cmp_lt_u32_e32 vcc_lo, 0x37ffffff, v3
	s_mov_b32 s10, 0
                                        ; implicit-def: $vgpr3
	s_and_saveexec_b32 s13, vcc_lo
	s_delay_alu instid0(SALU_CYCLE_1)
	s_xor_b32 s13, exec_lo, s13
	s_cbranch_execz .LBB127_2813
; %bb.2720:
	v_bfe_u32 v3, v4, 21, 1
	s_mov_b32 s10, exec_lo
	s_delay_alu instid0(VALU_DEP_1) | instskip(NEXT) | instid1(VALU_DEP_1)
	v_add3_u32 v3, v4, v3, 0x88fffff
	v_lshrrev_b32_e32 v3, 21, v3
	s_or_saveexec_b32 s13, s13
                                        ; implicit-def: $sgpr14
	s_delay_alu instid0(SALU_CYCLE_1)
	s_xor_b32 exec_lo, exec_lo, s13
	s_cbranch_execnz .LBB127_2814
.LBB127_2721:
	s_or_b32 exec_lo, exec_lo, s13
	v_mov_b32_e32 v5, s14
	s_and_saveexec_b32 s13, s10
.LBB127_2722:
	v_lshrrev_b32_e32 v5, 24, v4
	s_delay_alu instid0(VALU_DEP_1)
	v_and_or_b32 v5, 0x80, v5, v3
.LBB127_2723:
	s_or_b32 exec_lo, exec_lo, s13
.LBB127_2724:
	s_delay_alu instid0(SALU_CYCLE_1)
	s_or_b32 exec_lo, exec_lo, s7
	s_mov_b32 s7, 0
	global_store_b8 v[6:7], v5, off
.LBB127_2725:
	s_and_b32 vcc_lo, exec_lo, s7
	s_cbranch_vccz .LBB127_2735
; %bb.2726:
	v_and_b32_e32 v5, 0x7fffffff, v4
	s_mov_b32 s7, exec_lo
                                        ; implicit-def: $vgpr3
	s_delay_alu instid0(VALU_DEP_1)
	v_cmpx_gt_u32_e32 0x43f00000, v5
	s_xor_b32 s7, exec_lo, s7
	s_cbranch_execz .LBB127_2732
; %bb.2727:
	s_mov_b32 s10, exec_lo
                                        ; implicit-def: $vgpr3
	v_cmpx_lt_u32_e32 0x3c7fffff, v5
	s_xor_b32 s10, exec_lo, s10
; %bb.2728:
	v_bfe_u32 v3, v4, 20, 1
	s_delay_alu instid0(VALU_DEP_1) | instskip(NEXT) | instid1(VALU_DEP_1)
	v_add3_u32 v3, v4, v3, 0x407ffff
	v_and_b32_e32 v5, 0xff00000, v3
	v_lshrrev_b32_e32 v3, 20, v3
	s_delay_alu instid0(VALU_DEP_2) | instskip(NEXT) | instid1(VALU_DEP_2)
	v_cmp_ne_u32_e32 vcc_lo, 0x7f00000, v5
	v_cndmask_b32_e32 v3, 0x7e, v3, vcc_lo
; %bb.2729:
	s_and_not1_saveexec_b32 s10, s10
; %bb.2730:
	v_add_f32_e64 v3, 0x46800000, |v4|
; %bb.2731:
	s_or_b32 exec_lo, exec_lo, s10
                                        ; implicit-def: $vgpr5
.LBB127_2732:
	s_and_not1_saveexec_b32 s7, s7
; %bb.2733:
	v_mov_b32_e32 v3, 0x7f
	v_cmp_lt_u32_e32 vcc_lo, 0x7f800000, v5
	s_delay_alu instid0(VALU_DEP_2)
	v_cndmask_b32_e32 v3, 0x7e, v3, vcc_lo
; %bb.2734:
	s_or_b32 exec_lo, exec_lo, s7
	v_lshrrev_b32_e32 v5, 24, v4
	s_delay_alu instid0(VALU_DEP_1)
	v_and_or_b32 v3, 0x80, v5, v3
	global_store_b8 v[6:7], v3, off
.LBB127_2735:
	s_mov_b32 s7, 0
.LBB127_2736:
	s_delay_alu instid0(SALU_CYCLE_1)
	s_and_not1_b32 vcc_lo, exec_lo, s7
	s_cbranch_vccnz .LBB127_2746
; %bb.2737:
	v_and_b32_e32 v5, 0x7fffffff, v4
	s_mov_b32 s7, exec_lo
                                        ; implicit-def: $vgpr3
	s_delay_alu instid0(VALU_DEP_1)
	v_cmpx_gt_u32_e32 0x47800000, v5
	s_xor_b32 s7, exec_lo, s7
	s_cbranch_execz .LBB127_2743
; %bb.2738:
	s_mov_b32 s10, exec_lo
                                        ; implicit-def: $vgpr3
	v_cmpx_lt_u32_e32 0x387fffff, v5
	s_xor_b32 s10, exec_lo, s10
; %bb.2739:
	v_bfe_u32 v3, v4, 21, 1
	s_delay_alu instid0(VALU_DEP_1) | instskip(NEXT) | instid1(VALU_DEP_1)
	v_add3_u32 v3, v4, v3, 0x80fffff
	v_lshrrev_b32_e32 v3, 21, v3
; %bb.2740:
	s_and_not1_saveexec_b32 s10, s10
; %bb.2741:
	v_add_f32_e64 v3, 0x43000000, |v4|
; %bb.2742:
	s_or_b32 exec_lo, exec_lo, s10
                                        ; implicit-def: $vgpr5
.LBB127_2743:
	s_and_not1_saveexec_b32 s7, s7
; %bb.2744:
	v_mov_b32_e32 v3, 0x7f
	v_cmp_lt_u32_e32 vcc_lo, 0x7f800000, v5
	s_delay_alu instid0(VALU_DEP_2)
	v_cndmask_b32_e32 v3, 0x7c, v3, vcc_lo
; %bb.2745:
	s_or_b32 exec_lo, exec_lo, s7
	v_lshrrev_b32_e32 v5, 24, v4
	s_delay_alu instid0(VALU_DEP_1)
	v_and_or_b32 v3, 0x80, v5, v3
	global_store_b8 v[6:7], v3, off
.LBB127_2746:
	s_mov_b32 s7, 0
	s_mov_b32 s10, -1
.LBB127_2747:
	s_and_not1_b32 vcc_lo, exec_lo, s7
	s_mov_b32 s7, 0
	s_cbranch_vccnz .LBB127_2754
; %bb.2748:
	v_cmp_gt_i16_e64 s7, s3, 14
	s_delay_alu instid0(VALU_DEP_1)
	s_and_b32 vcc_lo, exec_lo, s7
	s_mov_b32 s7, -1
	s_cbranch_vccz .LBB127_2752
; %bb.2749:
	v_cmp_eq_u16_e64 s0, s3, 15
	s_delay_alu instid0(VALU_DEP_1)
	s_and_b32 vcc_lo, exec_lo, s0
	s_mov_b32 s0, -1
	s_cbranch_vccz .LBB127_2751
; %bb.2750:
	v_bfe_u32 v3, v4, 16, 1
	v_cmp_o_f32_e32 vcc_lo, v4, v4
	s_mov_b32 s0, 0
	s_mov_b32 s10, -1
	s_delay_alu instid0(VALU_DEP_2) | instskip(NEXT) | instid1(VALU_DEP_1)
	v_add3_u32 v3, v4, v3, 0x7fff
	v_lshrrev_b32_e32 v3, 16, v3
	s_delay_alu instid0(VALU_DEP_1)
	v_cndmask_b32_e32 v3, 0x7fc0, v3, vcc_lo
	global_store_b16 v[6:7], v3, off
.LBB127_2751:
	s_mov_b32 s7, 0
.LBB127_2752:
	s_delay_alu instid0(SALU_CYCLE_1)
	s_and_b32 vcc_lo, exec_lo, s7
	s_mov_b32 s7, 0
	s_cbranch_vccz .LBB127_2754
; %bb.2753:
	v_cmp_ne_u16_e64 s0, s3, 11
	s_mov_b32 s7, -1
.LBB127_2754:
	s_delay_alu instid0(VALU_DEP_1)
	s_and_b32 vcc_lo, exec_lo, s0
	s_cbranch_vccnz .LBB127_2811
; %bb.2755:
	s_and_not1_b32 vcc_lo, exec_lo, s7
	s_cbranch_vccnz .LBB127_2757
.LBB127_2756:
	v_cmp_neq_f32_e32 vcc_lo, 0, v4
	s_mov_b32 s10, -1
	v_cndmask_b32_e64 v3, 0, 1, vcc_lo
	global_store_b8 v[6:7], v3, off
.LBB127_2757:
	s_mov_b32 s0, 0
.LBB127_2758:
	s_delay_alu instid0(SALU_CYCLE_1)
	s_and_b32 vcc_lo, exec_lo, s0
	s_cbranch_vccz .LBB127_2797
; %bb.2759:
	v_cmp_lt_i16_e64 s0, s3, 5
	s_delay_alu instid0(VALU_DEP_1)
	s_and_b32 vcc_lo, exec_lo, s0
	s_mov_b32 s0, -1
	s_cbranch_vccnz .LBB127_2780
; %bb.2760:
	v_cmp_lt_i16_e64 s0, s3, 8
	s_delay_alu instid0(VALU_DEP_1)
	s_and_b32 vcc_lo, exec_lo, s0
	s_mov_b32 s0, -1
	s_cbranch_vccnz .LBB127_2770
; %bb.2761:
	v_cmp_lt_i16_e64 s0, s3, 9
	s_delay_alu instid0(VALU_DEP_1)
	s_and_b32 vcc_lo, exec_lo, s0
	s_mov_b32 s0, -1
	s_cbranch_vccnz .LBB127_2767
; %bb.2762:
	v_cmp_gt_i16_e64 s0, s3, 9
	s_delay_alu instid0(VALU_DEP_1)
	s_and_b32 vcc_lo, exec_lo, s0
	s_mov_b32 s0, -1
	s_cbranch_vccz .LBB127_2764
; %bb.2763:
	v_cvt_f64_f32_e32 v[12:13], v4
	v_mov_b32_e32 v14, 0
	s_mov_b32 s0, 0
	s_delay_alu instid0(VALU_DEP_1)
	v_mov_b32_e32 v15, v14
	global_store_b128 v[6:7], v[12:15], off
.LBB127_2764:
	s_and_not1_b32 vcc_lo, exec_lo, s0
	s_cbranch_vccnz .LBB127_2766
; %bb.2765:
	v_mov_b32_e32 v5, 0
	global_store_b64 v[6:7], v[4:5], off
.LBB127_2766:
	s_mov_b32 s0, 0
.LBB127_2767:
	s_delay_alu instid0(SALU_CYCLE_1)
	s_and_not1_b32 vcc_lo, exec_lo, s0
	s_cbranch_vccnz .LBB127_2769
; %bb.2768:
	v_cvt_f16_f32_e32 v3, v4
	s_delay_alu instid0(VALU_DEP_1)
	v_and_b32_e32 v3, 0xffff, v3
	global_store_b32 v[6:7], v3, off
.LBB127_2769:
	s_mov_b32 s0, 0
.LBB127_2770:
	s_delay_alu instid0(SALU_CYCLE_1)
	s_and_not1_b32 vcc_lo, exec_lo, s0
	s_cbranch_vccnz .LBB127_2779
; %bb.2771:
	v_cmp_lt_i16_e64 s0, s3, 6
	s_delay_alu instid0(VALU_DEP_1)
	s_and_b32 vcc_lo, exec_lo, s0
	s_mov_b32 s0, -1
	s_cbranch_vccnz .LBB127_2777
; %bb.2772:
	v_cmp_gt_i16_e64 s0, s3, 6
	s_delay_alu instid0(VALU_DEP_1)
	s_and_b32 vcc_lo, exec_lo, s0
	s_mov_b32 s0, -1
	s_cbranch_vccz .LBB127_2774
; %bb.2773:
	v_cvt_f64_f32_e32 v[12:13], v4
	s_mov_b32 s0, 0
	global_store_b64 v[6:7], v[12:13], off
.LBB127_2774:
	s_and_not1_b32 vcc_lo, exec_lo, s0
	s_cbranch_vccnz .LBB127_2776
; %bb.2775:
	global_store_b32 v[6:7], v4, off
.LBB127_2776:
	s_mov_b32 s0, 0
.LBB127_2777:
	s_delay_alu instid0(SALU_CYCLE_1)
	s_and_not1_b32 vcc_lo, exec_lo, s0
	s_cbranch_vccnz .LBB127_2779
; %bb.2778:
	v_cvt_f16_f32_e32 v3, v4
	global_store_b16 v[6:7], v3, off
.LBB127_2779:
	s_mov_b32 s0, 0
.LBB127_2780:
	s_delay_alu instid0(SALU_CYCLE_1)
	s_and_not1_b32 vcc_lo, exec_lo, s0
	s_cbranch_vccnz .LBB127_2796
; %bb.2781:
	v_cmp_lt_i16_e64 s0, s3, 2
	s_delay_alu instid0(VALU_DEP_1)
	s_and_b32 vcc_lo, exec_lo, s0
	s_mov_b32 s0, -1
	s_cbranch_vccnz .LBB127_2791
; %bb.2782:
	v_cmp_lt_i16_e64 s0, s3, 3
	s_delay_alu instid0(VALU_DEP_1)
	s_and_b32 vcc_lo, exec_lo, s0
	s_mov_b32 s0, -1
	s_cbranch_vccnz .LBB127_2788
; %bb.2783:
	v_cmp_gt_i16_e64 s0, s3, 3
	s_delay_alu instid0(VALU_DEP_1)
	s_and_b32 vcc_lo, exec_lo, s0
	s_mov_b32 s0, -1
	s_cbranch_vccz .LBB127_2785
; %bb.2784:
	v_trunc_f32_e32 v3, v4
	s_mov_b32 s0, 0
	s_delay_alu instid0(VALU_DEP_1) | instskip(NEXT) | instid1(VALU_DEP_1)
	v_mul_f32_e64 v5, 0x2f800000, |v3|
	v_floor_f32_e32 v5, v5
	s_delay_alu instid0(VALU_DEP_1) | instskip(SKIP_2) | instid1(VALU_DEP_3)
	v_fma_f32 v10, 0xcf800000, v5, |v3|
	v_ashrrev_i32_e32 v3, 31, v3
	v_cvt_u32_f32_e32 v5, v5
	v_cvt_u32_f32_e32 v10, v10
	s_delay_alu instid0(VALU_DEP_2) | instskip(NEXT) | instid1(VALU_DEP_2)
	v_xor_b32_e32 v5, v5, v3
	v_xor_b32_e32 v10, v10, v3
	s_delay_alu instid0(VALU_DEP_1) | instskip(NEXT) | instid1(VALU_DEP_3)
	v_sub_co_u32 v12, vcc_lo, v10, v3
	v_sub_co_ci_u32_e32 v13, vcc_lo, v5, v3, vcc_lo
	global_store_b64 v[6:7], v[12:13], off
.LBB127_2785:
	s_and_not1_b32 vcc_lo, exec_lo, s0
	s_cbranch_vccnz .LBB127_2787
; %bb.2786:
	v_cvt_i32_f32_e32 v3, v4
	global_store_b32 v[6:7], v3, off
.LBB127_2787:
	s_mov_b32 s0, 0
.LBB127_2788:
	s_delay_alu instid0(SALU_CYCLE_1)
	s_and_not1_b32 vcc_lo, exec_lo, s0
	s_cbranch_vccnz .LBB127_2790
; %bb.2789:
	v_cvt_i32_f32_e32 v3, v4
	global_store_b16 v[6:7], v3, off
.LBB127_2790:
	s_mov_b32 s0, 0
.LBB127_2791:
	s_delay_alu instid0(SALU_CYCLE_1)
	s_and_not1_b32 vcc_lo, exec_lo, s0
	s_cbranch_vccnz .LBB127_2796
; %bb.2792:
	v_cmp_gt_i16_e64 s0, s3, 0
	s_delay_alu instid0(VALU_DEP_1)
	s_and_b32 vcc_lo, exec_lo, s0
	s_mov_b32 s0, -1
	s_cbranch_vccz .LBB127_2794
; %bb.2793:
	v_cvt_i32_f32_e32 v3, v4
	s_mov_b32 s0, 0
	global_store_b8 v[6:7], v3, off
.LBB127_2794:
	s_and_not1_b32 vcc_lo, exec_lo, s0
	s_cbranch_vccnz .LBB127_2796
; %bb.2795:
	v_trunc_f32_e32 v3, v4
	s_delay_alu instid0(VALU_DEP_1) | instskip(NEXT) | instid1(VALU_DEP_1)
	v_mul_f32_e64 v4, 0x2f800000, |v3|
	v_floor_f32_e32 v4, v4
	s_delay_alu instid0(VALU_DEP_1) | instskip(SKIP_1) | instid1(VALU_DEP_2)
	v_fma_f32 v4, 0xcf800000, v4, |v3|
	v_ashrrev_i32_e32 v3, 31, v3
	v_cvt_u32_f32_e32 v4, v4
	s_delay_alu instid0(VALU_DEP_1) | instskip(NEXT) | instid1(VALU_DEP_1)
	v_xor_b32_e32 v4, v4, v3
	v_sub_nc_u32_e32 v3, v4, v3
	global_store_b8 v[6:7], v3, off
.LBB127_2796:
	s_mov_b32 s10, -1
.LBB127_2797:
	s_delay_alu instid0(SALU_CYCLE_1)
	s_and_not1_b32 vcc_lo, exec_lo, s10
	s_cbranch_vccnz .LBB127_3064
; %bb.2798:
	v_cndmask_b32_e64 v3, 0, 1.0, s11
	v_cmp_lt_i16_e64 s0, s3, 11
	v_add_co_u32 v2, s7, s4, v2
	s_mov_b32 s10, 0
	s_delay_alu instid0(VALU_DEP_3) | instskip(SKIP_3) | instid1(VALU_DEP_2)
	v_mul_f32_e32 v4, v11, v3
	v_add_co_ci_u32_e64 v3, null, s5, 0, s7
	s_and_b32 vcc_lo, exec_lo, s0
	s_mov_b32 s0, -1
	v_mul_f32_e32 v4, s2, v4
	s_cbranch_vccnz .LBB127_2887
; %bb.2799:
	v_cmp_gt_i16_e64 s0, s3, 25
	s_mov_b32 s11, -1
	s_mov_b32 s7, 0
	s_delay_alu instid0(VALU_DEP_1)
	s_and_b32 vcc_lo, exec_lo, s0
	s_mov_b32 s0, 0
	s_cbranch_vccz .LBB127_2843
; %bb.2800:
	v_cmp_gt_i16_e64 s0, s3, 28
	s_delay_alu instid0(VALU_DEP_1)
	s_and_b32 vcc_lo, exec_lo, s0
	s_cbranch_vccz .LBB127_2805
; %bb.2801:
	v_cmp_gt_i16_e64 s0, s3, 43
	s_delay_alu instid0(VALU_DEP_1)
	s_and_b32 vcc_lo, exec_lo, s0
	;; [unrolled: 5-line block ×3, first 2 shown]
	s_cbranch_vccz .LBB127_2815
; %bb.2803:
	v_cmp_eq_u16_e64 s10, s3, 46
	s_mov_b32 s0, -1
	s_mov_b32 s11, 0
	s_delay_alu instid0(VALU_DEP_1)
	s_and_b32 vcc_lo, exec_lo, s10
	s_mov_b32 s10, 0
	s_cbranch_vccz .LBB127_2816
; %bb.2804:
	v_bfe_u32 v5, v4, 16, 1
	v_cmp_o_f32_e32 vcc_lo, v4, v4
	s_mov_b32 s0, 0
	s_mov_b32 s10, -1
	s_delay_alu instid0(VALU_DEP_2) | instskip(NEXT) | instid1(VALU_DEP_1)
	v_add3_u32 v5, v4, v5, 0x7fff
	v_lshrrev_b32_e32 v5, 16, v5
	s_delay_alu instid0(VALU_DEP_1)
	v_cndmask_b32_e32 v5, 0x7fc0, v5, vcc_lo
	global_store_b32 v[2:3], v5, off
	s_branch .LBB127_2816
.LBB127_2805:
	s_mov_b32 s0, 0
	s_branch .LBB127_2826
.LBB127_2806:
	s_or_saveexec_b32 s14, s14
                                        ; implicit-def: $sgpr15
	s_delay_alu instid0(SALU_CYCLE_1)
	s_xor_b32 exec_lo, exec_lo, s14
	s_cbranch_execz .LBB127_2708
.LBB127_2807:
	v_add_f32_e64 v3, 0x46000000, |v4|
	s_and_not1_b32 s13, s13, exec_lo
	s_mov_b32 s15, 0
	s_delay_alu instid0(VALU_DEP_1) | instskip(NEXT) | instid1(VALU_DEP_1)
	v_and_b32_e32 v3, 0xff, v3
	v_cmp_ne_u32_e32 vcc_lo, 0, v3
	s_and_b32 s16, vcc_lo, exec_lo
	s_delay_alu instid0(SALU_CYCLE_1)
	s_or_b32 s13, s13, s16
	s_or_b32 exec_lo, exec_lo, s14
	v_mov_b32_e32 v5, s15
	s_and_saveexec_b32 s14, s13
	s_cbranch_execnz .LBB127_2709
	s_branch .LBB127_2710
.LBB127_2808:
	s_mov_b32 s0, 0
	s_branch .LBB127_2822
.LBB127_2809:
	s_trap 2
	s_sendmsg_rtn_b32 s0, sendmsg(MSG_RTN_GET_DOORBELL)
	s_mov_b32 ttmp2, m0
	s_waitcnt lgkmcnt(0)
	s_and_b32 s0, s0, 0x3ff
	s_delay_alu instid0(SALU_CYCLE_1) | instskip(NEXT) | instid1(SALU_CYCLE_1)
	s_bitset1_b32 s0, 10
	s_mov_b32 m0, s0
	s_sendmsg sendmsg(MSG_INTERRUPT)
	s_mov_b32 m0, ttmp2
.LBB127_2810:                           ; =>This Inner Loop Header: Depth=1
	s_sethalt 5
	s_branch .LBB127_2810
.LBB127_2811:
	s_cbranch_execnz .LBB127_2938
; %bb.2812:
	s_or_b32 s1, s1, exec_lo
	s_cbranch_execz .LBB127_2756
	s_branch .LBB127_2757
.LBB127_2813:
	s_or_saveexec_b32 s13, s13
                                        ; implicit-def: $sgpr14
	s_delay_alu instid0(SALU_CYCLE_1)
	s_xor_b32 exec_lo, exec_lo, s13
	s_cbranch_execz .LBB127_2721
.LBB127_2814:
	v_add_f32_e64 v3, 0x42800000, |v4|
	s_and_not1_b32 s10, s10, exec_lo
	s_mov_b32 s14, 0
	s_delay_alu instid0(VALU_DEP_1) | instskip(NEXT) | instid1(VALU_DEP_1)
	v_and_b32_e32 v3, 0xff, v3
	v_cmp_ne_u32_e32 vcc_lo, 0, v3
	s_and_b32 s15, vcc_lo, exec_lo
	s_delay_alu instid0(SALU_CYCLE_1)
	s_or_b32 s10, s10, s15
	s_or_b32 exec_lo, exec_lo, s13
	v_mov_b32_e32 v5, s14
	s_and_saveexec_b32 s13, s10
	s_cbranch_execnz .LBB127_2722
	s_branch .LBB127_2723
.LBB127_2815:
	s_mov_b32 s0, 0
.LBB127_2816:
	s_and_b32 vcc_lo, exec_lo, s11
	s_cbranch_vccz .LBB127_2821
; %bb.2817:
	v_cmp_eq_u16_e64 s0, s3, 44
	s_delay_alu instid0(VALU_DEP_1)
	s_and_b32 vcc_lo, exec_lo, s0
	s_mov_b32 s0, -1
	s_cbranch_vccz .LBB127_2821
; %bb.2818:
	v_bfe_u32 v6, v4, 23, 8
	v_mov_b32_e32 v5, 0xff
	s_mov_b32 s10, exec_lo
	s_delay_alu instid0(VALU_DEP_2)
	v_cmpx_ne_u32_e32 0xff, v6
; %bb.2819:
	v_and_b32_e32 v5, 0x400000, v4
	v_and_or_b32 v6, 0x3fffff, v4, v6
	s_delay_alu instid0(VALU_DEP_2) | instskip(NEXT) | instid1(VALU_DEP_2)
	v_cmp_ne_u32_e32 vcc_lo, 0, v5
	v_cmp_ne_u32_e64 s0, 0, v6
	v_lshrrev_b32_e32 v5, 23, v4
	s_delay_alu instid0(VALU_DEP_2) | instskip(NEXT) | instid1(SALU_CYCLE_1)
	s_and_b32 s0, vcc_lo, s0
	v_cndmask_b32_e64 v6, 0, 1, s0
	s_delay_alu instid0(VALU_DEP_1)
	v_add_nc_u32_e32 v5, v5, v6
; %bb.2820:
	s_or_b32 exec_lo, exec_lo, s10
	s_mov_b32 s0, 0
	s_mov_b32 s10, -1
	global_store_b8 v[2:3], v5, off
.LBB127_2821:
	s_mov_b32 s11, 0
.LBB127_2822:
	s_delay_alu instid0(SALU_CYCLE_1)
	s_and_b32 vcc_lo, exec_lo, s11
	s_cbranch_vccz .LBB127_2825
; %bb.2823:
	v_cmp_eq_u16_e64 s0, s3, 29
	s_delay_alu instid0(VALU_DEP_1)
	s_and_b32 vcc_lo, exec_lo, s0
	s_mov_b32 s0, -1
	s_cbranch_vccz .LBB127_2825
; %bb.2824:
	v_trunc_f32_e32 v5, v4
	s_mov_b32 s0, 0
	s_mov_b32 s10, -1
	s_mov_b32 s11, 0
	s_delay_alu instid0(VALU_DEP_1) | instskip(NEXT) | instid1(VALU_DEP_1)
	v_mul_f32_e32 v6, 0x2f800000, v5
	v_floor_f32_e32 v6, v6
	s_delay_alu instid0(VALU_DEP_1) | instskip(SKIP_1) | instid1(VALU_DEP_2)
	v_fmamk_f32 v5, v6, 0xcf800000, v5
	v_cvt_u32_f32_e32 v6, v6
	v_cvt_u32_f32_e32 v5, v5
	global_store_b64 v[2:3], v[5:6], off
	s_branch .LBB127_2826
.LBB127_2825:
	s_mov_b32 s11, 0
.LBB127_2826:
	s_delay_alu instid0(SALU_CYCLE_1)
	s_and_b32 vcc_lo, exec_lo, s11
	s_cbranch_vccz .LBB127_2842
; %bb.2827:
	v_cmp_lt_i16_e64 s10, s3, 27
	s_delay_alu instid0(VALU_DEP_1)
	s_and_b32 vcc_lo, exec_lo, s10
	s_mov_b32 s10, -1
	s_cbranch_vccnz .LBB127_2833
; %bb.2828:
	v_cmp_gt_i16_e64 s10, s3, 27
	v_cvt_u32_f32_e32 v5, v4
	s_delay_alu instid0(VALU_DEP_2)
	s_and_b32 vcc_lo, exec_lo, s10
	s_mov_b32 s10, -1
	s_cbranch_vccz .LBB127_2830
; %bb.2829:
	s_mov_b32 s10, 0
	global_store_b32 v[2:3], v5, off
.LBB127_2830:
	s_and_not1_b32 vcc_lo, exec_lo, s10
	s_cbranch_vccnz .LBB127_2832
; %bb.2831:
	global_store_b16 v[2:3], v5, off
.LBB127_2832:
	s_mov_b32 s10, 0
.LBB127_2833:
	s_delay_alu instid0(SALU_CYCLE_1)
	s_and_not1_b32 vcc_lo, exec_lo, s10
	s_cbranch_vccnz .LBB127_2841
; %bb.2834:
	v_and_b32_e32 v5, 0x7fffffff, v4
	v_mov_b32_e32 v6, 0x80
	s_mov_b32 s10, exec_lo
	s_delay_alu instid0(VALU_DEP_2)
	v_cmpx_gt_u32_e32 0x43800000, v5
	s_cbranch_execz .LBB127_2840
; %bb.2835:
	v_cmp_lt_u32_e32 vcc_lo, 0x3bffffff, v5
	s_mov_b32 s11, 0
                                        ; implicit-def: $vgpr5
	s_and_saveexec_b32 s13, vcc_lo
	s_delay_alu instid0(SALU_CYCLE_1)
	s_xor_b32 s13, exec_lo, s13
	s_cbranch_execz .LBB127_2935
; %bb.2836:
	v_bfe_u32 v5, v4, 20, 1
	s_mov_b32 s11, exec_lo
	s_delay_alu instid0(VALU_DEP_1) | instskip(NEXT) | instid1(VALU_DEP_1)
	v_add3_u32 v5, v4, v5, 0x487ffff
	v_lshrrev_b32_e32 v5, 20, v5
	s_or_saveexec_b32 s13, s13
                                        ; implicit-def: $sgpr14
	s_delay_alu instid0(SALU_CYCLE_1)
	s_xor_b32 exec_lo, exec_lo, s13
	s_cbranch_execnz .LBB127_2936
.LBB127_2837:
	s_or_b32 exec_lo, exec_lo, s13
	v_mov_b32_e32 v6, s14
	s_and_saveexec_b32 s13, s11
.LBB127_2838:
	v_lshrrev_b32_e32 v6, 24, v4
	s_delay_alu instid0(VALU_DEP_1)
	v_and_or_b32 v6, 0x80, v6, v5
.LBB127_2839:
	s_or_b32 exec_lo, exec_lo, s13
.LBB127_2840:
	s_delay_alu instid0(SALU_CYCLE_1)
	s_or_b32 exec_lo, exec_lo, s10
	global_store_b8 v[2:3], v6, off
.LBB127_2841:
	s_mov_b32 s10, -1
.LBB127_2842:
	s_mov_b32 s11, 0
.LBB127_2843:
	s_delay_alu instid0(SALU_CYCLE_1)
	s_and_b32 vcc_lo, exec_lo, s11
	s_cbranch_vccz .LBB127_2883
; %bb.2844:
	v_cmp_gt_i16_e64 s7, s3, 22
	s_delay_alu instid0(VALU_DEP_1)
	s_and_b32 vcc_lo, exec_lo, s7
	s_mov_b32 s7, -1
	s_cbranch_vccz .LBB127_2876
; %bb.2845:
	v_cmp_lt_i16_e64 s7, s3, 24
	s_delay_alu instid0(VALU_DEP_1)
	s_and_b32 vcc_lo, exec_lo, s7
	s_mov_b32 s7, -1
	s_cbranch_vccnz .LBB127_2865
; %bb.2846:
	v_cmp_gt_i16_e64 s7, s3, 24
	s_delay_alu instid0(VALU_DEP_1)
	s_and_b32 vcc_lo, exec_lo, s7
	s_mov_b32 s7, -1
	s_cbranch_vccz .LBB127_2854
; %bb.2847:
	v_and_b32_e32 v5, 0x7fffffff, v4
	v_mov_b32_e32 v6, 0x80
	s_mov_b32 s7, exec_lo
	s_delay_alu instid0(VALU_DEP_2)
	v_cmpx_gt_u32_e32 0x47800000, v5
	s_cbranch_execz .LBB127_2853
; %bb.2848:
	v_cmp_lt_u32_e32 vcc_lo, 0x37ffffff, v5
	s_mov_b32 s10, 0
                                        ; implicit-def: $vgpr5
	s_and_saveexec_b32 s11, vcc_lo
	s_delay_alu instid0(SALU_CYCLE_1)
	s_xor_b32 s11, exec_lo, s11
	s_cbranch_execz .LBB127_2942
; %bb.2849:
	v_bfe_u32 v5, v4, 21, 1
	s_mov_b32 s10, exec_lo
	s_delay_alu instid0(VALU_DEP_1) | instskip(NEXT) | instid1(VALU_DEP_1)
	v_add3_u32 v5, v4, v5, 0x88fffff
	v_lshrrev_b32_e32 v5, 21, v5
	s_or_saveexec_b32 s11, s11
                                        ; implicit-def: $sgpr13
	s_delay_alu instid0(SALU_CYCLE_1)
	s_xor_b32 exec_lo, exec_lo, s11
	s_cbranch_execnz .LBB127_2943
.LBB127_2850:
	s_or_b32 exec_lo, exec_lo, s11
	v_mov_b32_e32 v6, s13
	s_and_saveexec_b32 s11, s10
.LBB127_2851:
	v_lshrrev_b32_e32 v6, 24, v4
	s_delay_alu instid0(VALU_DEP_1)
	v_and_or_b32 v6, 0x80, v6, v5
.LBB127_2852:
	s_or_b32 exec_lo, exec_lo, s11
.LBB127_2853:
	s_delay_alu instid0(SALU_CYCLE_1)
	s_or_b32 exec_lo, exec_lo, s7
	s_mov_b32 s7, 0
	global_store_b8 v[2:3], v6, off
.LBB127_2854:
	s_and_b32 vcc_lo, exec_lo, s7
	s_cbranch_vccz .LBB127_2864
; %bb.2855:
	v_and_b32_e32 v6, 0x7fffffff, v4
	s_mov_b32 s7, exec_lo
                                        ; implicit-def: $vgpr5
	s_delay_alu instid0(VALU_DEP_1)
	v_cmpx_gt_u32_e32 0x43f00000, v6
	s_xor_b32 s7, exec_lo, s7
	s_cbranch_execz .LBB127_2861
; %bb.2856:
	s_mov_b32 s10, exec_lo
                                        ; implicit-def: $vgpr5
	v_cmpx_lt_u32_e32 0x3c7fffff, v6
	s_xor_b32 s10, exec_lo, s10
; %bb.2857:
	v_bfe_u32 v5, v4, 20, 1
	s_delay_alu instid0(VALU_DEP_1) | instskip(NEXT) | instid1(VALU_DEP_1)
	v_add3_u32 v5, v4, v5, 0x407ffff
	v_and_b32_e32 v6, 0xff00000, v5
	v_lshrrev_b32_e32 v5, 20, v5
	s_delay_alu instid0(VALU_DEP_2) | instskip(NEXT) | instid1(VALU_DEP_2)
	v_cmp_ne_u32_e32 vcc_lo, 0x7f00000, v6
	v_cndmask_b32_e32 v5, 0x7e, v5, vcc_lo
; %bb.2858:
	s_and_not1_saveexec_b32 s10, s10
; %bb.2859:
	v_add_f32_e64 v5, 0x46800000, |v4|
; %bb.2860:
	s_or_b32 exec_lo, exec_lo, s10
                                        ; implicit-def: $vgpr6
.LBB127_2861:
	s_and_not1_saveexec_b32 s7, s7
; %bb.2862:
	v_mov_b32_e32 v5, 0x7f
	v_cmp_lt_u32_e32 vcc_lo, 0x7f800000, v6
	s_delay_alu instid0(VALU_DEP_2)
	v_cndmask_b32_e32 v5, 0x7e, v5, vcc_lo
; %bb.2863:
	s_or_b32 exec_lo, exec_lo, s7
	v_lshrrev_b32_e32 v6, 24, v4
	s_delay_alu instid0(VALU_DEP_1)
	v_and_or_b32 v5, 0x80, v6, v5
	global_store_b8 v[2:3], v5, off
.LBB127_2864:
	s_mov_b32 s7, 0
.LBB127_2865:
	s_delay_alu instid0(SALU_CYCLE_1)
	s_and_not1_b32 vcc_lo, exec_lo, s7
	s_cbranch_vccnz .LBB127_2875
; %bb.2866:
	v_and_b32_e32 v6, 0x7fffffff, v4
	s_mov_b32 s7, exec_lo
                                        ; implicit-def: $vgpr5
	s_delay_alu instid0(VALU_DEP_1)
	v_cmpx_gt_u32_e32 0x47800000, v6
	s_xor_b32 s7, exec_lo, s7
	s_cbranch_execz .LBB127_2872
; %bb.2867:
	s_mov_b32 s10, exec_lo
                                        ; implicit-def: $vgpr5
	v_cmpx_lt_u32_e32 0x387fffff, v6
	s_xor_b32 s10, exec_lo, s10
; %bb.2868:
	v_bfe_u32 v5, v4, 21, 1
	s_delay_alu instid0(VALU_DEP_1) | instskip(NEXT) | instid1(VALU_DEP_1)
	v_add3_u32 v5, v4, v5, 0x80fffff
	v_lshrrev_b32_e32 v5, 21, v5
; %bb.2869:
	s_and_not1_saveexec_b32 s10, s10
; %bb.2870:
	v_add_f32_e64 v5, 0x43000000, |v4|
; %bb.2871:
	s_or_b32 exec_lo, exec_lo, s10
                                        ; implicit-def: $vgpr6
.LBB127_2872:
	s_and_not1_saveexec_b32 s7, s7
; %bb.2873:
	v_mov_b32_e32 v5, 0x7f
	v_cmp_lt_u32_e32 vcc_lo, 0x7f800000, v6
	s_delay_alu instid0(VALU_DEP_2)
	v_cndmask_b32_e32 v5, 0x7c, v5, vcc_lo
; %bb.2874:
	s_or_b32 exec_lo, exec_lo, s7
	v_lshrrev_b32_e32 v6, 24, v4
	s_delay_alu instid0(VALU_DEP_1)
	v_and_or_b32 v5, 0x80, v6, v5
	global_store_b8 v[2:3], v5, off
.LBB127_2875:
	s_mov_b32 s7, 0
	s_mov_b32 s10, -1
.LBB127_2876:
	s_and_not1_b32 vcc_lo, exec_lo, s7
	s_mov_b32 s7, 0
	s_cbranch_vccnz .LBB127_2883
; %bb.2877:
	v_cmp_gt_i16_e64 s7, s3, 14
	s_delay_alu instid0(VALU_DEP_1)
	s_and_b32 vcc_lo, exec_lo, s7
	s_mov_b32 s7, -1
	s_cbranch_vccz .LBB127_2881
; %bb.2878:
	v_cmp_eq_u16_e64 s0, s3, 15
	s_delay_alu instid0(VALU_DEP_1)
	s_and_b32 vcc_lo, exec_lo, s0
	s_mov_b32 s0, -1
	s_cbranch_vccz .LBB127_2880
; %bb.2879:
	v_bfe_u32 v5, v4, 16, 1
	v_cmp_o_f32_e32 vcc_lo, v4, v4
	s_mov_b32 s0, 0
	s_mov_b32 s10, -1
	s_delay_alu instid0(VALU_DEP_2) | instskip(NEXT) | instid1(VALU_DEP_1)
	v_add3_u32 v5, v4, v5, 0x7fff
	v_lshrrev_b32_e32 v5, 16, v5
	s_delay_alu instid0(VALU_DEP_1)
	v_cndmask_b32_e32 v5, 0x7fc0, v5, vcc_lo
	global_store_b16 v[2:3], v5, off
.LBB127_2880:
	s_mov_b32 s7, 0
.LBB127_2881:
	s_delay_alu instid0(SALU_CYCLE_1)
	s_and_b32 vcc_lo, exec_lo, s7
	s_mov_b32 s7, 0
	s_cbranch_vccz .LBB127_2883
; %bb.2882:
	v_cmp_ne_u16_e64 s0, s3, 11
	s_mov_b32 s7, -1
.LBB127_2883:
	s_delay_alu instid0(VALU_DEP_1)
	s_and_b32 vcc_lo, exec_lo, s0
	s_cbranch_vccnz .LBB127_2940
; %bb.2884:
	s_and_not1_b32 vcc_lo, exec_lo, s7
	s_cbranch_vccnz .LBB127_2886
.LBB127_2885:
	v_cmp_neq_f32_e32 vcc_lo, 0, v4
	s_mov_b32 s10, -1
	v_cndmask_b32_e64 v5, 0, 1, vcc_lo
	global_store_b8 v[2:3], v5, off
.LBB127_2886:
	s_mov_b32 s0, 0
.LBB127_2887:
	s_delay_alu instid0(SALU_CYCLE_1)
	s_and_b32 vcc_lo, exec_lo, s0
	s_cbranch_vccz .LBB127_2926
; %bb.2888:
	v_cmp_lt_i16_e64 s0, s3, 5
	s_delay_alu instid0(VALU_DEP_1)
	s_and_b32 vcc_lo, exec_lo, s0
	s_mov_b32 s0, -1
	s_cbranch_vccnz .LBB127_2909
; %bb.2889:
	v_cmp_lt_i16_e64 s0, s3, 8
	s_delay_alu instid0(VALU_DEP_1)
	s_and_b32 vcc_lo, exec_lo, s0
	s_mov_b32 s0, -1
	s_cbranch_vccnz .LBB127_2899
	;; [unrolled: 6-line block ×3, first 2 shown]
; %bb.2891:
	v_cmp_gt_i16_e64 s0, s3, 9
	s_delay_alu instid0(VALU_DEP_1)
	s_and_b32 vcc_lo, exec_lo, s0
	s_mov_b32 s0, -1
	s_cbranch_vccz .LBB127_2893
; %bb.2892:
	v_cvt_f64_f32_e32 v[10:11], v4
	v_mov_b32_e32 v12, 0
	s_mov_b32 s0, 0
	s_delay_alu instid0(VALU_DEP_1)
	v_mov_b32_e32 v13, v12
	global_store_b128 v[2:3], v[10:13], off
.LBB127_2893:
	s_and_not1_b32 vcc_lo, exec_lo, s0
	s_cbranch_vccnz .LBB127_2895
; %bb.2894:
	v_mov_b32_e32 v5, 0
	global_store_b64 v[2:3], v[4:5], off
.LBB127_2895:
	s_mov_b32 s0, 0
.LBB127_2896:
	s_delay_alu instid0(SALU_CYCLE_1)
	s_and_not1_b32 vcc_lo, exec_lo, s0
	s_cbranch_vccnz .LBB127_2898
; %bb.2897:
	v_cvt_f16_f32_e32 v5, v4
	s_delay_alu instid0(VALU_DEP_1)
	v_and_b32_e32 v5, 0xffff, v5
	global_store_b32 v[2:3], v5, off
.LBB127_2898:
	s_mov_b32 s0, 0
.LBB127_2899:
	s_delay_alu instid0(SALU_CYCLE_1)
	s_and_not1_b32 vcc_lo, exec_lo, s0
	s_cbranch_vccnz .LBB127_2908
; %bb.2900:
	v_cmp_lt_i16_e64 s0, s3, 6
	s_delay_alu instid0(VALU_DEP_1)
	s_and_b32 vcc_lo, exec_lo, s0
	s_mov_b32 s0, -1
	s_cbranch_vccnz .LBB127_2906
; %bb.2901:
	v_cmp_gt_i16_e64 s0, s3, 6
	s_delay_alu instid0(VALU_DEP_1)
	s_and_b32 vcc_lo, exec_lo, s0
	s_mov_b32 s0, -1
	s_cbranch_vccz .LBB127_2903
; %bb.2902:
	v_cvt_f64_f32_e32 v[5:6], v4
	s_mov_b32 s0, 0
	global_store_b64 v[2:3], v[5:6], off
.LBB127_2903:
	s_and_not1_b32 vcc_lo, exec_lo, s0
	s_cbranch_vccnz .LBB127_2905
; %bb.2904:
	global_store_b32 v[2:3], v4, off
.LBB127_2905:
	s_mov_b32 s0, 0
.LBB127_2906:
	s_delay_alu instid0(SALU_CYCLE_1)
	s_and_not1_b32 vcc_lo, exec_lo, s0
	s_cbranch_vccnz .LBB127_2908
; %bb.2907:
	v_cvt_f16_f32_e32 v5, v4
	global_store_b16 v[2:3], v5, off
.LBB127_2908:
	s_mov_b32 s0, 0
.LBB127_2909:
	s_delay_alu instid0(SALU_CYCLE_1)
	s_and_not1_b32 vcc_lo, exec_lo, s0
	s_cbranch_vccnz .LBB127_2925
; %bb.2910:
	v_cmp_lt_i16_e64 s0, s3, 2
	s_delay_alu instid0(VALU_DEP_1)
	s_and_b32 vcc_lo, exec_lo, s0
	s_mov_b32 s0, -1
	s_cbranch_vccnz .LBB127_2920
; %bb.2911:
	v_cmp_lt_i16_e64 s0, s3, 3
	s_delay_alu instid0(VALU_DEP_1)
	s_and_b32 vcc_lo, exec_lo, s0
	s_mov_b32 s0, -1
	s_cbranch_vccnz .LBB127_2917
; %bb.2912:
	v_cmp_gt_i16_e64 s0, s3, 3
	s_delay_alu instid0(VALU_DEP_1)
	s_and_b32 vcc_lo, exec_lo, s0
	s_mov_b32 s0, -1
	s_cbranch_vccz .LBB127_2914
; %bb.2913:
	v_trunc_f32_e32 v5, v4
	s_mov_b32 s0, 0
	s_delay_alu instid0(VALU_DEP_1) | instskip(SKIP_1) | instid1(VALU_DEP_2)
	v_mul_f32_e64 v6, 0x2f800000, |v5|
	v_ashrrev_i32_e32 v10, 31, v5
	v_floor_f32_e32 v6, v6
	s_delay_alu instid0(VALU_DEP_1) | instskip(SKIP_1) | instid1(VALU_DEP_2)
	v_fma_f32 v7, 0xcf800000, v6, |v5|
	v_cvt_u32_f32_e32 v6, v6
	v_cvt_u32_f32_e32 v5, v7
	s_delay_alu instid0(VALU_DEP_2) | instskip(NEXT) | instid1(VALU_DEP_2)
	v_xor_b32_e32 v6, v6, v10
	v_xor_b32_e32 v5, v5, v10
	s_delay_alu instid0(VALU_DEP_1) | instskip(NEXT) | instid1(VALU_DEP_3)
	v_sub_co_u32 v5, vcc_lo, v5, v10
	v_sub_co_ci_u32_e32 v6, vcc_lo, v6, v10, vcc_lo
	global_store_b64 v[2:3], v[5:6], off
.LBB127_2914:
	s_and_not1_b32 vcc_lo, exec_lo, s0
	s_cbranch_vccnz .LBB127_2916
; %bb.2915:
	v_cvt_i32_f32_e32 v5, v4
	global_store_b32 v[2:3], v5, off
.LBB127_2916:
	s_mov_b32 s0, 0
.LBB127_2917:
	s_delay_alu instid0(SALU_CYCLE_1)
	s_and_not1_b32 vcc_lo, exec_lo, s0
	s_cbranch_vccnz .LBB127_2919
; %bb.2918:
	v_cvt_i32_f32_e32 v5, v4
	global_store_b16 v[2:3], v5, off
.LBB127_2919:
	s_mov_b32 s0, 0
.LBB127_2920:
	s_delay_alu instid0(SALU_CYCLE_1)
	s_and_not1_b32 vcc_lo, exec_lo, s0
	s_cbranch_vccnz .LBB127_2925
; %bb.2921:
	v_cmp_gt_i16_e64 s0, s3, 0
	s_delay_alu instid0(VALU_DEP_1)
	s_and_b32 vcc_lo, exec_lo, s0
	s_mov_b32 s0, -1
	s_cbranch_vccz .LBB127_2923
; %bb.2922:
	v_cvt_i32_f32_e32 v5, v4
	s_mov_b32 s0, 0
	global_store_b8 v[2:3], v5, off
.LBB127_2923:
	s_and_not1_b32 vcc_lo, exec_lo, s0
	s_cbranch_vccnz .LBB127_2925
; %bb.2924:
	v_trunc_f32_e32 v4, v4
	s_delay_alu instid0(VALU_DEP_1) | instskip(NEXT) | instid1(VALU_DEP_1)
	v_mul_f32_e64 v5, 0x2f800000, |v4|
	v_floor_f32_e32 v5, v5
	s_delay_alu instid0(VALU_DEP_1) | instskip(SKIP_1) | instid1(VALU_DEP_2)
	v_fma_f32 v5, 0xcf800000, v5, |v4|
	v_ashrrev_i32_e32 v4, 31, v4
	v_cvt_u32_f32_e32 v5, v5
	s_delay_alu instid0(VALU_DEP_1) | instskip(NEXT) | instid1(VALU_DEP_1)
	v_xor_b32_e32 v5, v5, v4
	v_sub_nc_u32_e32 v4, v5, v4
	global_store_b8 v[2:3], v4, off
.LBB127_2925:
	s_mov_b32 s10, -1
.LBB127_2926:
	s_delay_alu instid0(SALU_CYCLE_1)
	s_and_not1_b32 vcc_lo, exec_lo, s10
	s_cbranch_vccnz .LBB127_3064
; %bb.2927:
	v_cndmask_b32_e64 v2, 0, 1.0, s12
	v_cmp_lt_i16_e64 s0, s3, 11
	v_add_co_u32 v1, s7, s4, v1
	s_mov_b32 s10, 0
	s_delay_alu instid0(VALU_DEP_3) | instskip(SKIP_3) | instid1(VALU_DEP_2)
	v_mul_f32_e32 v3, v9, v2
	v_add_co_ci_u32_e64 v2, null, s5, 0, s7
	s_and_b32 vcc_lo, exec_lo, s0
	s_mov_b32 s0, -1
	v_mul_f32_e32 v3, s2, v3
	s_cbranch_vccnz .LBB127_3016
; %bb.2928:
	v_cmp_gt_i16_e64 s0, s3, 25
	s_mov_b32 s11, -1
	s_mov_b32 s7, 0
	s_delay_alu instid0(VALU_DEP_1)
	s_and_b32 vcc_lo, exec_lo, s0
	s_mov_b32 s0, 0
	s_cbranch_vccz .LBB127_2972
; %bb.2929:
	v_cmp_gt_i16_e64 s0, s3, 28
	s_delay_alu instid0(VALU_DEP_1)
	s_and_b32 vcc_lo, exec_lo, s0
	s_cbranch_vccz .LBB127_2934
; %bb.2930:
	v_cmp_gt_i16_e64 s0, s3, 43
	s_delay_alu instid0(VALU_DEP_1)
	s_and_b32 vcc_lo, exec_lo, s0
	;; [unrolled: 5-line block ×3, first 2 shown]
	s_cbranch_vccz .LBB127_2944
; %bb.2932:
	v_cmp_eq_u16_e64 s10, s3, 46
	s_mov_b32 s0, -1
	s_mov_b32 s11, 0
	s_delay_alu instid0(VALU_DEP_1)
	s_and_b32 vcc_lo, exec_lo, s10
	s_mov_b32 s10, 0
	s_cbranch_vccz .LBB127_2945
; %bb.2933:
	v_bfe_u32 v4, v3, 16, 1
	v_cmp_o_f32_e32 vcc_lo, v3, v3
	s_mov_b32 s0, 0
	s_mov_b32 s10, -1
	s_delay_alu instid0(VALU_DEP_2) | instskip(NEXT) | instid1(VALU_DEP_1)
	v_add3_u32 v4, v3, v4, 0x7fff
	v_lshrrev_b32_e32 v4, 16, v4
	s_delay_alu instid0(VALU_DEP_1)
	v_cndmask_b32_e32 v4, 0x7fc0, v4, vcc_lo
	global_store_b32 v[1:2], v4, off
	s_branch .LBB127_2945
.LBB127_2934:
	s_mov_b32 s0, 0
	s_branch .LBB127_2955
.LBB127_2935:
	s_or_saveexec_b32 s13, s13
                                        ; implicit-def: $sgpr14
	s_delay_alu instid0(SALU_CYCLE_1)
	s_xor_b32 exec_lo, exec_lo, s13
	s_cbranch_execz .LBB127_2837
.LBB127_2936:
	v_add_f32_e64 v5, 0x46000000, |v4|
	s_and_not1_b32 s11, s11, exec_lo
	s_mov_b32 s14, 0
	s_delay_alu instid0(VALU_DEP_1) | instskip(NEXT) | instid1(VALU_DEP_1)
	v_and_b32_e32 v5, 0xff, v5
	v_cmp_ne_u32_e32 vcc_lo, 0, v5
	s_and_b32 s15, vcc_lo, exec_lo
	s_delay_alu instid0(SALU_CYCLE_1)
	s_or_b32 s11, s11, s15
	s_or_b32 exec_lo, exec_lo, s13
	v_mov_b32_e32 v6, s14
	s_and_saveexec_b32 s13, s11
	s_cbranch_execnz .LBB127_2838
	s_branch .LBB127_2839
.LBB127_2937:
	s_mov_b32 s0, 0
	s_branch .LBB127_2951
.LBB127_2938:
	s_trap 2
	s_sendmsg_rtn_b32 s0, sendmsg(MSG_RTN_GET_DOORBELL)
	s_mov_b32 ttmp2, m0
	s_waitcnt lgkmcnt(0)
	s_and_b32 s0, s0, 0x3ff
	s_delay_alu instid0(SALU_CYCLE_1) | instskip(NEXT) | instid1(SALU_CYCLE_1)
	s_bitset1_b32 s0, 10
	s_mov_b32 m0, s0
	s_sendmsg sendmsg(MSG_INTERRUPT)
	s_mov_b32 m0, ttmp2
.LBB127_2939:                           ; =>This Inner Loop Header: Depth=1
	s_sethalt 5
	s_branch .LBB127_2939
.LBB127_2940:
	s_cbranch_execnz .LBB127_3113
; %bb.2941:
	s_or_b32 s1, s1, exec_lo
	s_cbranch_execz .LBB127_2885
	s_branch .LBB127_2886
.LBB127_2942:
	s_or_saveexec_b32 s11, s11
                                        ; implicit-def: $sgpr13
	s_delay_alu instid0(SALU_CYCLE_1)
	s_xor_b32 exec_lo, exec_lo, s11
	s_cbranch_execz .LBB127_2850
.LBB127_2943:
	v_add_f32_e64 v5, 0x42800000, |v4|
	s_and_not1_b32 s10, s10, exec_lo
	s_mov_b32 s13, 0
	s_delay_alu instid0(VALU_DEP_1) | instskip(NEXT) | instid1(VALU_DEP_1)
	v_and_b32_e32 v5, 0xff, v5
	v_cmp_ne_u32_e32 vcc_lo, 0, v5
	s_and_b32 s14, vcc_lo, exec_lo
	s_delay_alu instid0(SALU_CYCLE_1)
	s_or_b32 s10, s10, s14
	s_or_b32 exec_lo, exec_lo, s11
	v_mov_b32_e32 v6, s13
	s_and_saveexec_b32 s11, s10
	s_cbranch_execnz .LBB127_2851
	s_branch .LBB127_2852
.LBB127_2944:
	s_mov_b32 s0, 0
.LBB127_2945:
	s_and_b32 vcc_lo, exec_lo, s11
	s_cbranch_vccz .LBB127_2950
; %bb.2946:
	v_cmp_eq_u16_e64 s0, s3, 44
	s_delay_alu instid0(VALU_DEP_1)
	s_and_b32 vcc_lo, exec_lo, s0
	s_mov_b32 s0, -1
	s_cbranch_vccz .LBB127_2950
; %bb.2947:
	v_bfe_u32 v5, v3, 23, 8
	v_mov_b32_e32 v4, 0xff
	s_mov_b32 s10, exec_lo
	s_delay_alu instid0(VALU_DEP_2)
	v_cmpx_ne_u32_e32 0xff, v5
; %bb.2948:
	v_and_b32_e32 v4, 0x400000, v3
	v_and_or_b32 v5, 0x3fffff, v3, v5
	s_delay_alu instid0(VALU_DEP_2) | instskip(NEXT) | instid1(VALU_DEP_2)
	v_cmp_ne_u32_e32 vcc_lo, 0, v4
	v_cmp_ne_u32_e64 s0, 0, v5
	v_lshrrev_b32_e32 v4, 23, v3
	s_delay_alu instid0(VALU_DEP_2) | instskip(NEXT) | instid1(SALU_CYCLE_1)
	s_and_b32 s0, vcc_lo, s0
	v_cndmask_b32_e64 v5, 0, 1, s0
	s_delay_alu instid0(VALU_DEP_1)
	v_add_nc_u32_e32 v4, v4, v5
; %bb.2949:
	s_or_b32 exec_lo, exec_lo, s10
	s_mov_b32 s0, 0
	s_mov_b32 s10, -1
	global_store_b8 v[1:2], v4, off
.LBB127_2950:
	s_mov_b32 s11, 0
.LBB127_2951:
	s_delay_alu instid0(SALU_CYCLE_1)
	s_and_b32 vcc_lo, exec_lo, s11
	s_cbranch_vccz .LBB127_2954
; %bb.2952:
	v_cmp_eq_u16_e64 s0, s3, 29
	s_delay_alu instid0(VALU_DEP_1)
	s_and_b32 vcc_lo, exec_lo, s0
	s_mov_b32 s0, -1
	s_cbranch_vccz .LBB127_2954
; %bb.2953:
	v_trunc_f32_e32 v4, v3
	s_mov_b32 s0, 0
	s_mov_b32 s10, -1
	s_mov_b32 s11, 0
	s_delay_alu instid0(VALU_DEP_1) | instskip(NEXT) | instid1(VALU_DEP_1)
	v_mul_f32_e32 v5, 0x2f800000, v4
	v_floor_f32_e32 v5, v5
	s_delay_alu instid0(VALU_DEP_1) | instskip(SKIP_1) | instid1(VALU_DEP_2)
	v_fmamk_f32 v4, v5, 0xcf800000, v4
	v_cvt_u32_f32_e32 v5, v5
	v_cvt_u32_f32_e32 v4, v4
	global_store_b64 v[1:2], v[4:5], off
	s_branch .LBB127_2955
.LBB127_2954:
	s_mov_b32 s11, 0
.LBB127_2955:
	s_delay_alu instid0(SALU_CYCLE_1)
	s_and_b32 vcc_lo, exec_lo, s11
	s_cbranch_vccz .LBB127_2971
; %bb.2956:
	v_cmp_lt_i16_e64 s10, s3, 27
	s_delay_alu instid0(VALU_DEP_1)
	s_and_b32 vcc_lo, exec_lo, s10
	s_mov_b32 s10, -1
	s_cbranch_vccnz .LBB127_2962
; %bb.2957:
	v_cmp_gt_i16_e64 s10, s3, 27
	s_delay_alu instid0(VALU_DEP_1)
	s_and_b32 vcc_lo, exec_lo, s10
	s_mov_b32 s10, -1
	s_cbranch_vccz .LBB127_2959
; %bb.2958:
	v_cvt_u32_f32_e32 v4, v3
	s_mov_b32 s10, 0
	global_store_b32 v[1:2], v4, off
.LBB127_2959:
	s_and_not1_b32 vcc_lo, exec_lo, s10
	s_cbranch_vccnz .LBB127_2961
; %bb.2960:
	v_cvt_u32_f32_e32 v4, v3
	global_store_b16 v[1:2], v4, off
.LBB127_2961:
	s_mov_b32 s10, 0
.LBB127_2962:
	s_delay_alu instid0(SALU_CYCLE_1)
	s_and_not1_b32 vcc_lo, exec_lo, s10
	s_cbranch_vccnz .LBB127_2970
; %bb.2963:
	v_and_b32_e32 v4, 0x7fffffff, v3
	v_mov_b32_e32 v5, 0x80
	s_mov_b32 s10, exec_lo
	s_delay_alu instid0(VALU_DEP_2)
	v_cmpx_gt_u32_e32 0x43800000, v4
	s_cbranch_execz .LBB127_2969
; %bb.2964:
	v_cmp_lt_u32_e32 vcc_lo, 0x3bffffff, v4
	s_mov_b32 s11, 0
                                        ; implicit-def: $vgpr4
	s_and_saveexec_b32 s12, vcc_lo
	s_delay_alu instid0(SALU_CYCLE_1)
	s_xor_b32 s12, exec_lo, s12
	s_cbranch_execz .LBB127_3110
; %bb.2965:
	v_bfe_u32 v4, v3, 20, 1
	s_mov_b32 s11, exec_lo
	s_delay_alu instid0(VALU_DEP_1) | instskip(NEXT) | instid1(VALU_DEP_1)
	v_add3_u32 v4, v3, v4, 0x487ffff
	v_lshrrev_b32_e32 v4, 20, v4
	s_or_saveexec_b32 s12, s12
                                        ; implicit-def: $sgpr13
	s_delay_alu instid0(SALU_CYCLE_1)
	s_xor_b32 exec_lo, exec_lo, s12
	s_cbranch_execnz .LBB127_3111
.LBB127_2966:
	s_or_b32 exec_lo, exec_lo, s12
	v_mov_b32_e32 v5, s13
	s_and_saveexec_b32 s12, s11
.LBB127_2967:
	v_lshrrev_b32_e32 v5, 24, v3
	s_delay_alu instid0(VALU_DEP_1)
	v_and_or_b32 v5, 0x80, v5, v4
.LBB127_2968:
	s_or_b32 exec_lo, exec_lo, s12
.LBB127_2969:
	s_delay_alu instid0(SALU_CYCLE_1)
	s_or_b32 exec_lo, exec_lo, s10
	global_store_b8 v[1:2], v5, off
.LBB127_2970:
	s_mov_b32 s10, -1
.LBB127_2971:
	s_mov_b32 s11, 0
.LBB127_2972:
	s_delay_alu instid0(SALU_CYCLE_1)
	s_and_b32 vcc_lo, exec_lo, s11
	s_cbranch_vccz .LBB127_3012
; %bb.2973:
	v_cmp_gt_i16_e64 s7, s3, 22
	s_delay_alu instid0(VALU_DEP_1)
	s_and_b32 vcc_lo, exec_lo, s7
	s_mov_b32 s7, -1
	s_cbranch_vccz .LBB127_3005
; %bb.2974:
	v_cmp_lt_i16_e64 s7, s3, 24
	s_delay_alu instid0(VALU_DEP_1)
	s_and_b32 vcc_lo, exec_lo, s7
	s_mov_b32 s7, -1
	s_cbranch_vccnz .LBB127_2994
; %bb.2975:
	v_cmp_gt_i16_e64 s7, s3, 24
	s_delay_alu instid0(VALU_DEP_1)
	s_and_b32 vcc_lo, exec_lo, s7
	s_mov_b32 s7, -1
	s_cbranch_vccz .LBB127_2983
; %bb.2976:
	v_and_b32_e32 v4, 0x7fffffff, v3
	v_mov_b32_e32 v5, 0x80
	s_mov_b32 s7, exec_lo
	s_delay_alu instid0(VALU_DEP_2)
	v_cmpx_gt_u32_e32 0x47800000, v4
	s_cbranch_execz .LBB127_2982
; %bb.2977:
	v_cmp_lt_u32_e32 vcc_lo, 0x37ffffff, v4
	s_mov_b32 s10, 0
                                        ; implicit-def: $vgpr4
	s_and_saveexec_b32 s11, vcc_lo
	s_delay_alu instid0(SALU_CYCLE_1)
	s_xor_b32 s11, exec_lo, s11
	s_cbranch_execz .LBB127_3117
; %bb.2978:
	v_bfe_u32 v4, v3, 21, 1
	s_mov_b32 s10, exec_lo
	s_delay_alu instid0(VALU_DEP_1) | instskip(NEXT) | instid1(VALU_DEP_1)
	v_add3_u32 v4, v3, v4, 0x88fffff
	v_lshrrev_b32_e32 v4, 21, v4
	s_or_saveexec_b32 s11, s11
                                        ; implicit-def: $sgpr12
	s_delay_alu instid0(SALU_CYCLE_1)
	s_xor_b32 exec_lo, exec_lo, s11
	s_cbranch_execnz .LBB127_3118
.LBB127_2979:
	s_or_b32 exec_lo, exec_lo, s11
	v_mov_b32_e32 v5, s12
	s_and_saveexec_b32 s11, s10
.LBB127_2980:
	v_lshrrev_b32_e32 v5, 24, v3
	s_delay_alu instid0(VALU_DEP_1)
	v_and_or_b32 v5, 0x80, v5, v4
.LBB127_2981:
	s_or_b32 exec_lo, exec_lo, s11
.LBB127_2982:
	s_delay_alu instid0(SALU_CYCLE_1)
	s_or_b32 exec_lo, exec_lo, s7
	s_mov_b32 s7, 0
	global_store_b8 v[1:2], v5, off
.LBB127_2983:
	s_and_b32 vcc_lo, exec_lo, s7
	s_cbranch_vccz .LBB127_2993
; %bb.2984:
	v_and_b32_e32 v5, 0x7fffffff, v3
	s_mov_b32 s7, exec_lo
                                        ; implicit-def: $vgpr4
	s_delay_alu instid0(VALU_DEP_1)
	v_cmpx_gt_u32_e32 0x43f00000, v5
	s_xor_b32 s7, exec_lo, s7
	s_cbranch_execz .LBB127_2990
; %bb.2985:
	s_mov_b32 s10, exec_lo
                                        ; implicit-def: $vgpr4
	v_cmpx_lt_u32_e32 0x3c7fffff, v5
	s_xor_b32 s10, exec_lo, s10
; %bb.2986:
	v_bfe_u32 v4, v3, 20, 1
	s_delay_alu instid0(VALU_DEP_1) | instskip(NEXT) | instid1(VALU_DEP_1)
	v_add3_u32 v4, v3, v4, 0x407ffff
	v_and_b32_e32 v5, 0xff00000, v4
	v_lshrrev_b32_e32 v4, 20, v4
	s_delay_alu instid0(VALU_DEP_2) | instskip(NEXT) | instid1(VALU_DEP_2)
	v_cmp_ne_u32_e32 vcc_lo, 0x7f00000, v5
	v_cndmask_b32_e32 v4, 0x7e, v4, vcc_lo
; %bb.2987:
	s_and_not1_saveexec_b32 s10, s10
; %bb.2988:
	v_add_f32_e64 v4, 0x46800000, |v3|
; %bb.2989:
	s_or_b32 exec_lo, exec_lo, s10
                                        ; implicit-def: $vgpr5
.LBB127_2990:
	s_and_not1_saveexec_b32 s7, s7
; %bb.2991:
	v_mov_b32_e32 v4, 0x7f
	v_cmp_lt_u32_e32 vcc_lo, 0x7f800000, v5
	s_delay_alu instid0(VALU_DEP_2)
	v_cndmask_b32_e32 v4, 0x7e, v4, vcc_lo
; %bb.2992:
	s_or_b32 exec_lo, exec_lo, s7
	v_lshrrev_b32_e32 v5, 24, v3
	s_delay_alu instid0(VALU_DEP_1)
	v_and_or_b32 v4, 0x80, v5, v4
	global_store_b8 v[1:2], v4, off
.LBB127_2993:
	s_mov_b32 s7, 0
.LBB127_2994:
	s_delay_alu instid0(SALU_CYCLE_1)
	s_and_not1_b32 vcc_lo, exec_lo, s7
	s_cbranch_vccnz .LBB127_3004
; %bb.2995:
	v_and_b32_e32 v5, 0x7fffffff, v3
	s_mov_b32 s7, exec_lo
                                        ; implicit-def: $vgpr4
	s_delay_alu instid0(VALU_DEP_1)
	v_cmpx_gt_u32_e32 0x47800000, v5
	s_xor_b32 s7, exec_lo, s7
	s_cbranch_execz .LBB127_3001
; %bb.2996:
	s_mov_b32 s10, exec_lo
                                        ; implicit-def: $vgpr4
	v_cmpx_lt_u32_e32 0x387fffff, v5
	s_xor_b32 s10, exec_lo, s10
; %bb.2997:
	v_bfe_u32 v4, v3, 21, 1
	s_delay_alu instid0(VALU_DEP_1) | instskip(NEXT) | instid1(VALU_DEP_1)
	v_add3_u32 v4, v3, v4, 0x80fffff
	v_lshrrev_b32_e32 v4, 21, v4
; %bb.2998:
	s_and_not1_saveexec_b32 s10, s10
; %bb.2999:
	v_add_f32_e64 v4, 0x43000000, |v3|
; %bb.3000:
	s_or_b32 exec_lo, exec_lo, s10
                                        ; implicit-def: $vgpr5
.LBB127_3001:
	s_and_not1_saveexec_b32 s7, s7
; %bb.3002:
	v_mov_b32_e32 v4, 0x7f
	v_cmp_lt_u32_e32 vcc_lo, 0x7f800000, v5
	s_delay_alu instid0(VALU_DEP_2)
	v_cndmask_b32_e32 v4, 0x7c, v4, vcc_lo
; %bb.3003:
	s_or_b32 exec_lo, exec_lo, s7
	v_lshrrev_b32_e32 v5, 24, v3
	s_delay_alu instid0(VALU_DEP_1)
	v_and_or_b32 v4, 0x80, v5, v4
	global_store_b8 v[1:2], v4, off
.LBB127_3004:
	s_mov_b32 s7, 0
	s_mov_b32 s10, -1
.LBB127_3005:
	s_and_not1_b32 vcc_lo, exec_lo, s7
	s_mov_b32 s7, 0
	s_cbranch_vccnz .LBB127_3012
; %bb.3006:
	v_cmp_gt_i16_e64 s7, s3, 14
	s_delay_alu instid0(VALU_DEP_1)
	s_and_b32 vcc_lo, exec_lo, s7
	s_mov_b32 s7, -1
	s_cbranch_vccz .LBB127_3010
; %bb.3007:
	v_cmp_eq_u16_e64 s0, s3, 15
	s_delay_alu instid0(VALU_DEP_1)
	s_and_b32 vcc_lo, exec_lo, s0
	s_mov_b32 s0, -1
	s_cbranch_vccz .LBB127_3009
; %bb.3008:
	v_bfe_u32 v4, v3, 16, 1
	v_cmp_o_f32_e32 vcc_lo, v3, v3
	s_mov_b32 s0, 0
	s_mov_b32 s10, -1
	s_delay_alu instid0(VALU_DEP_2) | instskip(NEXT) | instid1(VALU_DEP_1)
	v_add3_u32 v4, v3, v4, 0x7fff
	v_lshrrev_b32_e32 v4, 16, v4
	s_delay_alu instid0(VALU_DEP_1)
	v_cndmask_b32_e32 v4, 0x7fc0, v4, vcc_lo
	global_store_b16 v[1:2], v4, off
.LBB127_3009:
	s_mov_b32 s7, 0
.LBB127_3010:
	s_delay_alu instid0(SALU_CYCLE_1)
	s_and_b32 vcc_lo, exec_lo, s7
	s_mov_b32 s7, 0
	s_cbranch_vccz .LBB127_3012
; %bb.3011:
	v_cmp_ne_u16_e64 s0, s3, 11
	s_mov_b32 s7, -1
.LBB127_3012:
	s_delay_alu instid0(VALU_DEP_1)
	s_and_b32 vcc_lo, exec_lo, s0
	s_cbranch_vccnz .LBB127_3115
; %bb.3013:
	s_and_not1_b32 vcc_lo, exec_lo, s7
	s_cbranch_vccnz .LBB127_3015
.LBB127_3014:
	v_cmp_neq_f32_e32 vcc_lo, 0, v3
	s_mov_b32 s10, -1
	v_cndmask_b32_e64 v4, 0, 1, vcc_lo
	global_store_b8 v[1:2], v4, off
.LBB127_3015:
	s_mov_b32 s0, 0
.LBB127_3016:
	s_delay_alu instid0(SALU_CYCLE_1)
	s_and_b32 vcc_lo, exec_lo, s0
	s_cbranch_vccz .LBB127_3055
; %bb.3017:
	v_cmp_lt_i16_e64 s0, s3, 5
	s_delay_alu instid0(VALU_DEP_1)
	s_and_b32 vcc_lo, exec_lo, s0
	s_mov_b32 s0, -1
	s_cbranch_vccnz .LBB127_3038
; %bb.3018:
	v_cmp_lt_i16_e64 s0, s3, 8
	s_delay_alu instid0(VALU_DEP_1)
	s_and_b32 vcc_lo, exec_lo, s0
	s_mov_b32 s0, -1
	s_cbranch_vccnz .LBB127_3028
	;; [unrolled: 6-line block ×3, first 2 shown]
; %bb.3020:
	v_cmp_gt_i16_e64 s0, s3, 9
	s_delay_alu instid0(VALU_DEP_1)
	s_and_b32 vcc_lo, exec_lo, s0
	s_mov_b32 s0, -1
	s_cbranch_vccz .LBB127_3022
; %bb.3021:
	v_cvt_f64_f32_e32 v[4:5], v3
	v_mov_b32_e32 v6, 0
	s_mov_b32 s0, 0
	s_delay_alu instid0(VALU_DEP_1)
	v_mov_b32_e32 v7, v6
	global_store_b128 v[1:2], v[4:7], off
.LBB127_3022:
	s_and_not1_b32 vcc_lo, exec_lo, s0
	s_cbranch_vccnz .LBB127_3024
; %bb.3023:
	v_mov_b32_e32 v4, 0
	global_store_b64 v[1:2], v[3:4], off
.LBB127_3024:
	s_mov_b32 s0, 0
.LBB127_3025:
	s_delay_alu instid0(SALU_CYCLE_1)
	s_and_not1_b32 vcc_lo, exec_lo, s0
	s_cbranch_vccnz .LBB127_3027
; %bb.3026:
	v_cvt_f16_f32_e32 v4, v3
	s_delay_alu instid0(VALU_DEP_1)
	v_and_b32_e32 v4, 0xffff, v4
	global_store_b32 v[1:2], v4, off
.LBB127_3027:
	s_mov_b32 s0, 0
.LBB127_3028:
	s_delay_alu instid0(SALU_CYCLE_1)
	s_and_not1_b32 vcc_lo, exec_lo, s0
	s_cbranch_vccnz .LBB127_3037
; %bb.3029:
	v_cmp_lt_i16_e64 s0, s3, 6
	s_delay_alu instid0(VALU_DEP_1)
	s_and_b32 vcc_lo, exec_lo, s0
	s_mov_b32 s0, -1
	s_cbranch_vccnz .LBB127_3035
; %bb.3030:
	v_cmp_gt_i16_e64 s0, s3, 6
	s_delay_alu instid0(VALU_DEP_1)
	s_and_b32 vcc_lo, exec_lo, s0
	s_mov_b32 s0, -1
	s_cbranch_vccz .LBB127_3032
; %bb.3031:
	v_cvt_f64_f32_e32 v[4:5], v3
	s_mov_b32 s0, 0
	global_store_b64 v[1:2], v[4:5], off
.LBB127_3032:
	s_and_not1_b32 vcc_lo, exec_lo, s0
	s_cbranch_vccnz .LBB127_3034
; %bb.3033:
	global_store_b32 v[1:2], v3, off
.LBB127_3034:
	s_mov_b32 s0, 0
.LBB127_3035:
	s_delay_alu instid0(SALU_CYCLE_1)
	s_and_not1_b32 vcc_lo, exec_lo, s0
	s_cbranch_vccnz .LBB127_3037
; %bb.3036:
	v_cvt_f16_f32_e32 v4, v3
	global_store_b16 v[1:2], v4, off
.LBB127_3037:
	s_mov_b32 s0, 0
.LBB127_3038:
	s_delay_alu instid0(SALU_CYCLE_1)
	s_and_not1_b32 vcc_lo, exec_lo, s0
	s_cbranch_vccnz .LBB127_3054
; %bb.3039:
	v_cmp_lt_i16_e64 s0, s3, 2
	s_delay_alu instid0(VALU_DEP_1)
	s_and_b32 vcc_lo, exec_lo, s0
	s_mov_b32 s0, -1
	s_cbranch_vccnz .LBB127_3049
; %bb.3040:
	v_cmp_lt_i16_e64 s0, s3, 3
	s_delay_alu instid0(VALU_DEP_1)
	s_and_b32 vcc_lo, exec_lo, s0
	s_mov_b32 s0, -1
	s_cbranch_vccnz .LBB127_3046
; %bb.3041:
	v_cmp_gt_i16_e64 s0, s3, 3
	s_delay_alu instid0(VALU_DEP_1)
	s_and_b32 vcc_lo, exec_lo, s0
	s_mov_b32 s0, -1
	s_cbranch_vccz .LBB127_3043
; %bb.3042:
	v_trunc_f32_e32 v4, v3
	s_mov_b32 s0, 0
	s_delay_alu instid0(VALU_DEP_1) | instskip(SKIP_1) | instid1(VALU_DEP_2)
	v_mul_f32_e64 v5, 0x2f800000, |v4|
	v_ashrrev_i32_e32 v7, 31, v4
	v_floor_f32_e32 v5, v5
	s_delay_alu instid0(VALU_DEP_1) | instskip(SKIP_1) | instid1(VALU_DEP_2)
	v_fma_f32 v6, 0xcf800000, v5, |v4|
	v_cvt_u32_f32_e32 v5, v5
	v_cvt_u32_f32_e32 v4, v6
	s_delay_alu instid0(VALU_DEP_2) | instskip(NEXT) | instid1(VALU_DEP_2)
	v_xor_b32_e32 v5, v5, v7
	v_xor_b32_e32 v4, v4, v7
	s_delay_alu instid0(VALU_DEP_1) | instskip(NEXT) | instid1(VALU_DEP_3)
	v_sub_co_u32 v4, vcc_lo, v4, v7
	v_sub_co_ci_u32_e32 v5, vcc_lo, v5, v7, vcc_lo
	global_store_b64 v[1:2], v[4:5], off
.LBB127_3043:
	s_and_not1_b32 vcc_lo, exec_lo, s0
	s_cbranch_vccnz .LBB127_3045
; %bb.3044:
	v_cvt_i32_f32_e32 v4, v3
	global_store_b32 v[1:2], v4, off
.LBB127_3045:
	s_mov_b32 s0, 0
.LBB127_3046:
	s_delay_alu instid0(SALU_CYCLE_1)
	s_and_not1_b32 vcc_lo, exec_lo, s0
	s_cbranch_vccnz .LBB127_3048
; %bb.3047:
	v_cvt_i32_f32_e32 v4, v3
	global_store_b16 v[1:2], v4, off
.LBB127_3048:
	s_mov_b32 s0, 0
.LBB127_3049:
	s_delay_alu instid0(SALU_CYCLE_1)
	s_and_not1_b32 vcc_lo, exec_lo, s0
	s_cbranch_vccnz .LBB127_3054
; %bb.3050:
	v_cmp_gt_i16_e64 s0, s3, 0
	s_delay_alu instid0(VALU_DEP_1)
	s_and_b32 vcc_lo, exec_lo, s0
	s_mov_b32 s0, -1
	s_cbranch_vccz .LBB127_3052
; %bb.3051:
	v_cvt_i32_f32_e32 v4, v3
	s_mov_b32 s0, 0
	global_store_b8 v[1:2], v4, off
.LBB127_3052:
	s_and_not1_b32 vcc_lo, exec_lo, s0
	s_cbranch_vccnz .LBB127_3054
; %bb.3053:
	v_trunc_f32_e32 v3, v3
	s_delay_alu instid0(VALU_DEP_1) | instskip(NEXT) | instid1(VALU_DEP_1)
	v_mul_f32_e64 v4, 0x2f800000, |v3|
	v_floor_f32_e32 v4, v4
	s_delay_alu instid0(VALU_DEP_1) | instskip(SKIP_1) | instid1(VALU_DEP_2)
	v_fma_f32 v4, 0xcf800000, v4, |v3|
	v_ashrrev_i32_e32 v3, 31, v3
	v_cvt_u32_f32_e32 v4, v4
	s_delay_alu instid0(VALU_DEP_1) | instskip(NEXT) | instid1(VALU_DEP_1)
	v_xor_b32_e32 v4, v4, v3
	v_sub_nc_u32_e32 v3, v4, v3
	global_store_b8 v[1:2], v3, off
.LBB127_3054:
	s_mov_b32 s10, -1
.LBB127_3055:
	s_delay_alu instid0(SALU_CYCLE_1)
	s_and_not1_b32 vcc_lo, exec_lo, s10
	s_cbranch_vccnz .LBB127_3064
; %bb.3056:
	v_cndmask_b32_e64 v1, 0, 1.0, s6
	v_cmp_lt_i16_e64 s0, s3, 11
	v_add_co_u32 v0, s4, s4, v0
	s_mov_b32 s6, 0
	s_waitcnt vmcnt(0)
	v_mul_f32_e32 v2, v8, v1
	v_add_co_ci_u32_e64 v1, null, s5, 0, s4
	s_and_b32 vcc_lo, exec_lo, s0
	s_mov_b32 s0, -1
	s_delay_alu instid0(VALU_DEP_2)
	v_mul_f32_e32 v2, s2, v2
	s_cbranch_vccnz .LBB127_3065
; %bb.3057:
	v_cmp_gt_i16_e64 s0, s3, 25
	s_mov_b32 s2, -1
	s_delay_alu instid0(VALU_DEP_1)
	s_and_b32 vcc_lo, exec_lo, s0
	s_mov_b32 s0, 0
	s_cbranch_vccz .LBB127_3146
; %bb.3058:
	v_cmp_gt_i16_e64 s0, s3, 28
	s_delay_alu instid0(VALU_DEP_1)
	s_and_b32 vcc_lo, exec_lo, s0
	s_cbranch_vccz .LBB127_3109
; %bb.3059:
	v_cmp_gt_i16_e64 s0, s3, 43
	s_delay_alu instid0(VALU_DEP_1)
	s_and_b32 vcc_lo, exec_lo, s0
	;; [unrolled: 5-line block ×3, first 2 shown]
	s_cbranch_vccz .LBB127_3119
; %bb.3061:
	v_cmp_eq_u16_e64 s0, s3, 46
	s_delay_alu instid0(VALU_DEP_1)
	s_and_b32 vcc_lo, exec_lo, s0
	s_mov_b32 s0, -1
	s_cbranch_vccz .LBB127_3063
; %bb.3062:
	v_bfe_u32 v3, v2, 16, 1
	v_cmp_o_f32_e32 vcc_lo, v2, v2
	s_mov_b32 s0, 0
	s_delay_alu instid0(VALU_DEP_2) | instskip(NEXT) | instid1(VALU_DEP_1)
	v_add3_u32 v3, v2, v3, 0x7fff
	v_lshrrev_b32_e32 v3, 16, v3
	s_delay_alu instid0(VALU_DEP_1)
	v_cndmask_b32_e32 v3, 0x7fc0, v3, vcc_lo
	global_store_b32 v[0:1], v3, off
.LBB127_3063:
	s_mov_b32 s2, 0
	s_branch .LBB127_3120
.LBB127_3064:
	s_mov_b32 s0, 0
	s_mov_b32 s6, 0
                                        ; implicit-def: $vgpr0_vgpr1
                                        ; implicit-def: $sgpr3
                                        ; implicit-def: $vgpr2
.LBB127_3065:
	s_and_b32 s2, s0, exec_lo
	s_and_not1_b32 s0, s8, exec_lo
	s_and_b32 s1, s1, exec_lo
	s_and_b32 s28, s6, exec_lo
	s_or_b32 s8, s0, s1
.LBB127_3066:
	s_or_b32 exec_lo, exec_lo, s9
	s_and_saveexec_b32 s0, s8
	s_cbranch_execz .LBB127_3069
; %bb.3067:
	; divergent unreachable
	s_or_b32 exec_lo, exec_lo, s0
	s_and_saveexec_b32 s0, s28
	s_delay_alu instid0(SALU_CYCLE_1)
	s_xor_b32 s0, exec_lo, s0
	s_cbranch_execnz .LBB127_3070
.LBB127_3068:
	s_or_b32 exec_lo, exec_lo, s0
	s_and_saveexec_b32 s0, s2
	s_cbranch_execnz .LBB127_3071
	s_branch .LBB127_3108
.LBB127_3069:
	s_or_b32 exec_lo, exec_lo, s0
	s_and_saveexec_b32 s0, s28
	s_delay_alu instid0(SALU_CYCLE_1)
	s_xor_b32 s0, exec_lo, s0
	s_cbranch_execz .LBB127_3068
.LBB127_3070:
	v_cmp_neq_f32_e32 vcc_lo, 0, v2
	v_cndmask_b32_e64 v3, 0, 1, vcc_lo
	global_store_b8 v[0:1], v3, off
	s_or_b32 exec_lo, exec_lo, s0
	s_and_saveexec_b32 s0, s2
	s_cbranch_execz .LBB127_3108
.LBB127_3071:
	v_cmp_lt_i16_e64 s0, s3, 5
	s_delay_alu instid0(VALU_DEP_1)
	s_and_b32 vcc_lo, exec_lo, s0
	s_mov_b32 s0, -1
	s_cbranch_vccnz .LBB127_3092
; %bb.3072:
	v_cmp_lt_i16_e64 s0, s3, 8
	s_delay_alu instid0(VALU_DEP_1)
	s_and_b32 vcc_lo, exec_lo, s0
	s_mov_b32 s0, -1
	s_cbranch_vccnz .LBB127_3082
; %bb.3073:
	;; [unrolled: 6-line block ×3, first 2 shown]
	v_cmp_gt_i16_e64 s0, s3, 9
	s_delay_alu instid0(VALU_DEP_1)
	s_and_b32 vcc_lo, exec_lo, s0
	s_mov_b32 s0, -1
	s_cbranch_vccz .LBB127_3076
; %bb.3075:
	v_cvt_f64_f32_e32 v[3:4], v2
	s_waitcnt vmcnt(0)
	v_mov_b32_e32 v5, 0
	s_mov_b32 s0, 0
	s_delay_alu instid0(VALU_DEP_1)
	v_mov_b32_e32 v6, v5
	global_store_b128 v[0:1], v[3:6], off
.LBB127_3076:
	s_and_not1_b32 vcc_lo, exec_lo, s0
	s_cbranch_vccnz .LBB127_3078
; %bb.3077:
	v_mov_b32_e32 v3, 0
	global_store_b64 v[0:1], v[2:3], off
.LBB127_3078:
	s_mov_b32 s0, 0
.LBB127_3079:
	s_delay_alu instid0(SALU_CYCLE_1)
	s_and_not1_b32 vcc_lo, exec_lo, s0
	s_cbranch_vccnz .LBB127_3081
; %bb.3080:
	v_cvt_f16_f32_e32 v3, v2
	s_delay_alu instid0(VALU_DEP_1)
	v_and_b32_e32 v3, 0xffff, v3
	global_store_b32 v[0:1], v3, off
.LBB127_3081:
	s_mov_b32 s0, 0
.LBB127_3082:
	s_delay_alu instid0(SALU_CYCLE_1)
	s_and_not1_b32 vcc_lo, exec_lo, s0
	s_cbranch_vccnz .LBB127_3091
; %bb.3083:
	v_cmp_lt_i16_e64 s0, s3, 6
	s_delay_alu instid0(VALU_DEP_1)
	s_and_b32 vcc_lo, exec_lo, s0
	s_mov_b32 s0, -1
	s_cbranch_vccnz .LBB127_3089
; %bb.3084:
	v_cmp_gt_i16_e64 s0, s3, 6
	s_delay_alu instid0(VALU_DEP_1)
	s_and_b32 vcc_lo, exec_lo, s0
	s_mov_b32 s0, -1
	s_cbranch_vccz .LBB127_3086
; %bb.3085:
	v_cvt_f64_f32_e32 v[3:4], v2
	s_mov_b32 s0, 0
	global_store_b64 v[0:1], v[3:4], off
.LBB127_3086:
	s_and_not1_b32 vcc_lo, exec_lo, s0
	s_cbranch_vccnz .LBB127_3088
; %bb.3087:
	global_store_b32 v[0:1], v2, off
.LBB127_3088:
	s_mov_b32 s0, 0
.LBB127_3089:
	s_delay_alu instid0(SALU_CYCLE_1)
	s_and_not1_b32 vcc_lo, exec_lo, s0
	s_cbranch_vccnz .LBB127_3091
; %bb.3090:
	v_cvt_f16_f32_e32 v3, v2
	global_store_b16 v[0:1], v3, off
.LBB127_3091:
	s_mov_b32 s0, 0
.LBB127_3092:
	s_delay_alu instid0(SALU_CYCLE_1)
	s_and_not1_b32 vcc_lo, exec_lo, s0
	s_cbranch_vccnz .LBB127_3108
; %bb.3093:
	v_cmp_lt_i16_e64 s0, s3, 2
	s_delay_alu instid0(VALU_DEP_1)
	s_and_b32 vcc_lo, exec_lo, s0
	s_mov_b32 s0, -1
	s_cbranch_vccnz .LBB127_3103
; %bb.3094:
	v_cmp_lt_i16_e64 s0, s3, 3
	s_delay_alu instid0(VALU_DEP_1)
	s_and_b32 vcc_lo, exec_lo, s0
	s_mov_b32 s0, -1
	s_cbranch_vccnz .LBB127_3100
; %bb.3095:
	v_cmp_gt_i16_e64 s0, s3, 3
	s_delay_alu instid0(VALU_DEP_1)
	s_and_b32 vcc_lo, exec_lo, s0
	s_mov_b32 s0, -1
	s_cbranch_vccz .LBB127_3097
; %bb.3096:
	v_trunc_f32_e32 v3, v2
	s_mov_b32 s0, 0
	s_delay_alu instid0(VALU_DEP_1) | instskip(SKIP_1) | instid1(VALU_DEP_2)
	v_mul_f32_e64 v4, 0x2f800000, |v3|
	v_ashrrev_i32_e32 v6, 31, v3
	v_floor_f32_e32 v4, v4
	s_waitcnt vmcnt(0)
	s_delay_alu instid0(VALU_DEP_1) | instskip(SKIP_1) | instid1(VALU_DEP_2)
	v_fma_f32 v5, 0xcf800000, v4, |v3|
	v_cvt_u32_f32_e32 v4, v4
	v_cvt_u32_f32_e32 v3, v5
	s_delay_alu instid0(VALU_DEP_2) | instskip(NEXT) | instid1(VALU_DEP_2)
	v_xor_b32_e32 v4, v4, v6
	v_xor_b32_e32 v3, v3, v6
	s_delay_alu instid0(VALU_DEP_1) | instskip(NEXT) | instid1(VALU_DEP_3)
	v_sub_co_u32 v3, vcc_lo, v3, v6
	v_sub_co_ci_u32_e32 v4, vcc_lo, v4, v6, vcc_lo
	global_store_b64 v[0:1], v[3:4], off
.LBB127_3097:
	s_and_not1_b32 vcc_lo, exec_lo, s0
	s_cbranch_vccnz .LBB127_3099
; %bb.3098:
	v_cvt_i32_f32_e32 v3, v2
	global_store_b32 v[0:1], v3, off
.LBB127_3099:
	s_mov_b32 s0, 0
.LBB127_3100:
	s_delay_alu instid0(SALU_CYCLE_1)
	s_and_not1_b32 vcc_lo, exec_lo, s0
	s_cbranch_vccnz .LBB127_3102
; %bb.3101:
	v_cvt_i32_f32_e32 v3, v2
	global_store_b16 v[0:1], v3, off
.LBB127_3102:
	s_mov_b32 s0, 0
.LBB127_3103:
	s_delay_alu instid0(SALU_CYCLE_1)
	s_and_not1_b32 vcc_lo, exec_lo, s0
	s_cbranch_vccnz .LBB127_3108
; %bb.3104:
	v_cmp_gt_i16_e64 s0, s3, 0
	s_delay_alu instid0(VALU_DEP_1)
	s_and_b32 vcc_lo, exec_lo, s0
	s_mov_b32 s0, -1
	s_cbranch_vccz .LBB127_3106
; %bb.3105:
	v_cvt_i32_f32_e32 v3, v2
	s_mov_b32 s0, 0
	global_store_b8 v[0:1], v3, off
.LBB127_3106:
	s_and_not1_b32 vcc_lo, exec_lo, s0
	s_cbranch_vccnz .LBB127_3108
; %bb.3107:
	v_trunc_f32_e32 v2, v2
	s_delay_alu instid0(VALU_DEP_1) | instskip(NEXT) | instid1(VALU_DEP_1)
	v_mul_f32_e64 v3, 0x2f800000, |v2|
	v_floor_f32_e32 v3, v3
	s_delay_alu instid0(VALU_DEP_1) | instskip(SKIP_1) | instid1(VALU_DEP_2)
	v_fma_f32 v3, 0xcf800000, v3, |v2|
	v_ashrrev_i32_e32 v2, 31, v2
	v_cvt_u32_f32_e32 v3, v3
	s_delay_alu instid0(VALU_DEP_1) | instskip(NEXT) | instid1(VALU_DEP_1)
	v_xor_b32_e32 v3, v3, v2
	v_sub_nc_u32_e32 v2, v3, v2
	global_store_b8 v[0:1], v2, off
	s_nop 0
	s_sendmsg sendmsg(MSG_DEALLOC_VGPRS)
	s_endpgm
.LBB127_3108:
	s_nop 0
	s_sendmsg sendmsg(MSG_DEALLOC_VGPRS)
	s_endpgm
.LBB127_3109:
	s_mov_b32 s0, 0
	s_branch .LBB127_3130
.LBB127_3110:
	s_or_saveexec_b32 s12, s12
                                        ; implicit-def: $sgpr13
	s_delay_alu instid0(SALU_CYCLE_1)
	s_xor_b32 exec_lo, exec_lo, s12
	s_cbranch_execz .LBB127_2966
.LBB127_3111:
	v_add_f32_e64 v4, 0x46000000, |v3|
	s_and_not1_b32 s11, s11, exec_lo
	s_mov_b32 s13, 0
	s_delay_alu instid0(VALU_DEP_1) | instskip(NEXT) | instid1(VALU_DEP_1)
	v_and_b32_e32 v4, 0xff, v4
	v_cmp_ne_u32_e32 vcc_lo, 0, v4
	s_and_b32 s14, vcc_lo, exec_lo
	s_delay_alu instid0(SALU_CYCLE_1)
	s_or_b32 s11, s11, s14
	s_or_b32 exec_lo, exec_lo, s12
	v_mov_b32_e32 v5, s13
	s_and_saveexec_b32 s12, s11
	s_cbranch_execnz .LBB127_2967
	s_branch .LBB127_2968
.LBB127_3112:
	s_mov_b32 s0, 0
	s_branch .LBB127_3126
.LBB127_3113:
	s_trap 2
	s_sendmsg_rtn_b32 s0, sendmsg(MSG_RTN_GET_DOORBELL)
	s_mov_b32 ttmp2, m0
	s_waitcnt lgkmcnt(0)
	s_and_b32 s0, s0, 0x3ff
	s_delay_alu instid0(SALU_CYCLE_1) | instskip(NEXT) | instid1(SALU_CYCLE_1)
	s_bitset1_b32 s0, 10
	s_mov_b32 m0, s0
	s_sendmsg sendmsg(MSG_INTERRUPT)
	s_mov_b32 m0, ttmp2
.LBB127_3114:                           ; =>This Inner Loop Header: Depth=1
	s_sethalt 5
	s_branch .LBB127_3114
.LBB127_3115:
	s_cbranch_execnz .LBB127_3190
; %bb.3116:
	s_or_b32 s1, s1, exec_lo
	s_cbranch_execz .LBB127_3014
	s_branch .LBB127_3015
.LBB127_3117:
	s_or_saveexec_b32 s11, s11
                                        ; implicit-def: $sgpr12
	s_delay_alu instid0(SALU_CYCLE_1)
	s_xor_b32 exec_lo, exec_lo, s11
	s_cbranch_execz .LBB127_2979
.LBB127_3118:
	v_add_f32_e64 v4, 0x42800000, |v3|
	s_and_not1_b32 s10, s10, exec_lo
	s_mov_b32 s12, 0
	s_delay_alu instid0(VALU_DEP_1) | instskip(NEXT) | instid1(VALU_DEP_1)
	v_and_b32_e32 v4, 0xff, v4
	v_cmp_ne_u32_e32 vcc_lo, 0, v4
	s_and_b32 s13, vcc_lo, exec_lo
	s_delay_alu instid0(SALU_CYCLE_1)
	s_or_b32 s10, s10, s13
	s_or_b32 exec_lo, exec_lo, s11
	v_mov_b32_e32 v5, s12
	s_and_saveexec_b32 s11, s10
	s_cbranch_execnz .LBB127_2980
	s_branch .LBB127_2981
.LBB127_3119:
	s_mov_b32 s0, 0
.LBB127_3120:
	s_and_b32 vcc_lo, exec_lo, s2
	s_cbranch_vccz .LBB127_3125
; %bb.3121:
	v_cmp_eq_u16_e64 s0, s3, 44
	s_delay_alu instid0(VALU_DEP_1)
	s_and_b32 vcc_lo, exec_lo, s0
	s_mov_b32 s0, -1
	s_cbranch_vccz .LBB127_3125
; %bb.3122:
	v_bfe_u32 v4, v2, 23, 8
	v_mov_b32_e32 v3, 0xff
	s_mov_b32 s2, exec_lo
	s_delay_alu instid0(VALU_DEP_2)
	v_cmpx_ne_u32_e32 0xff, v4
; %bb.3123:
	v_and_b32_e32 v3, 0x400000, v2
	v_and_or_b32 v4, 0x3fffff, v2, v4
	s_delay_alu instid0(VALU_DEP_2) | instskip(NEXT) | instid1(VALU_DEP_2)
	v_cmp_ne_u32_e32 vcc_lo, 0, v3
	v_cmp_ne_u32_e64 s0, 0, v4
	v_lshrrev_b32_e32 v3, 23, v2
	s_delay_alu instid0(VALU_DEP_2) | instskip(NEXT) | instid1(SALU_CYCLE_1)
	s_and_b32 s0, vcc_lo, s0
	v_cndmask_b32_e64 v4, 0, 1, s0
	s_delay_alu instid0(VALU_DEP_1)
	v_add_nc_u32_e32 v3, v3, v4
; %bb.3124:
	s_or_b32 exec_lo, exec_lo, s2
	s_mov_b32 s0, 0
	global_store_b8 v[0:1], v3, off
.LBB127_3125:
	s_mov_b32 s2, 0
.LBB127_3126:
	s_delay_alu instid0(SALU_CYCLE_1)
	s_and_b32 vcc_lo, exec_lo, s2
	s_cbranch_vccz .LBB127_3129
; %bb.3127:
	v_cmp_eq_u16_e64 s0, s3, 29
	s_delay_alu instid0(VALU_DEP_1)
	s_and_b32 vcc_lo, exec_lo, s0
	s_mov_b32 s0, -1
	s_cbranch_vccz .LBB127_3129
; %bb.3128:
	v_trunc_f32_e32 v3, v2
	s_mov_b32 s0, 0
	s_delay_alu instid0(VALU_DEP_1) | instskip(NEXT) | instid1(VALU_DEP_1)
	v_mul_f32_e32 v4, 0x2f800000, v3
	v_floor_f32_e32 v4, v4
	s_delay_alu instid0(VALU_DEP_1) | instskip(SKIP_1) | instid1(VALU_DEP_2)
	v_fmamk_f32 v3, v4, 0xcf800000, v3
	v_cvt_u32_f32_e32 v4, v4
	v_cvt_u32_f32_e32 v3, v3
	global_store_b64 v[0:1], v[3:4], off
.LBB127_3129:
	s_mov_b32 s2, 0
.LBB127_3130:
	s_delay_alu instid0(SALU_CYCLE_1)
	s_and_b32 vcc_lo, exec_lo, s2
	s_cbranch_vccz .LBB127_3145
; %bb.3131:
	v_cmp_lt_i16_e64 s2, s3, 27
	s_delay_alu instid0(VALU_DEP_1)
	s_and_b32 vcc_lo, exec_lo, s2
	s_mov_b32 s2, -1
	s_cbranch_vccnz .LBB127_3137
; %bb.3132:
	v_cmp_gt_i16_e64 s2, s3, 27
	s_delay_alu instid0(VALU_DEP_1)
	s_and_b32 vcc_lo, exec_lo, s2
	s_mov_b32 s2, -1
	s_cbranch_vccz .LBB127_3134
; %bb.3133:
	v_cvt_u32_f32_e32 v3, v2
	s_mov_b32 s2, 0
	global_store_b32 v[0:1], v3, off
.LBB127_3134:
	s_and_not1_b32 vcc_lo, exec_lo, s2
	s_cbranch_vccnz .LBB127_3136
; %bb.3135:
	v_cvt_u32_f32_e32 v3, v2
	global_store_b16 v[0:1], v3, off
.LBB127_3136:
	s_mov_b32 s2, 0
.LBB127_3137:
	s_delay_alu instid0(SALU_CYCLE_1)
	s_and_not1_b32 vcc_lo, exec_lo, s2
	s_cbranch_vccnz .LBB127_3145
; %bb.3138:
	v_and_b32_e32 v3, 0x7fffffff, v2
	v_mov_b32_e32 v4, 0x80
	s_mov_b32 s2, exec_lo
	s_delay_alu instid0(VALU_DEP_2)
	v_cmpx_gt_u32_e32 0x43800000, v3
	s_cbranch_execz .LBB127_3144
; %bb.3139:
	v_cmp_lt_u32_e32 vcc_lo, 0x3bffffff, v3
	s_mov_b32 s4, 0
                                        ; implicit-def: $vgpr3
	s_and_saveexec_b32 s5, vcc_lo
	s_delay_alu instid0(SALU_CYCLE_1)
	s_xor_b32 s5, exec_lo, s5
	s_cbranch_execz .LBB127_3188
; %bb.3140:
	v_bfe_u32 v3, v2, 20, 1
	s_mov_b32 s4, exec_lo
	s_delay_alu instid0(VALU_DEP_1) | instskip(NEXT) | instid1(VALU_DEP_1)
	v_add3_u32 v3, v2, v3, 0x487ffff
	v_lshrrev_b32_e32 v3, 20, v3
	s_or_saveexec_b32 s5, s5
                                        ; implicit-def: $sgpr7
	s_delay_alu instid0(SALU_CYCLE_1)
	s_xor_b32 exec_lo, exec_lo, s5
	s_cbranch_execnz .LBB127_3189
.LBB127_3141:
	s_or_b32 exec_lo, exec_lo, s5
	v_mov_b32_e32 v4, s7
	s_and_saveexec_b32 s5, s4
.LBB127_3142:
	v_lshrrev_b32_e32 v4, 24, v2
	s_delay_alu instid0(VALU_DEP_1)
	v_and_or_b32 v4, 0x80, v4, v3
.LBB127_3143:
	s_or_b32 exec_lo, exec_lo, s5
.LBB127_3144:
	s_delay_alu instid0(SALU_CYCLE_1)
	s_or_b32 exec_lo, exec_lo, s2
	global_store_b8 v[0:1], v4, off
.LBB127_3145:
	s_mov_b32 s2, 0
.LBB127_3146:
	s_delay_alu instid0(SALU_CYCLE_1)
	s_and_b32 vcc_lo, exec_lo, s2
	s_cbranch_vccz .LBB127_3186
; %bb.3147:
	v_cmp_gt_i16_e64 s2, s3, 22
	s_delay_alu instid0(VALU_DEP_1)
	s_and_b32 vcc_lo, exec_lo, s2
	s_mov_b32 s2, -1
	s_cbranch_vccz .LBB127_3179
; %bb.3148:
	v_cmp_lt_i16_e64 s2, s3, 24
	s_delay_alu instid0(VALU_DEP_1)
	s_and_b32 vcc_lo, exec_lo, s2
	s_mov_b32 s2, -1
	s_cbranch_vccnz .LBB127_3168
; %bb.3149:
	v_cmp_gt_i16_e64 s2, s3, 24
	s_delay_alu instid0(VALU_DEP_1)
	s_and_b32 vcc_lo, exec_lo, s2
	s_mov_b32 s2, -1
	s_cbranch_vccz .LBB127_3157
; %bb.3150:
	v_and_b32_e32 v3, 0x7fffffff, v2
	v_mov_b32_e32 v4, 0x80
	s_mov_b32 s2, exec_lo
	s_delay_alu instid0(VALU_DEP_2)
	v_cmpx_gt_u32_e32 0x47800000, v3
	s_cbranch_execz .LBB127_3156
; %bb.3151:
	v_cmp_lt_u32_e32 vcc_lo, 0x37ffffff, v3
	s_mov_b32 s4, 0
                                        ; implicit-def: $vgpr3
	s_and_saveexec_b32 s5, vcc_lo
	s_delay_alu instid0(SALU_CYCLE_1)
	s_xor_b32 s5, exec_lo, s5
	s_cbranch_execz .LBB127_3194
; %bb.3152:
	v_bfe_u32 v3, v2, 21, 1
	s_mov_b32 s4, exec_lo
	s_delay_alu instid0(VALU_DEP_1) | instskip(NEXT) | instid1(VALU_DEP_1)
	v_add3_u32 v3, v2, v3, 0x88fffff
	v_lshrrev_b32_e32 v3, 21, v3
	s_or_saveexec_b32 s5, s5
                                        ; implicit-def: $sgpr6
	s_delay_alu instid0(SALU_CYCLE_1)
	s_xor_b32 exec_lo, exec_lo, s5
	s_cbranch_execnz .LBB127_3195
.LBB127_3153:
	s_or_b32 exec_lo, exec_lo, s5
	v_mov_b32_e32 v4, s6
	s_and_saveexec_b32 s5, s4
.LBB127_3154:
	v_lshrrev_b32_e32 v4, 24, v2
	s_delay_alu instid0(VALU_DEP_1)
	v_and_or_b32 v4, 0x80, v4, v3
.LBB127_3155:
	s_or_b32 exec_lo, exec_lo, s5
.LBB127_3156:
	s_delay_alu instid0(SALU_CYCLE_1)
	s_or_b32 exec_lo, exec_lo, s2
	s_mov_b32 s2, 0
	global_store_b8 v[0:1], v4, off
.LBB127_3157:
	s_and_b32 vcc_lo, exec_lo, s2
	s_cbranch_vccz .LBB127_3167
; %bb.3158:
	v_and_b32_e32 v4, 0x7fffffff, v2
	s_mov_b32 s2, exec_lo
                                        ; implicit-def: $vgpr3
	s_delay_alu instid0(VALU_DEP_1)
	v_cmpx_gt_u32_e32 0x43f00000, v4
	s_xor_b32 s2, exec_lo, s2
	s_cbranch_execz .LBB127_3164
; %bb.3159:
	s_mov_b32 s4, exec_lo
                                        ; implicit-def: $vgpr3
	v_cmpx_lt_u32_e32 0x3c7fffff, v4
	s_xor_b32 s4, exec_lo, s4
; %bb.3160:
	v_bfe_u32 v3, v2, 20, 1
	s_delay_alu instid0(VALU_DEP_1) | instskip(NEXT) | instid1(VALU_DEP_1)
	v_add3_u32 v3, v2, v3, 0x407ffff
	v_and_b32_e32 v4, 0xff00000, v3
	v_lshrrev_b32_e32 v3, 20, v3
	s_delay_alu instid0(VALU_DEP_2) | instskip(NEXT) | instid1(VALU_DEP_2)
	v_cmp_ne_u32_e32 vcc_lo, 0x7f00000, v4
	v_cndmask_b32_e32 v3, 0x7e, v3, vcc_lo
; %bb.3161:
	s_and_not1_saveexec_b32 s4, s4
; %bb.3162:
	v_add_f32_e64 v3, 0x46800000, |v2|
; %bb.3163:
	s_or_b32 exec_lo, exec_lo, s4
                                        ; implicit-def: $vgpr4
.LBB127_3164:
	s_and_not1_saveexec_b32 s2, s2
; %bb.3165:
	v_mov_b32_e32 v3, 0x7f
	v_cmp_lt_u32_e32 vcc_lo, 0x7f800000, v4
	s_delay_alu instid0(VALU_DEP_2)
	v_cndmask_b32_e32 v3, 0x7e, v3, vcc_lo
; %bb.3166:
	s_or_b32 exec_lo, exec_lo, s2
	v_lshrrev_b32_e32 v4, 24, v2
	s_delay_alu instid0(VALU_DEP_1)
	v_and_or_b32 v3, 0x80, v4, v3
	global_store_b8 v[0:1], v3, off
.LBB127_3167:
	s_mov_b32 s2, 0
.LBB127_3168:
	s_delay_alu instid0(SALU_CYCLE_1)
	s_and_not1_b32 vcc_lo, exec_lo, s2
	s_cbranch_vccnz .LBB127_3178
; %bb.3169:
	v_and_b32_e32 v4, 0x7fffffff, v2
	s_mov_b32 s2, exec_lo
                                        ; implicit-def: $vgpr3
	s_delay_alu instid0(VALU_DEP_1)
	v_cmpx_gt_u32_e32 0x47800000, v4
	s_xor_b32 s2, exec_lo, s2
	s_cbranch_execz .LBB127_3175
; %bb.3170:
	s_mov_b32 s4, exec_lo
                                        ; implicit-def: $vgpr3
	v_cmpx_lt_u32_e32 0x387fffff, v4
	s_xor_b32 s4, exec_lo, s4
; %bb.3171:
	v_bfe_u32 v3, v2, 21, 1
	s_delay_alu instid0(VALU_DEP_1) | instskip(NEXT) | instid1(VALU_DEP_1)
	v_add3_u32 v3, v2, v3, 0x80fffff
	v_lshrrev_b32_e32 v3, 21, v3
; %bb.3172:
	s_and_not1_saveexec_b32 s4, s4
; %bb.3173:
	v_add_f32_e64 v3, 0x43000000, |v2|
; %bb.3174:
	s_or_b32 exec_lo, exec_lo, s4
                                        ; implicit-def: $vgpr4
.LBB127_3175:
	s_and_not1_saveexec_b32 s2, s2
; %bb.3176:
	v_mov_b32_e32 v3, 0x7f
	v_cmp_lt_u32_e32 vcc_lo, 0x7f800000, v4
	s_delay_alu instid0(VALU_DEP_2)
	v_cndmask_b32_e32 v3, 0x7c, v3, vcc_lo
; %bb.3177:
	s_or_b32 exec_lo, exec_lo, s2
	v_lshrrev_b32_e32 v4, 24, v2
	s_delay_alu instid0(VALU_DEP_1)
	v_and_or_b32 v3, 0x80, v4, v3
	global_store_b8 v[0:1], v3, off
.LBB127_3178:
	s_mov_b32 s2, 0
.LBB127_3179:
	s_delay_alu instid0(SALU_CYCLE_1)
	s_and_not1_b32 vcc_lo, exec_lo, s2
	s_mov_b32 s6, 0
	s_cbranch_vccnz .LBB127_3186
; %bb.3180:
	v_cmp_gt_i16_e64 s2, s3, 14
	s_delay_alu instid0(VALU_DEP_1)
	s_and_b32 vcc_lo, exec_lo, s2
	s_mov_b32 s2, -1
	s_cbranch_vccz .LBB127_3184
; %bb.3181:
	v_cmp_eq_u16_e64 s0, s3, 15
	s_delay_alu instid0(VALU_DEP_1)
	s_and_b32 vcc_lo, exec_lo, s0
	s_mov_b32 s0, -1
	s_cbranch_vccz .LBB127_3183
; %bb.3182:
	v_bfe_u32 v3, v2, 16, 1
	v_cmp_o_f32_e32 vcc_lo, v2, v2
	s_mov_b32 s0, 0
	s_delay_alu instid0(VALU_DEP_2) | instskip(NEXT) | instid1(VALU_DEP_1)
	v_add3_u32 v3, v2, v3, 0x7fff
	v_lshrrev_b32_e32 v3, 16, v3
	s_delay_alu instid0(VALU_DEP_1)
	v_cndmask_b32_e32 v3, 0x7fc0, v3, vcc_lo
	global_store_b16 v[0:1], v3, off
.LBB127_3183:
	s_mov_b32 s2, 0
.LBB127_3184:
	s_delay_alu instid0(SALU_CYCLE_1)
	s_and_b32 vcc_lo, exec_lo, s2
	s_cbranch_vccz .LBB127_3186
; %bb.3185:
	v_cmp_ne_u16_e64 s0, s3, 11
	s_mov_b32 s6, -1
.LBB127_3186:
	s_delay_alu instid0(VALU_DEP_1)
	s_and_b32 vcc_lo, exec_lo, s0
	s_cbranch_vccnz .LBB127_3192
.LBB127_3187:
	s_mov_b32 s0, 0
	s_branch .LBB127_3065
.LBB127_3188:
	s_or_saveexec_b32 s5, s5
                                        ; implicit-def: $sgpr7
	s_delay_alu instid0(SALU_CYCLE_1)
	s_xor_b32 exec_lo, exec_lo, s5
	s_cbranch_execz .LBB127_3141
.LBB127_3189:
	v_add_f32_e64 v3, 0x46000000, |v2|
	s_and_not1_b32 s4, s4, exec_lo
	s_mov_b32 s7, 0
	s_delay_alu instid0(VALU_DEP_1) | instskip(NEXT) | instid1(VALU_DEP_1)
	v_and_b32_e32 v3, 0xff, v3
	v_cmp_ne_u32_e32 vcc_lo, 0, v3
	s_and_b32 s10, vcc_lo, exec_lo
	s_delay_alu instid0(SALU_CYCLE_1)
	s_or_b32 s4, s4, s10
	s_or_b32 exec_lo, exec_lo, s5
	v_mov_b32_e32 v4, s7
	s_and_saveexec_b32 s5, s4
	s_cbranch_execnz .LBB127_3142
	s_branch .LBB127_3143
.LBB127_3190:
	s_trap 2
	s_sendmsg_rtn_b32 s0, sendmsg(MSG_RTN_GET_DOORBELL)
	s_mov_b32 ttmp2, m0
	s_waitcnt lgkmcnt(0)
	s_and_b32 s0, s0, 0x3ff
	s_delay_alu instid0(SALU_CYCLE_1) | instskip(NEXT) | instid1(SALU_CYCLE_1)
	s_bitset1_b32 s0, 10
	s_mov_b32 m0, s0
	s_sendmsg sendmsg(MSG_INTERRUPT)
	s_mov_b32 m0, ttmp2
.LBB127_3191:                           ; =>This Inner Loop Header: Depth=1
	s_sethalt 5
	s_branch .LBB127_3191
.LBB127_3192:
	s_cbranch_execnz .LBB127_3196
; %bb.3193:
	s_mov_b32 s6, 0
	s_or_b32 s1, s1, exec_lo
	s_branch .LBB127_3187
.LBB127_3194:
	s_or_saveexec_b32 s5, s5
                                        ; implicit-def: $sgpr6
	s_delay_alu instid0(SALU_CYCLE_1)
	s_xor_b32 exec_lo, exec_lo, s5
	s_cbranch_execz .LBB127_3153
.LBB127_3195:
	v_add_f32_e64 v3, 0x42800000, |v2|
	s_and_not1_b32 s4, s4, exec_lo
	s_mov_b32 s6, 0
	s_delay_alu instid0(VALU_DEP_1) | instskip(NEXT) | instid1(VALU_DEP_1)
	v_and_b32_e32 v3, 0xff, v3
	v_cmp_ne_u32_e32 vcc_lo, 0, v3
	s_and_b32 s7, vcc_lo, exec_lo
	s_delay_alu instid0(SALU_CYCLE_1)
	s_or_b32 s4, s4, s7
	s_or_b32 exec_lo, exec_lo, s5
	v_mov_b32_e32 v4, s6
	s_and_saveexec_b32 s5, s4
	s_cbranch_execnz .LBB127_3154
	s_branch .LBB127_3155
.LBB127_3196:
	s_trap 2
	s_sendmsg_rtn_b32 s0, sendmsg(MSG_RTN_GET_DOORBELL)
	s_mov_b32 ttmp2, m0
	s_waitcnt lgkmcnt(0)
	s_and_b32 s0, s0, 0x3ff
	s_delay_alu instid0(SALU_CYCLE_1) | instskip(NEXT) | instid1(SALU_CYCLE_1)
	s_bitset1_b32 s0, 10
	s_mov_b32 m0, s0
	s_sendmsg sendmsg(MSG_INTERRUPT)
	s_mov_b32 m0, ttmp2
.LBB127_3197:                           ; =>This Inner Loop Header: Depth=1
	s_sethalt 5
	s_branch .LBB127_3197
	.section	.rodata,"a",@progbits
	.p2align	6, 0x0
	.amdhsa_kernel _ZN2at6native32elementwise_kernel_manual_unrollILi128ELi4EZNS0_15gpu_kernel_implIZNS0_12_GLOBAL__N_119masked_scale_kernelIbffEEvRNS_6TensorERKS5_S8_T1_EUlfbE_EEvRNS_18TensorIteratorBaseERKT_EUlibE0_EEviS9_
		.amdhsa_group_segment_fixed_size 0
		.amdhsa_private_segment_fixed_size 0
		.amdhsa_kernarg_size 432
		.amdhsa_user_sgpr_count 15
		.amdhsa_user_sgpr_dispatch_ptr 0
		.amdhsa_user_sgpr_queue_ptr 0
		.amdhsa_user_sgpr_kernarg_segment_ptr 1
		.amdhsa_user_sgpr_dispatch_id 0
		.amdhsa_user_sgpr_private_segment_size 0
		.amdhsa_wavefront_size32 1
		.amdhsa_uses_dynamic_stack 0
		.amdhsa_enable_private_segment 0
		.amdhsa_system_sgpr_workgroup_id_x 1
		.amdhsa_system_sgpr_workgroup_id_y 0
		.amdhsa_system_sgpr_workgroup_id_z 0
		.amdhsa_system_sgpr_workgroup_info 0
		.amdhsa_system_vgpr_workitem_id 0
		.amdhsa_next_free_vgpr 20
		.amdhsa_next_free_sgpr 62
		.amdhsa_reserve_vcc 1
		.amdhsa_float_round_mode_32 0
		.amdhsa_float_round_mode_16_64 0
		.amdhsa_float_denorm_mode_32 3
		.amdhsa_float_denorm_mode_16_64 3
		.amdhsa_dx10_clamp 1
		.amdhsa_ieee_mode 1
		.amdhsa_fp16_overflow 0
		.amdhsa_workgroup_processor_mode 1
		.amdhsa_memory_ordered 1
		.amdhsa_forward_progress 0
		.amdhsa_shared_vgpr_count 0
		.amdhsa_exception_fp_ieee_invalid_op 0
		.amdhsa_exception_fp_denorm_src 0
		.amdhsa_exception_fp_ieee_div_zero 0
		.amdhsa_exception_fp_ieee_overflow 0
		.amdhsa_exception_fp_ieee_underflow 0
		.amdhsa_exception_fp_ieee_inexact 0
		.amdhsa_exception_int_div_zero 0
	.end_amdhsa_kernel
	.section	.text._ZN2at6native32elementwise_kernel_manual_unrollILi128ELi4EZNS0_15gpu_kernel_implIZNS0_12_GLOBAL__N_119masked_scale_kernelIbffEEvRNS_6TensorERKS5_S8_T1_EUlfbE_EEvRNS_18TensorIteratorBaseERKT_EUlibE0_EEviS9_,"axG",@progbits,_ZN2at6native32elementwise_kernel_manual_unrollILi128ELi4EZNS0_15gpu_kernel_implIZNS0_12_GLOBAL__N_119masked_scale_kernelIbffEEvRNS_6TensorERKS5_S8_T1_EUlfbE_EEvRNS_18TensorIteratorBaseERKT_EUlibE0_EEviS9_,comdat
.Lfunc_end127:
	.size	_ZN2at6native32elementwise_kernel_manual_unrollILi128ELi4EZNS0_15gpu_kernel_implIZNS0_12_GLOBAL__N_119masked_scale_kernelIbffEEvRNS_6TensorERKS5_S8_T1_EUlfbE_EEvRNS_18TensorIteratorBaseERKT_EUlibE0_EEviS9_, .Lfunc_end127-_ZN2at6native32elementwise_kernel_manual_unrollILi128ELi4EZNS0_15gpu_kernel_implIZNS0_12_GLOBAL__N_119masked_scale_kernelIbffEEvRNS_6TensorERKS5_S8_T1_EUlfbE_EEvRNS_18TensorIteratorBaseERKT_EUlibE0_EEviS9_
                                        ; -- End function
	.section	.AMDGPU.csdata,"",@progbits
; Kernel info:
; codeLenInByte = 59784
; NumSgprs: 64
; NumVgprs: 20
; ScratchSize: 0
; MemoryBound: 1
; FloatMode: 240
; IeeeMode: 1
; LDSByteSize: 0 bytes/workgroup (compile time only)
; SGPRBlocks: 7
; VGPRBlocks: 2
; NumSGPRsForWavesPerEU: 64
; NumVGPRsForWavesPerEU: 20
; Occupancy: 16
; WaveLimiterHint : 1
; COMPUTE_PGM_RSRC2:SCRATCH_EN: 0
; COMPUTE_PGM_RSRC2:USER_SGPR: 15
; COMPUTE_PGM_RSRC2:TRAP_HANDLER: 0
; COMPUTE_PGM_RSRC2:TGID_X_EN: 1
; COMPUTE_PGM_RSRC2:TGID_Y_EN: 0
; COMPUTE_PGM_RSRC2:TGID_Z_EN: 0
; COMPUTE_PGM_RSRC2:TIDIG_COMP_CNT: 0
	.section	.text._ZN2at6native29vectorized_elementwise_kernelILi16EZNS0_12_GLOBAL__N_119masked_scale_kernelIbN3c104HalfEfEEvRNS_6TensorERKS6_S9_T1_EUlS5_bE_St5arrayIPcLm3EEEEviT0_SA_,"axG",@progbits,_ZN2at6native29vectorized_elementwise_kernelILi16EZNS0_12_GLOBAL__N_119masked_scale_kernelIbN3c104HalfEfEEvRNS_6TensorERKS6_S9_T1_EUlS5_bE_St5arrayIPcLm3EEEEviT0_SA_,comdat
	.globl	_ZN2at6native29vectorized_elementwise_kernelILi16EZNS0_12_GLOBAL__N_119masked_scale_kernelIbN3c104HalfEfEEvRNS_6TensorERKS6_S9_T1_EUlS5_bE_St5arrayIPcLm3EEEEviT0_SA_ ; -- Begin function _ZN2at6native29vectorized_elementwise_kernelILi16EZNS0_12_GLOBAL__N_119masked_scale_kernelIbN3c104HalfEfEEvRNS_6TensorERKS6_S9_T1_EUlS5_bE_St5arrayIPcLm3EEEEviT0_SA_
	.p2align	8
	.type	_ZN2at6native29vectorized_elementwise_kernelILi16EZNS0_12_GLOBAL__N_119masked_scale_kernelIbN3c104HalfEfEEvRNS_6TensorERKS6_S9_T1_EUlS5_bE_St5arrayIPcLm3EEEEviT0_SA_,@function
_ZN2at6native29vectorized_elementwise_kernelILi16EZNS0_12_GLOBAL__N_119masked_scale_kernelIbN3c104HalfEfEEvRNS_6TensorERKS6_S9_T1_EUlS5_bE_St5arrayIPcLm3EEEEviT0_SA_: ; @_ZN2at6native29vectorized_elementwise_kernelILi16EZNS0_12_GLOBAL__N_119masked_scale_kernelIbN3c104HalfEfEEvRNS_6TensorERKS6_S9_T1_EUlS5_bE_St5arrayIPcLm3EEEEviT0_SA_
; %bb.0:
	s_clause 0x2
	s_load_b64 s[2:3], s[0:1], 0x0
	s_load_b128 s[4:7], s[0:1], 0x8
	s_load_b64 s[10:11], s[0:1], 0x18
	s_lshl_b32 s8, s15, 11
	s_mov_b32 s0, -1
	s_waitcnt lgkmcnt(0)
	s_sub_i32 s2, s2, s8
	s_delay_alu instid0(SALU_CYCLE_1)
	s_cmpk_gt_i32 s2, 0x7ff
	s_cbranch_scc0 .LBB128_2
; %bb.1:
	s_ashr_i32 s9, s8, 31
	v_lshlrev_b32_e32 v7, 4, v0
	s_lshl_b64 s[0:1], s[8:9], 1
	s_delay_alu instid0(SALU_CYCLE_1)
	s_add_u32 s12, s6, s0
	s_addc_u32 s13, s7, s1
	global_load_b128 v[1:4], v7, s[12:13]
	s_add_u32 s12, s10, s8
	s_addc_u32 s13, s11, s9
	s_waitcnt vmcnt(0)
	v_lshrrev_b32_e32 v11, 16, v4
	v_cvt_f32_f16_e32 v4, v4
	v_lshlrev_b32_e32 v5, 3, v0
	v_lshrrev_b32_e32 v8, 16, v1
	v_lshrrev_b32_e32 v9, 16, v2
	;; [unrolled: 1-line block ×3, first 2 shown]
	v_cvt_f32_f16_e32 v1, v1
	global_load_b64 v[5:6], v5, s[12:13]
	v_cvt_f32_f16_e32 v2, v2
	v_cvt_f32_f16_e32 v3, v3
	;; [unrolled: 1-line block ×6, first 2 shown]
	s_add_u32 s12, s4, s0
	s_addc_u32 s13, s5, s1
	s_mov_b32 s0, 0
	s_waitcnt vmcnt(0)
	v_cmp_lt_u32_e32 vcc_lo, 0xffffff, v5
	v_and_b32_e32 v12, 0xff, v5
	v_and_b32_e32 v13, 0xff00, v5
	;; [unrolled: 1-line block ×4, first 2 shown]
	v_cndmask_b32_e64 v5, 0, 1.0, vcc_lo
	v_cmp_lt_u32_e32 vcc_lo, 0xffffff, v6
	v_and_b32_e32 v16, 0xff00, v6
	v_and_b32_e32 v17, 0xff0000, v6
	s_delay_alu instid0(VALU_DEP_4) | instskip(SKIP_2) | instid1(VALU_DEP_2)
	v_mul_f32_e32 v5, v9, v5
	v_cndmask_b32_e64 v6, 0, 1.0, vcc_lo
	v_cmp_ne_u32_e32 vcc_lo, 0, v12
	v_mul_f32_e32 v6, v11, v6
	v_cndmask_b32_e64 v12, 0, 1.0, vcc_lo
	v_cmp_ne_u32_e32 vcc_lo, 0, v13
	s_delay_alu instid0(VALU_DEP_2) | instskip(SKIP_2) | instid1(VALU_DEP_3)
	v_mul_f32_e32 v1, v1, v12
	v_cndmask_b32_e64 v13, 0, 1.0, vcc_lo
	v_cmp_ne_u32_e32 vcc_lo, 0, v14
	v_fma_mixlo_f16 v1, v1, s3, 0
	s_delay_alu instid0(VALU_DEP_3) | instskip(SKIP_2) | instid1(VALU_DEP_3)
	v_mul_f32_e32 v8, v8, v13
	v_cndmask_b32_e64 v14, 0, 1.0, vcc_lo
	v_cmp_ne_u32_e32 vcc_lo, 0, v15
	v_fma_mixhi_f16 v1, v8, s3, 0
	s_delay_alu instid0(VALU_DEP_3) | instskip(SKIP_2) | instid1(VALU_DEP_3)
	v_mul_f32_e32 v2, v2, v14
	v_cndmask_b32_e64 v15, 0, 1.0, vcc_lo
	v_cmp_ne_u32_e32 vcc_lo, 0, v17
	v_fma_mixlo_f16 v2, v2, s3, 0
	s_delay_alu instid0(VALU_DEP_3) | instskip(SKIP_2) | instid1(VALU_DEP_4)
	v_mul_f32_e32 v3, v3, v15
	v_cndmask_b32_e64 v17, 0, 1.0, vcc_lo
	v_cmp_ne_u32_e32 vcc_lo, 0, v16
	v_fma_mixhi_f16 v2, v5, s3, 0
	s_delay_alu instid0(VALU_DEP_4) | instskip(NEXT) | instid1(VALU_DEP_4)
	v_fma_mixlo_f16 v3, v3, s3, 0
	v_mul_f32_e32 v4, v4, v17
	v_cndmask_b32_e64 v16, 0, 1.0, vcc_lo
	s_delay_alu instid0(VALU_DEP_2) | instskip(NEXT) | instid1(VALU_DEP_2)
	v_fma_mixlo_f16 v4, v4, s3, 0
	v_mul_f32_e32 v9, v10, v16
	s_delay_alu instid0(VALU_DEP_2) | instskip(NEXT) | instid1(VALU_DEP_2)
	v_fma_mixhi_f16 v4, v6, s3, 0
	v_fma_mixhi_f16 v3, v9, s3, 0
	global_store_b128 v7, v[1:4], s[12:13]
.LBB128_2:
	s_and_not1_b32 vcc_lo, exec_lo, s0
	s_cbranch_vccnz .LBB128_26
; %bb.3:
	v_cmp_gt_i32_e32 vcc_lo, s2, v0
	v_dual_mov_b32 v3, 0 :: v_dual_mov_b32 v6, 0
	v_or_b32_e32 v1, s8, v0
	v_or_b32_e32 v4, 0x100, v0
	v_dual_mov_b32 v7, 0 :: v_dual_mov_b32 v2, v0
	s_and_saveexec_b32 s1, vcc_lo
	s_cbranch_execz .LBB128_5
; %bb.4:
	v_mov_b32_e32 v2, 0
	s_delay_alu instid0(VALU_DEP_1) | instskip(SKIP_1) | instid1(VALU_DEP_2)
	v_lshlrev_b64 v[5:6], 1, v[1:2]
	v_or_b32_e32 v2, 0x100, v0
	v_add_co_u32 v5, s0, s6, v5
	s_delay_alu instid0(VALU_DEP_1)
	v_add_co_ci_u32_e64 v6, s0, s7, v6, s0
	global_load_u8 v7, v1, s[10:11]
	global_load_u16 v5, v[5:6], off
	s_waitcnt vmcnt(1)
	v_cmp_ne_u16_e64 s0, 0, v7
	s_waitcnt vmcnt(0)
	v_cvt_f32_f16_e32 v6, v5
	s_delay_alu instid0(VALU_DEP_2)
	v_cndmask_b32_e64 v7, 0, 1.0, s0
.LBB128_5:
	s_or_b32 exec_lo, exec_lo, s1
	v_mov_b32_e32 v9, 0
	s_mov_b32 s1, exec_lo
	v_cmpx_gt_i32_e64 s2, v2
	s_cbranch_execz .LBB128_7
; %bb.6:
	v_dual_mov_b32 v9, 0 :: v_dual_add_nc_u32 v8, s8, v2
	v_add_nc_u32_e32 v2, 0x100, v2
	s_delay_alu instid0(VALU_DEP_2) | instskip(NEXT) | instid1(VALU_DEP_1)
	v_lshlrev_b64 v[9:10], 1, v[8:9]
	v_add_co_u32 v9, s0, s6, v9
	s_delay_alu instid0(VALU_DEP_1)
	v_add_co_ci_u32_e64 v10, s0, s7, v10, s0
	global_load_u8 v3, v8, s[10:11]
	global_load_u16 v5, v[9:10], off
	s_waitcnt vmcnt(1)
	v_cmp_ne_u16_e64 s0, 0, v3
	s_waitcnt vmcnt(0)
	v_cvt_f32_f16_e32 v3, v5
	s_delay_alu instid0(VALU_DEP_2)
	v_cndmask_b32_e64 v9, 0, 1.0, s0
.LBB128_7:
	s_or_b32 exec_lo, exec_lo, s1
	v_dual_mov_b32 v5, 0 :: v_dual_mov_b32 v10, 0
	v_mov_b32_e32 v11, 0
	s_mov_b32 s1, exec_lo
	v_cmpx_gt_i32_e64 s2, v2
	s_cbranch_execz .LBB128_9
; %bb.8:
	v_dual_mov_b32 v11, 0 :: v_dual_add_nc_u32 v10, s8, v2
	v_add_nc_u32_e32 v2, 0x100, v2
	s_delay_alu instid0(VALU_DEP_2) | instskip(NEXT) | instid1(VALU_DEP_1)
	v_lshlrev_b64 v[11:12], 1, v[10:11]
	v_add_co_u32 v11, s0, s6, v11
	s_delay_alu instid0(VALU_DEP_1)
	v_add_co_ci_u32_e64 v12, s0, s7, v12, s0
	global_load_u8 v8, v10, s[10:11]
	global_load_u16 v10, v[11:12], off
	s_waitcnt vmcnt(1)
	v_cmp_ne_u16_e64 s0, 0, v8
	s_waitcnt vmcnt(0)
	v_cvt_f32_f16_e32 v10, v10
	s_delay_alu instid0(VALU_DEP_2)
	v_cndmask_b32_e64 v11, 0, 1.0, s0
.LBB128_9:
	s_or_b32 exec_lo, exec_lo, s1
	v_mov_b32_e32 v13, 0
	s_mov_b32 s1, exec_lo
	v_cmpx_gt_i32_e64 s2, v2
	s_cbranch_execz .LBB128_11
; %bb.10:
	v_dual_mov_b32 v13, 0 :: v_dual_add_nc_u32 v12, s8, v2
	v_add_nc_u32_e32 v2, 0x100, v2
	s_delay_alu instid0(VALU_DEP_2) | instskip(NEXT) | instid1(VALU_DEP_1)
	v_lshlrev_b64 v[13:14], 1, v[12:13]
	v_add_co_u32 v13, s0, s6, v13
	s_delay_alu instid0(VALU_DEP_1)
	v_add_co_ci_u32_e64 v14, s0, s7, v14, s0
	global_load_u8 v5, v12, s[10:11]
	global_load_u16 v8, v[13:14], off
	s_waitcnt vmcnt(1)
	v_cmp_ne_u16_e64 s0, 0, v5
	s_waitcnt vmcnt(0)
	v_cvt_f32_f16_e32 v5, v8
	s_delay_alu instid0(VALU_DEP_2)
	v_cndmask_b32_e64 v13, 0, 1.0, s0
.LBB128_11:
	s_or_b32 exec_lo, exec_lo, s1
	v_dual_mov_b32 v8, 0 :: v_dual_mov_b32 v15, 0
	v_mov_b32_e32 v14, 0
	s_mov_b32 s1, exec_lo
	v_cmpx_gt_i32_e64 s2, v2
	s_cbranch_execz .LBB128_13
; %bb.12:
	v_dual_mov_b32 v15, 0 :: v_dual_add_nc_u32 v14, s8, v2
	v_add_nc_u32_e32 v2, 0x100, v2
	s_delay_alu instid0(VALU_DEP_2) | instskip(NEXT) | instid1(VALU_DEP_1)
	v_lshlrev_b64 v[15:16], 1, v[14:15]
	v_add_co_u32 v15, s0, s6, v15
	s_delay_alu instid0(VALU_DEP_1)
	v_add_co_ci_u32_e64 v16, s0, s7, v16, s0
	global_load_u8 v12, v14, s[10:11]
	global_load_u16 v14, v[15:16], off
	s_waitcnt vmcnt(1)
	v_cmp_ne_u16_e64 s0, 0, v12
	s_waitcnt vmcnt(0)
	v_cvt_f32_f16_e32 v14, v14
	s_delay_alu instid0(VALU_DEP_2)
	v_cndmask_b32_e64 v15, 0, 1.0, s0
.LBB128_13:
	s_or_b32 exec_lo, exec_lo, s1
	v_mov_b32_e32 v16, 0
	s_mov_b32 s1, exec_lo
	v_cmpx_gt_i32_e64 s2, v2
	s_cbranch_execz .LBB128_15
; %bb.14:
	v_dual_mov_b32 v17, 0 :: v_dual_add_nc_u32 v16, s8, v2
	v_add_nc_u32_e32 v2, 0x100, v2
	s_delay_alu instid0(VALU_DEP_2) | instskip(NEXT) | instid1(VALU_DEP_1)
	v_lshlrev_b64 v[17:18], 1, v[16:17]
	v_add_co_u32 v17, s0, s6, v17
	s_delay_alu instid0(VALU_DEP_1)
	v_add_co_ci_u32_e64 v18, s0, s7, v18, s0
	global_load_u8 v8, v16, s[10:11]
	global_load_u16 v12, v[17:18], off
	s_waitcnt vmcnt(1)
	v_cmp_ne_u16_e64 s0, 0, v8
	s_waitcnt vmcnt(0)
	v_cvt_f32_f16_e32 v8, v12
	s_delay_alu instid0(VALU_DEP_2)
	v_cndmask_b32_e64 v16, 0, 1.0, s0
.LBB128_15:
	s_or_b32 exec_lo, exec_lo, s1
	v_dual_mov_b32 v12, 0 :: v_dual_mov_b32 v17, 0
	v_mov_b32_e32 v18, 0
	s_mov_b32 s1, exec_lo
	v_cmpx_gt_i32_e64 s2, v2
	s_cbranch_execnz .LBB128_27
; %bb.16:
	s_or_b32 exec_lo, exec_lo, s1
	s_delay_alu instid0(SALU_CYCLE_1)
	s_mov_b32 s1, exec_lo
	v_cmpx_gt_i32_e64 s2, v2
	s_cbranch_execnz .LBB128_28
.LBB128_17:
	s_or_b32 exec_lo, exec_lo, s1
	s_and_saveexec_b32 s0, vcc_lo
	s_cbranch_execnz .LBB128_29
.LBB128_18:
	s_or_b32 exec_lo, exec_lo, s0
	s_delay_alu instid0(SALU_CYCLE_1)
	s_mov_b32 s0, exec_lo
	v_cmpx_gt_i32_e64 s2, v0
	s_cbranch_execnz .LBB128_30
.LBB128_19:
	s_or_b32 exec_lo, exec_lo, s0
	s_delay_alu instid0(SALU_CYCLE_1)
	s_mov_b32 s0, exec_lo
	v_cmpx_gt_i32_e64 s2, v0
	s_cbranch_execnz .LBB128_31
.LBB128_20:
	s_or_b32 exec_lo, exec_lo, s0
	s_delay_alu instid0(SALU_CYCLE_1)
	s_mov_b32 s0, exec_lo
	v_cmpx_gt_i32_e64 s2, v0
	s_cbranch_execnz .LBB128_32
.LBB128_21:
	s_or_b32 exec_lo, exec_lo, s0
	s_delay_alu instid0(SALU_CYCLE_1)
	s_mov_b32 s0, exec_lo
	v_cmpx_gt_i32_e64 s2, v0
	s_cbranch_execnz .LBB128_33
.LBB128_22:
	s_or_b32 exec_lo, exec_lo, s0
	s_delay_alu instid0(SALU_CYCLE_1)
	s_mov_b32 s0, exec_lo
	v_cmpx_gt_i32_e64 s2, v0
	s_cbranch_execnz .LBB128_34
.LBB128_23:
	s_or_b32 exec_lo, exec_lo, s0
	s_delay_alu instid0(SALU_CYCLE_1)
	s_mov_b32 s0, exec_lo
	v_cmpx_gt_i32_e64 s2, v0
	s_cbranch_execnz .LBB128_35
.LBB128_24:
	s_or_b32 exec_lo, exec_lo, s0
	s_delay_alu instid0(SALU_CYCLE_1)
	s_mov_b32 s0, exec_lo
	v_cmpx_gt_i32_e64 s2, v0
	s_cbranch_execz .LBB128_26
.LBB128_25:
	v_dual_mov_b32 v1, 0 :: v_dual_add_nc_u32 v0, s8, v0
	v_fma_mixlo_f16 v2, v12, s3, 0
	s_delay_alu instid0(VALU_DEP_2) | instskip(NEXT) | instid1(VALU_DEP_1)
	v_lshlrev_b64 v[0:1], 1, v[0:1]
	v_add_co_u32 v0, vcc_lo, s4, v0
	s_delay_alu instid0(VALU_DEP_2)
	v_add_co_ci_u32_e32 v1, vcc_lo, s5, v1, vcc_lo
	global_store_b16 v[0:1], v2, off
.LBB128_26:
	s_nop 0
	s_sendmsg sendmsg(MSG_DEALLOC_VGPRS)
	s_endpgm
.LBB128_27:
	v_dual_mov_b32 v18, 0 :: v_dual_add_nc_u32 v17, s8, v2
	v_add_nc_u32_e32 v2, 0x100, v2
	s_delay_alu instid0(VALU_DEP_2) | instskip(NEXT) | instid1(VALU_DEP_1)
	v_lshlrev_b64 v[18:19], 1, v[17:18]
	v_add_co_u32 v18, s0, s6, v18
	s_delay_alu instid0(VALU_DEP_1)
	v_add_co_ci_u32_e64 v19, s0, s7, v19, s0
	global_load_u8 v17, v17, s[10:11]
	global_load_u16 v19, v[18:19], off
	s_waitcnt vmcnt(1)
	v_cmp_ne_u16_e64 s0, 0, v17
	s_waitcnt vmcnt(0)
	v_cvt_f32_f16_e32 v17, v19
	s_delay_alu instid0(VALU_DEP_2) | instskip(SKIP_1) | instid1(SALU_CYCLE_1)
	v_cndmask_b32_e64 v18, 0, 1.0, s0
	s_or_b32 exec_lo, exec_lo, s1
	s_mov_b32 s1, exec_lo
	v_cmpx_gt_i32_e64 s2, v2
	s_cbranch_execz .LBB128_17
.LBB128_28:
	v_dual_mov_b32 v20, 0 :: v_dual_add_nc_u32 v19, s8, v2
	s_delay_alu instid0(VALU_DEP_1) | instskip(NEXT) | instid1(VALU_DEP_1)
	v_lshlrev_b64 v[20:21], 1, v[19:20]
	v_add_co_u32 v20, s0, s6, v20
	s_delay_alu instid0(VALU_DEP_1)
	v_add_co_ci_u32_e64 v21, s0, s7, v21, s0
	global_load_u8 v2, v19, s[10:11]
	global_load_u16 v12, v[20:21], off
	s_waitcnt vmcnt(1)
	v_cmp_ne_u16_e64 s0, 0, v2
	s_waitcnt vmcnt(0)
	v_cvt_f32_f16_e32 v12, v12
	s_delay_alu instid0(VALU_DEP_2) | instskip(NEXT) | instid1(VALU_DEP_1)
	v_cndmask_b32_e64 v2, 0, 1.0, s0
	v_mul_f32_e32 v12, v12, v2
	s_or_b32 exec_lo, exec_lo, s1
	s_and_saveexec_b32 s0, vcc_lo
	s_cbranch_execz .LBB128_18
.LBB128_29:
	v_mov_b32_e32 v2, 0
	v_mul_f32_e32 v6, v6, v7
	s_delay_alu instid0(VALU_DEP_2) | instskip(NEXT) | instid1(VALU_DEP_2)
	v_lshlrev_b64 v[0:1], 1, v[1:2]
	v_fma_mixlo_f16 v2, v6, s3, 0
	s_delay_alu instid0(VALU_DEP_2) | instskip(NEXT) | instid1(VALU_DEP_3)
	v_add_co_u32 v6, vcc_lo, s4, v0
	v_add_co_ci_u32_e32 v7, vcc_lo, s5, v1, vcc_lo
	v_mov_b32_e32 v0, v4
	global_store_b16 v[6:7], v2, off
	s_or_b32 exec_lo, exec_lo, s0
	s_delay_alu instid0(SALU_CYCLE_1)
	s_mov_b32 s0, exec_lo
	v_cmpx_gt_i32_e64 s2, v0
	s_cbranch_execz .LBB128_19
.LBB128_30:
	v_dual_mov_b32 v2, 0 :: v_dual_add_nc_u32 v1, s8, v0
	v_dual_mul_f32 v3, v3, v9 :: v_dual_add_nc_u32 v0, 0x100, v0
	s_delay_alu instid0(VALU_DEP_2) | instskip(NEXT) | instid1(VALU_DEP_2)
	v_lshlrev_b64 v[1:2], 1, v[1:2]
	v_fma_mixlo_f16 v3, v3, s3, 0
	s_delay_alu instid0(VALU_DEP_2) | instskip(NEXT) | instid1(VALU_DEP_3)
	v_add_co_u32 v1, vcc_lo, s4, v1
	v_add_co_ci_u32_e32 v2, vcc_lo, s5, v2, vcc_lo
	global_store_b16 v[1:2], v3, off
	s_or_b32 exec_lo, exec_lo, s0
	s_delay_alu instid0(SALU_CYCLE_1)
	s_mov_b32 s0, exec_lo
	v_cmpx_gt_i32_e64 s2, v0
	s_cbranch_execz .LBB128_20
.LBB128_31:
	v_dual_mov_b32 v2, 0 :: v_dual_add_nc_u32 v1, s8, v0
	v_dual_mul_f32 v3, v10, v11 :: v_dual_add_nc_u32 v0, 0x100, v0
	s_delay_alu instid0(VALU_DEP_2) | instskip(NEXT) | instid1(VALU_DEP_2)
	v_lshlrev_b64 v[1:2], 1, v[1:2]
	v_fma_mixlo_f16 v3, v3, s3, 0
	s_delay_alu instid0(VALU_DEP_2) | instskip(NEXT) | instid1(VALU_DEP_3)
	v_add_co_u32 v1, vcc_lo, s4, v1
	v_add_co_ci_u32_e32 v2, vcc_lo, s5, v2, vcc_lo
	global_store_b16 v[1:2], v3, off
	s_or_b32 exec_lo, exec_lo, s0
	s_delay_alu instid0(SALU_CYCLE_1)
	s_mov_b32 s0, exec_lo
	v_cmpx_gt_i32_e64 s2, v0
	s_cbranch_execz .LBB128_21
.LBB128_32:
	v_dual_mov_b32 v2, 0 :: v_dual_add_nc_u32 v1, s8, v0
	v_dual_mul_f32 v3, v5, v13 :: v_dual_add_nc_u32 v0, 0x100, v0
	s_delay_alu instid0(VALU_DEP_2) | instskip(NEXT) | instid1(VALU_DEP_2)
	v_lshlrev_b64 v[1:2], 1, v[1:2]
	v_fma_mixlo_f16 v3, v3, s3, 0
	s_delay_alu instid0(VALU_DEP_2) | instskip(NEXT) | instid1(VALU_DEP_3)
	v_add_co_u32 v1, vcc_lo, s4, v1
	v_add_co_ci_u32_e32 v2, vcc_lo, s5, v2, vcc_lo
	global_store_b16 v[1:2], v3, off
	s_or_b32 exec_lo, exec_lo, s0
	s_delay_alu instid0(SALU_CYCLE_1)
	s_mov_b32 s0, exec_lo
	v_cmpx_gt_i32_e64 s2, v0
	s_cbranch_execz .LBB128_22
.LBB128_33:
	v_dual_mov_b32 v2, 0 :: v_dual_add_nc_u32 v1, s8, v0
	v_dual_mul_f32 v3, v14, v15 :: v_dual_add_nc_u32 v0, 0x100, v0
	s_delay_alu instid0(VALU_DEP_2) | instskip(NEXT) | instid1(VALU_DEP_2)
	v_lshlrev_b64 v[1:2], 1, v[1:2]
	v_fma_mixlo_f16 v3, v3, s3, 0
	s_delay_alu instid0(VALU_DEP_2) | instskip(NEXT) | instid1(VALU_DEP_3)
	v_add_co_u32 v1, vcc_lo, s4, v1
	v_add_co_ci_u32_e32 v2, vcc_lo, s5, v2, vcc_lo
	global_store_b16 v[1:2], v3, off
	s_or_b32 exec_lo, exec_lo, s0
	s_delay_alu instid0(SALU_CYCLE_1)
	s_mov_b32 s0, exec_lo
	v_cmpx_gt_i32_e64 s2, v0
	s_cbranch_execz .LBB128_23
.LBB128_34:
	v_dual_mov_b32 v2, 0 :: v_dual_add_nc_u32 v1, s8, v0
	v_mul_f32_e32 v3, v8, v16
	v_add_nc_u32_e32 v0, 0x100, v0
	s_delay_alu instid0(VALU_DEP_3) | instskip(NEXT) | instid1(VALU_DEP_3)
	v_lshlrev_b64 v[1:2], 1, v[1:2]
	v_fma_mixlo_f16 v3, v3, s3, 0
	s_delay_alu instid0(VALU_DEP_2) | instskip(NEXT) | instid1(VALU_DEP_3)
	v_add_co_u32 v1, vcc_lo, s4, v1
	v_add_co_ci_u32_e32 v2, vcc_lo, s5, v2, vcc_lo
	global_store_b16 v[1:2], v3, off
	s_or_b32 exec_lo, exec_lo, s0
	s_delay_alu instid0(SALU_CYCLE_1)
	s_mov_b32 s0, exec_lo
	v_cmpx_gt_i32_e64 s2, v0
	s_cbranch_execz .LBB128_24
.LBB128_35:
	v_dual_mov_b32 v2, 0 :: v_dual_add_nc_u32 v1, s8, v0
	v_dual_mul_f32 v3, v17, v18 :: v_dual_add_nc_u32 v0, 0x100, v0
	s_delay_alu instid0(VALU_DEP_2) | instskip(NEXT) | instid1(VALU_DEP_2)
	v_lshlrev_b64 v[1:2], 1, v[1:2]
	v_fma_mixlo_f16 v3, v3, s3, 0
	s_delay_alu instid0(VALU_DEP_2) | instskip(NEXT) | instid1(VALU_DEP_3)
	v_add_co_u32 v1, vcc_lo, s4, v1
	v_add_co_ci_u32_e32 v2, vcc_lo, s5, v2, vcc_lo
	global_store_b16 v[1:2], v3, off
	s_or_b32 exec_lo, exec_lo, s0
	s_delay_alu instid0(SALU_CYCLE_1)
	s_mov_b32 s0, exec_lo
	v_cmpx_gt_i32_e64 s2, v0
	s_cbranch_execnz .LBB128_25
	s_branch .LBB128_26
	.section	.rodata,"a",@progbits
	.p2align	6, 0x0
	.amdhsa_kernel _ZN2at6native29vectorized_elementwise_kernelILi16EZNS0_12_GLOBAL__N_119masked_scale_kernelIbN3c104HalfEfEEvRNS_6TensorERKS6_S9_T1_EUlS5_bE_St5arrayIPcLm3EEEEviT0_SA_
		.amdhsa_group_segment_fixed_size 0
		.amdhsa_private_segment_fixed_size 0
		.amdhsa_kernarg_size 32
		.amdhsa_user_sgpr_count 15
		.amdhsa_user_sgpr_dispatch_ptr 0
		.amdhsa_user_sgpr_queue_ptr 0
		.amdhsa_user_sgpr_kernarg_segment_ptr 1
		.amdhsa_user_sgpr_dispatch_id 0
		.amdhsa_user_sgpr_private_segment_size 0
		.amdhsa_wavefront_size32 1
		.amdhsa_uses_dynamic_stack 0
		.amdhsa_enable_private_segment 0
		.amdhsa_system_sgpr_workgroup_id_x 1
		.amdhsa_system_sgpr_workgroup_id_y 0
		.amdhsa_system_sgpr_workgroup_id_z 0
		.amdhsa_system_sgpr_workgroup_info 0
		.amdhsa_system_vgpr_workitem_id 0
		.amdhsa_next_free_vgpr 22
		.amdhsa_next_free_sgpr 16
		.amdhsa_reserve_vcc 1
		.amdhsa_float_round_mode_32 0
		.amdhsa_float_round_mode_16_64 0
		.amdhsa_float_denorm_mode_32 3
		.amdhsa_float_denorm_mode_16_64 3
		.amdhsa_dx10_clamp 1
		.amdhsa_ieee_mode 1
		.amdhsa_fp16_overflow 0
		.amdhsa_workgroup_processor_mode 1
		.amdhsa_memory_ordered 1
		.amdhsa_forward_progress 0
		.amdhsa_shared_vgpr_count 0
		.amdhsa_exception_fp_ieee_invalid_op 0
		.amdhsa_exception_fp_denorm_src 0
		.amdhsa_exception_fp_ieee_div_zero 0
		.amdhsa_exception_fp_ieee_overflow 0
		.amdhsa_exception_fp_ieee_underflow 0
		.amdhsa_exception_fp_ieee_inexact 0
		.amdhsa_exception_int_div_zero 0
	.end_amdhsa_kernel
	.section	.text._ZN2at6native29vectorized_elementwise_kernelILi16EZNS0_12_GLOBAL__N_119masked_scale_kernelIbN3c104HalfEfEEvRNS_6TensorERKS6_S9_T1_EUlS5_bE_St5arrayIPcLm3EEEEviT0_SA_,"axG",@progbits,_ZN2at6native29vectorized_elementwise_kernelILi16EZNS0_12_GLOBAL__N_119masked_scale_kernelIbN3c104HalfEfEEvRNS_6TensorERKS6_S9_T1_EUlS5_bE_St5arrayIPcLm3EEEEviT0_SA_,comdat
.Lfunc_end128:
	.size	_ZN2at6native29vectorized_elementwise_kernelILi16EZNS0_12_GLOBAL__N_119masked_scale_kernelIbN3c104HalfEfEEvRNS_6TensorERKS6_S9_T1_EUlS5_bE_St5arrayIPcLm3EEEEviT0_SA_, .Lfunc_end128-_ZN2at6native29vectorized_elementwise_kernelILi16EZNS0_12_GLOBAL__N_119masked_scale_kernelIbN3c104HalfEfEEvRNS_6TensorERKS6_S9_T1_EUlS5_bE_St5arrayIPcLm3EEEEviT0_SA_
                                        ; -- End function
	.section	.AMDGPU.csdata,"",@progbits
; Kernel info:
; codeLenInByte = 2352
; NumSgprs: 18
; NumVgprs: 22
; ScratchSize: 0
; MemoryBound: 0
; FloatMode: 240
; IeeeMode: 1
; LDSByteSize: 0 bytes/workgroup (compile time only)
; SGPRBlocks: 2
; VGPRBlocks: 2
; NumSGPRsForWavesPerEU: 18
; NumVGPRsForWavesPerEU: 22
; Occupancy: 16
; WaveLimiterHint : 0
; COMPUTE_PGM_RSRC2:SCRATCH_EN: 0
; COMPUTE_PGM_RSRC2:USER_SGPR: 15
; COMPUTE_PGM_RSRC2:TRAP_HANDLER: 0
; COMPUTE_PGM_RSRC2:TGID_X_EN: 1
; COMPUTE_PGM_RSRC2:TGID_Y_EN: 0
; COMPUTE_PGM_RSRC2:TGID_Z_EN: 0
; COMPUTE_PGM_RSRC2:TIDIG_COMP_CNT: 0
	.section	.text._ZN2at6native29vectorized_elementwise_kernelILi8EZNS0_12_GLOBAL__N_119masked_scale_kernelIbN3c104HalfEfEEvRNS_6TensorERKS6_S9_T1_EUlS5_bE_St5arrayIPcLm3EEEEviT0_SA_,"axG",@progbits,_ZN2at6native29vectorized_elementwise_kernelILi8EZNS0_12_GLOBAL__N_119masked_scale_kernelIbN3c104HalfEfEEvRNS_6TensorERKS6_S9_T1_EUlS5_bE_St5arrayIPcLm3EEEEviT0_SA_,comdat
	.globl	_ZN2at6native29vectorized_elementwise_kernelILi8EZNS0_12_GLOBAL__N_119masked_scale_kernelIbN3c104HalfEfEEvRNS_6TensorERKS6_S9_T1_EUlS5_bE_St5arrayIPcLm3EEEEviT0_SA_ ; -- Begin function _ZN2at6native29vectorized_elementwise_kernelILi8EZNS0_12_GLOBAL__N_119masked_scale_kernelIbN3c104HalfEfEEvRNS_6TensorERKS6_S9_T1_EUlS5_bE_St5arrayIPcLm3EEEEviT0_SA_
	.p2align	8
	.type	_ZN2at6native29vectorized_elementwise_kernelILi8EZNS0_12_GLOBAL__N_119masked_scale_kernelIbN3c104HalfEfEEvRNS_6TensorERKS6_S9_T1_EUlS5_bE_St5arrayIPcLm3EEEEviT0_SA_,@function
_ZN2at6native29vectorized_elementwise_kernelILi8EZNS0_12_GLOBAL__N_119masked_scale_kernelIbN3c104HalfEfEEvRNS_6TensorERKS6_S9_T1_EUlS5_bE_St5arrayIPcLm3EEEEviT0_SA_: ; @_ZN2at6native29vectorized_elementwise_kernelILi8EZNS0_12_GLOBAL__N_119masked_scale_kernelIbN3c104HalfEfEEvRNS_6TensorERKS6_S9_T1_EUlS5_bE_St5arrayIPcLm3EEEEviT0_SA_
; %bb.0:
	s_clause 0x2
	s_load_b64 s[2:3], s[0:1], 0x0
	s_load_b128 s[4:7], s[0:1], 0x8
	s_load_b64 s[10:11], s[0:1], 0x18
	s_lshl_b32 s8, s15, 11
	s_mov_b32 s0, -1
	s_waitcnt lgkmcnt(0)
	s_sub_i32 s2, s2, s8
	s_delay_alu instid0(SALU_CYCLE_1)
	s_cmpk_gt_i32 s2, 0x7ff
	s_cbranch_scc0 .LBB129_2
; %bb.1:
	s_ashr_i32 s9, s8, 31
	v_lshlrev_b32_e32 v7, 4, v0
	s_lshl_b64 s[0:1], s[8:9], 1
	s_delay_alu instid0(SALU_CYCLE_1)
	s_add_u32 s12, s6, s0
	s_addc_u32 s13, s7, s1
	global_load_b128 v[1:4], v7, s[12:13]
	s_add_u32 s12, s10, s8
	s_addc_u32 s13, s11, s9
	s_waitcnt vmcnt(0)
	v_lshrrev_b32_e32 v11, 16, v4
	v_cvt_f32_f16_e32 v4, v4
	v_lshlrev_b32_e32 v5, 3, v0
	v_lshrrev_b32_e32 v8, 16, v1
	v_lshrrev_b32_e32 v9, 16, v2
	;; [unrolled: 1-line block ×3, first 2 shown]
	v_cvt_f32_f16_e32 v1, v1
	global_load_b64 v[5:6], v5, s[12:13]
	v_cvt_f32_f16_e32 v2, v2
	v_cvt_f32_f16_e32 v3, v3
	;; [unrolled: 1-line block ×6, first 2 shown]
	s_add_u32 s12, s4, s0
	s_addc_u32 s13, s5, s1
	s_mov_b32 s0, 0
	s_waitcnt vmcnt(0)
	v_cmp_lt_u32_e32 vcc_lo, 0xffffff, v5
	v_and_b32_e32 v12, 0xff, v5
	v_and_b32_e32 v13, 0xff00, v5
	;; [unrolled: 1-line block ×4, first 2 shown]
	v_cndmask_b32_e64 v5, 0, 1.0, vcc_lo
	v_cmp_lt_u32_e32 vcc_lo, 0xffffff, v6
	v_and_b32_e32 v16, 0xff00, v6
	v_and_b32_e32 v17, 0xff0000, v6
	s_delay_alu instid0(VALU_DEP_4) | instskip(SKIP_2) | instid1(VALU_DEP_2)
	v_mul_f32_e32 v5, v9, v5
	v_cndmask_b32_e64 v6, 0, 1.0, vcc_lo
	v_cmp_ne_u32_e32 vcc_lo, 0, v12
	v_mul_f32_e32 v6, v11, v6
	v_cndmask_b32_e64 v12, 0, 1.0, vcc_lo
	v_cmp_ne_u32_e32 vcc_lo, 0, v13
	s_delay_alu instid0(VALU_DEP_2) | instskip(SKIP_2) | instid1(VALU_DEP_3)
	v_mul_f32_e32 v1, v1, v12
	v_cndmask_b32_e64 v13, 0, 1.0, vcc_lo
	v_cmp_ne_u32_e32 vcc_lo, 0, v14
	v_fma_mixlo_f16 v1, v1, s3, 0
	s_delay_alu instid0(VALU_DEP_3) | instskip(SKIP_2) | instid1(VALU_DEP_3)
	v_mul_f32_e32 v8, v8, v13
	v_cndmask_b32_e64 v14, 0, 1.0, vcc_lo
	v_cmp_ne_u32_e32 vcc_lo, 0, v15
	v_fma_mixhi_f16 v1, v8, s3, 0
	s_delay_alu instid0(VALU_DEP_3) | instskip(SKIP_2) | instid1(VALU_DEP_3)
	v_mul_f32_e32 v2, v2, v14
	v_cndmask_b32_e64 v15, 0, 1.0, vcc_lo
	v_cmp_ne_u32_e32 vcc_lo, 0, v17
	v_fma_mixlo_f16 v2, v2, s3, 0
	s_delay_alu instid0(VALU_DEP_3) | instskip(SKIP_2) | instid1(VALU_DEP_4)
	v_mul_f32_e32 v3, v3, v15
	v_cndmask_b32_e64 v17, 0, 1.0, vcc_lo
	v_cmp_ne_u32_e32 vcc_lo, 0, v16
	v_fma_mixhi_f16 v2, v5, s3, 0
	s_delay_alu instid0(VALU_DEP_4) | instskip(NEXT) | instid1(VALU_DEP_4)
	v_fma_mixlo_f16 v3, v3, s3, 0
	v_mul_f32_e32 v4, v4, v17
	v_cndmask_b32_e64 v16, 0, 1.0, vcc_lo
	s_delay_alu instid0(VALU_DEP_2) | instskip(NEXT) | instid1(VALU_DEP_2)
	v_fma_mixlo_f16 v4, v4, s3, 0
	v_mul_f32_e32 v9, v10, v16
	s_delay_alu instid0(VALU_DEP_2) | instskip(NEXT) | instid1(VALU_DEP_2)
	v_fma_mixhi_f16 v4, v6, s3, 0
	v_fma_mixhi_f16 v3, v9, s3, 0
	global_store_b128 v7, v[1:4], s[12:13]
.LBB129_2:
	s_and_not1_b32 vcc_lo, exec_lo, s0
	s_cbranch_vccnz .LBB129_26
; %bb.3:
	v_cmp_gt_i32_e32 vcc_lo, s2, v0
	v_dual_mov_b32 v3, 0 :: v_dual_mov_b32 v6, 0
	v_or_b32_e32 v1, s8, v0
	v_or_b32_e32 v4, 0x100, v0
	v_dual_mov_b32 v7, 0 :: v_dual_mov_b32 v2, v0
	s_and_saveexec_b32 s1, vcc_lo
	s_cbranch_execz .LBB129_5
; %bb.4:
	v_mov_b32_e32 v2, 0
	s_delay_alu instid0(VALU_DEP_1) | instskip(SKIP_1) | instid1(VALU_DEP_2)
	v_lshlrev_b64 v[5:6], 1, v[1:2]
	v_or_b32_e32 v2, 0x100, v0
	v_add_co_u32 v5, s0, s6, v5
	s_delay_alu instid0(VALU_DEP_1)
	v_add_co_ci_u32_e64 v6, s0, s7, v6, s0
	global_load_u8 v7, v1, s[10:11]
	global_load_u16 v5, v[5:6], off
	s_waitcnt vmcnt(1)
	v_cmp_ne_u16_e64 s0, 0, v7
	s_waitcnt vmcnt(0)
	v_cvt_f32_f16_e32 v6, v5
	s_delay_alu instid0(VALU_DEP_2)
	v_cndmask_b32_e64 v7, 0, 1.0, s0
.LBB129_5:
	s_or_b32 exec_lo, exec_lo, s1
	v_mov_b32_e32 v9, 0
	s_mov_b32 s1, exec_lo
	v_cmpx_gt_i32_e64 s2, v2
	s_cbranch_execz .LBB129_7
; %bb.6:
	v_dual_mov_b32 v9, 0 :: v_dual_add_nc_u32 v8, s8, v2
	v_add_nc_u32_e32 v2, 0x100, v2
	s_delay_alu instid0(VALU_DEP_2) | instskip(NEXT) | instid1(VALU_DEP_1)
	v_lshlrev_b64 v[9:10], 1, v[8:9]
	v_add_co_u32 v9, s0, s6, v9
	s_delay_alu instid0(VALU_DEP_1)
	v_add_co_ci_u32_e64 v10, s0, s7, v10, s0
	global_load_u8 v3, v8, s[10:11]
	global_load_u16 v5, v[9:10], off
	s_waitcnt vmcnt(1)
	v_cmp_ne_u16_e64 s0, 0, v3
	s_waitcnt vmcnt(0)
	v_cvt_f32_f16_e32 v3, v5
	s_delay_alu instid0(VALU_DEP_2)
	v_cndmask_b32_e64 v9, 0, 1.0, s0
.LBB129_7:
	s_or_b32 exec_lo, exec_lo, s1
	v_dual_mov_b32 v5, 0 :: v_dual_mov_b32 v10, 0
	v_mov_b32_e32 v11, 0
	s_mov_b32 s1, exec_lo
	v_cmpx_gt_i32_e64 s2, v2
	s_cbranch_execz .LBB129_9
; %bb.8:
	v_dual_mov_b32 v11, 0 :: v_dual_add_nc_u32 v10, s8, v2
	v_add_nc_u32_e32 v2, 0x100, v2
	s_delay_alu instid0(VALU_DEP_2) | instskip(NEXT) | instid1(VALU_DEP_1)
	v_lshlrev_b64 v[11:12], 1, v[10:11]
	v_add_co_u32 v11, s0, s6, v11
	s_delay_alu instid0(VALU_DEP_1)
	v_add_co_ci_u32_e64 v12, s0, s7, v12, s0
	global_load_u8 v8, v10, s[10:11]
	global_load_u16 v10, v[11:12], off
	s_waitcnt vmcnt(1)
	v_cmp_ne_u16_e64 s0, 0, v8
	s_waitcnt vmcnt(0)
	v_cvt_f32_f16_e32 v10, v10
	s_delay_alu instid0(VALU_DEP_2)
	v_cndmask_b32_e64 v11, 0, 1.0, s0
.LBB129_9:
	s_or_b32 exec_lo, exec_lo, s1
	v_mov_b32_e32 v13, 0
	s_mov_b32 s1, exec_lo
	v_cmpx_gt_i32_e64 s2, v2
	s_cbranch_execz .LBB129_11
; %bb.10:
	v_dual_mov_b32 v13, 0 :: v_dual_add_nc_u32 v12, s8, v2
	v_add_nc_u32_e32 v2, 0x100, v2
	s_delay_alu instid0(VALU_DEP_2) | instskip(NEXT) | instid1(VALU_DEP_1)
	v_lshlrev_b64 v[13:14], 1, v[12:13]
	v_add_co_u32 v13, s0, s6, v13
	s_delay_alu instid0(VALU_DEP_1)
	v_add_co_ci_u32_e64 v14, s0, s7, v14, s0
	global_load_u8 v5, v12, s[10:11]
	global_load_u16 v8, v[13:14], off
	s_waitcnt vmcnt(1)
	v_cmp_ne_u16_e64 s0, 0, v5
	s_waitcnt vmcnt(0)
	v_cvt_f32_f16_e32 v5, v8
	s_delay_alu instid0(VALU_DEP_2)
	v_cndmask_b32_e64 v13, 0, 1.0, s0
.LBB129_11:
	s_or_b32 exec_lo, exec_lo, s1
	v_dual_mov_b32 v8, 0 :: v_dual_mov_b32 v15, 0
	v_mov_b32_e32 v14, 0
	s_mov_b32 s1, exec_lo
	v_cmpx_gt_i32_e64 s2, v2
	s_cbranch_execz .LBB129_13
; %bb.12:
	v_dual_mov_b32 v15, 0 :: v_dual_add_nc_u32 v14, s8, v2
	v_add_nc_u32_e32 v2, 0x100, v2
	s_delay_alu instid0(VALU_DEP_2) | instskip(NEXT) | instid1(VALU_DEP_1)
	v_lshlrev_b64 v[15:16], 1, v[14:15]
	v_add_co_u32 v15, s0, s6, v15
	s_delay_alu instid0(VALU_DEP_1)
	v_add_co_ci_u32_e64 v16, s0, s7, v16, s0
	global_load_u8 v12, v14, s[10:11]
	global_load_u16 v14, v[15:16], off
	s_waitcnt vmcnt(1)
	v_cmp_ne_u16_e64 s0, 0, v12
	s_waitcnt vmcnt(0)
	v_cvt_f32_f16_e32 v14, v14
	s_delay_alu instid0(VALU_DEP_2)
	v_cndmask_b32_e64 v15, 0, 1.0, s0
.LBB129_13:
	s_or_b32 exec_lo, exec_lo, s1
	v_mov_b32_e32 v16, 0
	s_mov_b32 s1, exec_lo
	v_cmpx_gt_i32_e64 s2, v2
	s_cbranch_execz .LBB129_15
; %bb.14:
	v_dual_mov_b32 v17, 0 :: v_dual_add_nc_u32 v16, s8, v2
	v_add_nc_u32_e32 v2, 0x100, v2
	s_delay_alu instid0(VALU_DEP_2) | instskip(NEXT) | instid1(VALU_DEP_1)
	v_lshlrev_b64 v[17:18], 1, v[16:17]
	v_add_co_u32 v17, s0, s6, v17
	s_delay_alu instid0(VALU_DEP_1)
	v_add_co_ci_u32_e64 v18, s0, s7, v18, s0
	global_load_u8 v8, v16, s[10:11]
	global_load_u16 v12, v[17:18], off
	s_waitcnt vmcnt(1)
	v_cmp_ne_u16_e64 s0, 0, v8
	s_waitcnt vmcnt(0)
	v_cvt_f32_f16_e32 v8, v12
	s_delay_alu instid0(VALU_DEP_2)
	v_cndmask_b32_e64 v16, 0, 1.0, s0
.LBB129_15:
	s_or_b32 exec_lo, exec_lo, s1
	v_dual_mov_b32 v12, 0 :: v_dual_mov_b32 v17, 0
	v_mov_b32_e32 v18, 0
	s_mov_b32 s1, exec_lo
	v_cmpx_gt_i32_e64 s2, v2
	s_cbranch_execnz .LBB129_27
; %bb.16:
	s_or_b32 exec_lo, exec_lo, s1
	s_delay_alu instid0(SALU_CYCLE_1)
	s_mov_b32 s1, exec_lo
	v_cmpx_gt_i32_e64 s2, v2
	s_cbranch_execnz .LBB129_28
.LBB129_17:
	s_or_b32 exec_lo, exec_lo, s1
	s_and_saveexec_b32 s0, vcc_lo
	s_cbranch_execnz .LBB129_29
.LBB129_18:
	s_or_b32 exec_lo, exec_lo, s0
	s_delay_alu instid0(SALU_CYCLE_1)
	s_mov_b32 s0, exec_lo
	v_cmpx_gt_i32_e64 s2, v0
	s_cbranch_execnz .LBB129_30
.LBB129_19:
	s_or_b32 exec_lo, exec_lo, s0
	s_delay_alu instid0(SALU_CYCLE_1)
	s_mov_b32 s0, exec_lo
	v_cmpx_gt_i32_e64 s2, v0
	s_cbranch_execnz .LBB129_31
.LBB129_20:
	s_or_b32 exec_lo, exec_lo, s0
	s_delay_alu instid0(SALU_CYCLE_1)
	s_mov_b32 s0, exec_lo
	v_cmpx_gt_i32_e64 s2, v0
	s_cbranch_execnz .LBB129_32
.LBB129_21:
	s_or_b32 exec_lo, exec_lo, s0
	s_delay_alu instid0(SALU_CYCLE_1)
	s_mov_b32 s0, exec_lo
	v_cmpx_gt_i32_e64 s2, v0
	s_cbranch_execnz .LBB129_33
.LBB129_22:
	s_or_b32 exec_lo, exec_lo, s0
	s_delay_alu instid0(SALU_CYCLE_1)
	s_mov_b32 s0, exec_lo
	v_cmpx_gt_i32_e64 s2, v0
	s_cbranch_execnz .LBB129_34
.LBB129_23:
	s_or_b32 exec_lo, exec_lo, s0
	s_delay_alu instid0(SALU_CYCLE_1)
	s_mov_b32 s0, exec_lo
	v_cmpx_gt_i32_e64 s2, v0
	s_cbranch_execnz .LBB129_35
.LBB129_24:
	s_or_b32 exec_lo, exec_lo, s0
	s_delay_alu instid0(SALU_CYCLE_1)
	s_mov_b32 s0, exec_lo
	v_cmpx_gt_i32_e64 s2, v0
	s_cbranch_execz .LBB129_26
.LBB129_25:
	v_dual_mov_b32 v1, 0 :: v_dual_add_nc_u32 v0, s8, v0
	v_fma_mixlo_f16 v2, v12, s3, 0
	s_delay_alu instid0(VALU_DEP_2) | instskip(NEXT) | instid1(VALU_DEP_1)
	v_lshlrev_b64 v[0:1], 1, v[0:1]
	v_add_co_u32 v0, vcc_lo, s4, v0
	s_delay_alu instid0(VALU_DEP_2)
	v_add_co_ci_u32_e32 v1, vcc_lo, s5, v1, vcc_lo
	global_store_b16 v[0:1], v2, off
.LBB129_26:
	s_nop 0
	s_sendmsg sendmsg(MSG_DEALLOC_VGPRS)
	s_endpgm
.LBB129_27:
	v_dual_mov_b32 v18, 0 :: v_dual_add_nc_u32 v17, s8, v2
	v_add_nc_u32_e32 v2, 0x100, v2
	s_delay_alu instid0(VALU_DEP_2) | instskip(NEXT) | instid1(VALU_DEP_1)
	v_lshlrev_b64 v[18:19], 1, v[17:18]
	v_add_co_u32 v18, s0, s6, v18
	s_delay_alu instid0(VALU_DEP_1)
	v_add_co_ci_u32_e64 v19, s0, s7, v19, s0
	global_load_u8 v17, v17, s[10:11]
	global_load_u16 v19, v[18:19], off
	s_waitcnt vmcnt(1)
	v_cmp_ne_u16_e64 s0, 0, v17
	s_waitcnt vmcnt(0)
	v_cvt_f32_f16_e32 v17, v19
	s_delay_alu instid0(VALU_DEP_2) | instskip(SKIP_1) | instid1(SALU_CYCLE_1)
	v_cndmask_b32_e64 v18, 0, 1.0, s0
	s_or_b32 exec_lo, exec_lo, s1
	s_mov_b32 s1, exec_lo
	v_cmpx_gt_i32_e64 s2, v2
	s_cbranch_execz .LBB129_17
.LBB129_28:
	v_dual_mov_b32 v20, 0 :: v_dual_add_nc_u32 v19, s8, v2
	s_delay_alu instid0(VALU_DEP_1) | instskip(NEXT) | instid1(VALU_DEP_1)
	v_lshlrev_b64 v[20:21], 1, v[19:20]
	v_add_co_u32 v20, s0, s6, v20
	s_delay_alu instid0(VALU_DEP_1)
	v_add_co_ci_u32_e64 v21, s0, s7, v21, s0
	global_load_u8 v2, v19, s[10:11]
	global_load_u16 v12, v[20:21], off
	s_waitcnt vmcnt(1)
	v_cmp_ne_u16_e64 s0, 0, v2
	s_waitcnt vmcnt(0)
	v_cvt_f32_f16_e32 v12, v12
	s_delay_alu instid0(VALU_DEP_2) | instskip(NEXT) | instid1(VALU_DEP_1)
	v_cndmask_b32_e64 v2, 0, 1.0, s0
	v_mul_f32_e32 v12, v12, v2
	s_or_b32 exec_lo, exec_lo, s1
	s_and_saveexec_b32 s0, vcc_lo
	s_cbranch_execz .LBB129_18
.LBB129_29:
	v_mov_b32_e32 v2, 0
	v_mul_f32_e32 v6, v6, v7
	s_delay_alu instid0(VALU_DEP_2) | instskip(NEXT) | instid1(VALU_DEP_2)
	v_lshlrev_b64 v[0:1], 1, v[1:2]
	v_fma_mixlo_f16 v2, v6, s3, 0
	s_delay_alu instid0(VALU_DEP_2) | instskip(NEXT) | instid1(VALU_DEP_3)
	v_add_co_u32 v6, vcc_lo, s4, v0
	v_add_co_ci_u32_e32 v7, vcc_lo, s5, v1, vcc_lo
	v_mov_b32_e32 v0, v4
	global_store_b16 v[6:7], v2, off
	s_or_b32 exec_lo, exec_lo, s0
	s_delay_alu instid0(SALU_CYCLE_1)
	s_mov_b32 s0, exec_lo
	v_cmpx_gt_i32_e64 s2, v0
	s_cbranch_execz .LBB129_19
.LBB129_30:
	v_dual_mov_b32 v2, 0 :: v_dual_add_nc_u32 v1, s8, v0
	v_dual_mul_f32 v3, v3, v9 :: v_dual_add_nc_u32 v0, 0x100, v0
	s_delay_alu instid0(VALU_DEP_2) | instskip(NEXT) | instid1(VALU_DEP_2)
	v_lshlrev_b64 v[1:2], 1, v[1:2]
	v_fma_mixlo_f16 v3, v3, s3, 0
	s_delay_alu instid0(VALU_DEP_2) | instskip(NEXT) | instid1(VALU_DEP_3)
	v_add_co_u32 v1, vcc_lo, s4, v1
	v_add_co_ci_u32_e32 v2, vcc_lo, s5, v2, vcc_lo
	global_store_b16 v[1:2], v3, off
	s_or_b32 exec_lo, exec_lo, s0
	s_delay_alu instid0(SALU_CYCLE_1)
	s_mov_b32 s0, exec_lo
	v_cmpx_gt_i32_e64 s2, v0
	s_cbranch_execz .LBB129_20
.LBB129_31:
	v_dual_mov_b32 v2, 0 :: v_dual_add_nc_u32 v1, s8, v0
	v_dual_mul_f32 v3, v10, v11 :: v_dual_add_nc_u32 v0, 0x100, v0
	s_delay_alu instid0(VALU_DEP_2) | instskip(NEXT) | instid1(VALU_DEP_2)
	v_lshlrev_b64 v[1:2], 1, v[1:2]
	v_fma_mixlo_f16 v3, v3, s3, 0
	s_delay_alu instid0(VALU_DEP_2) | instskip(NEXT) | instid1(VALU_DEP_3)
	v_add_co_u32 v1, vcc_lo, s4, v1
	v_add_co_ci_u32_e32 v2, vcc_lo, s5, v2, vcc_lo
	global_store_b16 v[1:2], v3, off
	s_or_b32 exec_lo, exec_lo, s0
	s_delay_alu instid0(SALU_CYCLE_1)
	s_mov_b32 s0, exec_lo
	v_cmpx_gt_i32_e64 s2, v0
	s_cbranch_execz .LBB129_21
.LBB129_32:
	v_dual_mov_b32 v2, 0 :: v_dual_add_nc_u32 v1, s8, v0
	v_dual_mul_f32 v3, v5, v13 :: v_dual_add_nc_u32 v0, 0x100, v0
	s_delay_alu instid0(VALU_DEP_2) | instskip(NEXT) | instid1(VALU_DEP_2)
	v_lshlrev_b64 v[1:2], 1, v[1:2]
	v_fma_mixlo_f16 v3, v3, s3, 0
	s_delay_alu instid0(VALU_DEP_2) | instskip(NEXT) | instid1(VALU_DEP_3)
	v_add_co_u32 v1, vcc_lo, s4, v1
	v_add_co_ci_u32_e32 v2, vcc_lo, s5, v2, vcc_lo
	global_store_b16 v[1:2], v3, off
	s_or_b32 exec_lo, exec_lo, s0
	s_delay_alu instid0(SALU_CYCLE_1)
	s_mov_b32 s0, exec_lo
	v_cmpx_gt_i32_e64 s2, v0
	s_cbranch_execz .LBB129_22
.LBB129_33:
	v_dual_mov_b32 v2, 0 :: v_dual_add_nc_u32 v1, s8, v0
	v_dual_mul_f32 v3, v14, v15 :: v_dual_add_nc_u32 v0, 0x100, v0
	s_delay_alu instid0(VALU_DEP_2) | instskip(NEXT) | instid1(VALU_DEP_2)
	v_lshlrev_b64 v[1:2], 1, v[1:2]
	v_fma_mixlo_f16 v3, v3, s3, 0
	s_delay_alu instid0(VALU_DEP_2) | instskip(NEXT) | instid1(VALU_DEP_3)
	v_add_co_u32 v1, vcc_lo, s4, v1
	v_add_co_ci_u32_e32 v2, vcc_lo, s5, v2, vcc_lo
	global_store_b16 v[1:2], v3, off
	s_or_b32 exec_lo, exec_lo, s0
	s_delay_alu instid0(SALU_CYCLE_1)
	s_mov_b32 s0, exec_lo
	v_cmpx_gt_i32_e64 s2, v0
	s_cbranch_execz .LBB129_23
.LBB129_34:
	v_dual_mov_b32 v2, 0 :: v_dual_add_nc_u32 v1, s8, v0
	v_mul_f32_e32 v3, v8, v16
	v_add_nc_u32_e32 v0, 0x100, v0
	s_delay_alu instid0(VALU_DEP_3) | instskip(NEXT) | instid1(VALU_DEP_3)
	v_lshlrev_b64 v[1:2], 1, v[1:2]
	v_fma_mixlo_f16 v3, v3, s3, 0
	s_delay_alu instid0(VALU_DEP_2) | instskip(NEXT) | instid1(VALU_DEP_3)
	v_add_co_u32 v1, vcc_lo, s4, v1
	v_add_co_ci_u32_e32 v2, vcc_lo, s5, v2, vcc_lo
	global_store_b16 v[1:2], v3, off
	s_or_b32 exec_lo, exec_lo, s0
	s_delay_alu instid0(SALU_CYCLE_1)
	s_mov_b32 s0, exec_lo
	v_cmpx_gt_i32_e64 s2, v0
	s_cbranch_execz .LBB129_24
.LBB129_35:
	v_dual_mov_b32 v2, 0 :: v_dual_add_nc_u32 v1, s8, v0
	v_dual_mul_f32 v3, v17, v18 :: v_dual_add_nc_u32 v0, 0x100, v0
	s_delay_alu instid0(VALU_DEP_2) | instskip(NEXT) | instid1(VALU_DEP_2)
	v_lshlrev_b64 v[1:2], 1, v[1:2]
	v_fma_mixlo_f16 v3, v3, s3, 0
	s_delay_alu instid0(VALU_DEP_2) | instskip(NEXT) | instid1(VALU_DEP_3)
	v_add_co_u32 v1, vcc_lo, s4, v1
	v_add_co_ci_u32_e32 v2, vcc_lo, s5, v2, vcc_lo
	global_store_b16 v[1:2], v3, off
	s_or_b32 exec_lo, exec_lo, s0
	s_delay_alu instid0(SALU_CYCLE_1)
	s_mov_b32 s0, exec_lo
	v_cmpx_gt_i32_e64 s2, v0
	s_cbranch_execnz .LBB129_25
	s_branch .LBB129_26
	.section	.rodata,"a",@progbits
	.p2align	6, 0x0
	.amdhsa_kernel _ZN2at6native29vectorized_elementwise_kernelILi8EZNS0_12_GLOBAL__N_119masked_scale_kernelIbN3c104HalfEfEEvRNS_6TensorERKS6_S9_T1_EUlS5_bE_St5arrayIPcLm3EEEEviT0_SA_
		.amdhsa_group_segment_fixed_size 0
		.amdhsa_private_segment_fixed_size 0
		.amdhsa_kernarg_size 32
		.amdhsa_user_sgpr_count 15
		.amdhsa_user_sgpr_dispatch_ptr 0
		.amdhsa_user_sgpr_queue_ptr 0
		.amdhsa_user_sgpr_kernarg_segment_ptr 1
		.amdhsa_user_sgpr_dispatch_id 0
		.amdhsa_user_sgpr_private_segment_size 0
		.amdhsa_wavefront_size32 1
		.amdhsa_uses_dynamic_stack 0
		.amdhsa_enable_private_segment 0
		.amdhsa_system_sgpr_workgroup_id_x 1
		.amdhsa_system_sgpr_workgroup_id_y 0
		.amdhsa_system_sgpr_workgroup_id_z 0
		.amdhsa_system_sgpr_workgroup_info 0
		.amdhsa_system_vgpr_workitem_id 0
		.amdhsa_next_free_vgpr 22
		.amdhsa_next_free_sgpr 16
		.amdhsa_reserve_vcc 1
		.amdhsa_float_round_mode_32 0
		.amdhsa_float_round_mode_16_64 0
		.amdhsa_float_denorm_mode_32 3
		.amdhsa_float_denorm_mode_16_64 3
		.amdhsa_dx10_clamp 1
		.amdhsa_ieee_mode 1
		.amdhsa_fp16_overflow 0
		.amdhsa_workgroup_processor_mode 1
		.amdhsa_memory_ordered 1
		.amdhsa_forward_progress 0
		.amdhsa_shared_vgpr_count 0
		.amdhsa_exception_fp_ieee_invalid_op 0
		.amdhsa_exception_fp_denorm_src 0
		.amdhsa_exception_fp_ieee_div_zero 0
		.amdhsa_exception_fp_ieee_overflow 0
		.amdhsa_exception_fp_ieee_underflow 0
		.amdhsa_exception_fp_ieee_inexact 0
		.amdhsa_exception_int_div_zero 0
	.end_amdhsa_kernel
	.section	.text._ZN2at6native29vectorized_elementwise_kernelILi8EZNS0_12_GLOBAL__N_119masked_scale_kernelIbN3c104HalfEfEEvRNS_6TensorERKS6_S9_T1_EUlS5_bE_St5arrayIPcLm3EEEEviT0_SA_,"axG",@progbits,_ZN2at6native29vectorized_elementwise_kernelILi8EZNS0_12_GLOBAL__N_119masked_scale_kernelIbN3c104HalfEfEEvRNS_6TensorERKS6_S9_T1_EUlS5_bE_St5arrayIPcLm3EEEEviT0_SA_,comdat
.Lfunc_end129:
	.size	_ZN2at6native29vectorized_elementwise_kernelILi8EZNS0_12_GLOBAL__N_119masked_scale_kernelIbN3c104HalfEfEEvRNS_6TensorERKS6_S9_T1_EUlS5_bE_St5arrayIPcLm3EEEEviT0_SA_, .Lfunc_end129-_ZN2at6native29vectorized_elementwise_kernelILi8EZNS0_12_GLOBAL__N_119masked_scale_kernelIbN3c104HalfEfEEvRNS_6TensorERKS6_S9_T1_EUlS5_bE_St5arrayIPcLm3EEEEviT0_SA_
                                        ; -- End function
	.section	.AMDGPU.csdata,"",@progbits
; Kernel info:
; codeLenInByte = 2352
; NumSgprs: 18
; NumVgprs: 22
; ScratchSize: 0
; MemoryBound: 0
; FloatMode: 240
; IeeeMode: 1
; LDSByteSize: 0 bytes/workgroup (compile time only)
; SGPRBlocks: 2
; VGPRBlocks: 2
; NumSGPRsForWavesPerEU: 18
; NumVGPRsForWavesPerEU: 22
; Occupancy: 16
; WaveLimiterHint : 0
; COMPUTE_PGM_RSRC2:SCRATCH_EN: 0
; COMPUTE_PGM_RSRC2:USER_SGPR: 15
; COMPUTE_PGM_RSRC2:TRAP_HANDLER: 0
; COMPUTE_PGM_RSRC2:TGID_X_EN: 1
; COMPUTE_PGM_RSRC2:TGID_Y_EN: 0
; COMPUTE_PGM_RSRC2:TGID_Z_EN: 0
; COMPUTE_PGM_RSRC2:TIDIG_COMP_CNT: 0
	.section	.text._ZN2at6native29vectorized_elementwise_kernelILi4EZNS0_12_GLOBAL__N_119masked_scale_kernelIbN3c104HalfEfEEvRNS_6TensorERKS6_S9_T1_EUlS5_bE_St5arrayIPcLm3EEEEviT0_SA_,"axG",@progbits,_ZN2at6native29vectorized_elementwise_kernelILi4EZNS0_12_GLOBAL__N_119masked_scale_kernelIbN3c104HalfEfEEvRNS_6TensorERKS6_S9_T1_EUlS5_bE_St5arrayIPcLm3EEEEviT0_SA_,comdat
	.globl	_ZN2at6native29vectorized_elementwise_kernelILi4EZNS0_12_GLOBAL__N_119masked_scale_kernelIbN3c104HalfEfEEvRNS_6TensorERKS6_S9_T1_EUlS5_bE_St5arrayIPcLm3EEEEviT0_SA_ ; -- Begin function _ZN2at6native29vectorized_elementwise_kernelILi4EZNS0_12_GLOBAL__N_119masked_scale_kernelIbN3c104HalfEfEEvRNS_6TensorERKS6_S9_T1_EUlS5_bE_St5arrayIPcLm3EEEEviT0_SA_
	.p2align	8
	.type	_ZN2at6native29vectorized_elementwise_kernelILi4EZNS0_12_GLOBAL__N_119masked_scale_kernelIbN3c104HalfEfEEvRNS_6TensorERKS6_S9_T1_EUlS5_bE_St5arrayIPcLm3EEEEviT0_SA_,@function
_ZN2at6native29vectorized_elementwise_kernelILi4EZNS0_12_GLOBAL__N_119masked_scale_kernelIbN3c104HalfEfEEvRNS_6TensorERKS6_S9_T1_EUlS5_bE_St5arrayIPcLm3EEEEviT0_SA_: ; @_ZN2at6native29vectorized_elementwise_kernelILi4EZNS0_12_GLOBAL__N_119masked_scale_kernelIbN3c104HalfEfEEvRNS_6TensorERKS6_S9_T1_EUlS5_bE_St5arrayIPcLm3EEEEviT0_SA_
; %bb.0:
	s_clause 0x2
	s_load_b64 s[2:3], s[0:1], 0x0
	s_load_b128 s[4:7], s[0:1], 0x8
	s_load_b64 s[10:11], s[0:1], 0x18
	s_lshl_b32 s8, s15, 11
	s_mov_b32 s0, -1
	s_waitcnt lgkmcnt(0)
	s_sub_i32 s2, s2, s8
	s_delay_alu instid0(SALU_CYCLE_1)
	s_cmpk_gt_i32 s2, 0x7ff
	s_cbranch_scc0 .LBB130_2
; %bb.1:
	s_ashr_i32 s9, s8, 31
	v_lshlrev_b32_e32 v5, 3, v0
	s_lshl_b64 s[0:1], s[8:9], 1
	s_delay_alu instid0(SALU_CYCLE_1)
	s_add_u32 s12, s6, s0
	s_addc_u32 s13, s7, s1
	s_clause 0x1
	global_load_b64 v[1:2], v5, s[12:13]
	global_load_b64 v[3:4], v5, s[12:13] offset:2048
	s_add_u32 s12, s10, s8
	s_addc_u32 s13, s11, s9
	s_waitcnt vmcnt(1)
	v_lshrrev_b32_e32 v9, 16, v2
	s_waitcnt vmcnt(0)
	v_lshrrev_b32_e32 v10, 16, v3
	v_lshrrev_b32_e32 v8, 16, v1
	v_cvt_f32_f16_e32 v1, v1
	v_cvt_f32_f16_e32 v2, v2
	;; [unrolled: 1-line block ×3, first 2 shown]
	v_lshlrev_b32_e32 v6, 2, v0
	v_cvt_f32_f16_e32 v10, v10
	v_cvt_f32_f16_e32 v3, v3
	;; [unrolled: 1-line block ×3, first 2 shown]
	s_clause 0x1
	global_load_b32 v7, v6, s[12:13]
	global_load_b32 v6, v6, s[12:13] offset:1024
	v_lshrrev_b32_e32 v11, 16, v4
	v_cvt_f32_f16_e32 v4, v4
	s_add_u32 s12, s4, s0
	s_addc_u32 s13, s5, s1
	s_mov_b32 s0, 0
	v_cvt_f32_f16_e32 v11, v11
	s_waitcnt vmcnt(1)
	v_cmp_lt_u32_e32 vcc_lo, 0xffffff, v7
	v_and_b32_e32 v12, 0xff, v7
	v_and_b32_e32 v13, 0xff00, v7
	;; [unrolled: 1-line block ×3, first 2 shown]
	s_waitcnt vmcnt(0)
	v_and_b32_e32 v15, 0xff, v6
	v_cndmask_b32_e64 v7, 0, 1.0, vcc_lo
	v_cmp_lt_u32_e32 vcc_lo, 0xffffff, v6
	v_and_b32_e32 v16, 0xff00, v6
	v_and_b32_e32 v17, 0xff0000, v6
	s_delay_alu instid0(VALU_DEP_4) | instskip(SKIP_2) | instid1(VALU_DEP_3)
	v_mul_f32_e32 v7, v9, v7
	v_cndmask_b32_e64 v6, 0, 1.0, vcc_lo
	v_cmp_ne_u32_e32 vcc_lo, 0, v12
	v_fma_mixlo_f16 v7, v7, s3, 0
	s_delay_alu instid0(VALU_DEP_3) | instskip(SKIP_2) | instid1(VALU_DEP_4)
	v_mul_f32_e32 v6, v6, v11
	v_cndmask_b32_e64 v12, 0, 1.0, vcc_lo
	v_cmp_ne_u32_e32 vcc_lo, 0, v13
	v_lshlrev_b32_e32 v7, 16, v7
	s_delay_alu instid0(VALU_DEP_4) | instskip(NEXT) | instid1(VALU_DEP_4)
	v_fma_mixlo_f16 v6, v6, s3, 0
	v_mul_f32_e32 v1, v1, v12
	v_cndmask_b32_e64 v13, 0, 1.0, vcc_lo
	v_cmp_ne_u32_e32 vcc_lo, 0, v14
	s_delay_alu instid0(VALU_DEP_4) | instskip(NEXT) | instid1(VALU_DEP_4)
	v_lshlrev_b32_e32 v6, 16, v6
	v_fma_mixlo_f16 v1, v1, s3, 0
	s_delay_alu instid0(VALU_DEP_4) | instskip(SKIP_2) | instid1(VALU_DEP_4)
	v_mul_f32_e32 v8, v8, v13
	v_cndmask_b32_e64 v14, 0, 1.0, vcc_lo
	v_cmp_ne_u32_e32 vcc_lo, 0, v15
	v_and_b32_e32 v1, 0xffff, v1
	s_delay_alu instid0(VALU_DEP_4) | instskip(NEXT) | instid1(VALU_DEP_4)
	v_fma_mixlo_f16 v8, v8, s3, 0
	v_mul_f32_e32 v2, v2, v14
	v_cndmask_b32_e64 v15, 0, 1.0, vcc_lo
	s_delay_alu instid0(VALU_DEP_3) | instskip(NEXT) | instid1(VALU_DEP_3)
	v_lshlrev_b32_e32 v8, 16, v8
	v_fma_mixlo_f16 v2, v2, s3, 0
	s_delay_alu instid0(VALU_DEP_3) | instskip(SKIP_1) | instid1(VALU_DEP_4)
	v_mul_f32_e32 v3, v3, v15
	v_cmp_ne_u32_e32 vcc_lo, 0, v16
	v_or_b32_e32 v1, v8, v1
	s_delay_alu instid0(VALU_DEP_4) | instskip(NEXT) | instid1(VALU_DEP_4)
	v_and_b32_e32 v2, 0xffff, v2
	v_fma_mixlo_f16 v3, v3, s3, 0
	v_cndmask_b32_e64 v16, 0, 1.0, vcc_lo
	v_cmp_ne_u32_e32 vcc_lo, 0, v17
	v_or3_b32 v1, v1, 0, 0
	v_or3_b32 v2, 0, v2, v7
	v_and_b32_e32 v3, 0xffff, v3
	v_mul_f32_e32 v9, v10, v16
	v_cndmask_b32_e64 v17, 0, 1.0, vcc_lo
	s_delay_alu instid0(VALU_DEP_2) | instskip(NEXT) | instid1(VALU_DEP_2)
	v_fma_mixlo_f16 v9, v9, s3, 0
	v_mul_f32_e32 v4, v4, v17
	s_delay_alu instid0(VALU_DEP_2) | instskip(NEXT) | instid1(VALU_DEP_2)
	v_lshlrev_b32_e32 v9, 16, v9
	v_fma_mixlo_f16 v4, v4, s3, 0
	s_delay_alu instid0(VALU_DEP_2) | instskip(NEXT) | instid1(VALU_DEP_2)
	v_or_b32_e32 v3, v9, v3
	v_and_b32_e32 v4, 0xffff, v4
	s_delay_alu instid0(VALU_DEP_2) | instskip(NEXT) | instid1(VALU_DEP_2)
	v_or3_b32 v3, v3, 0, 0
	v_or3_b32 v4, 0, v4, v6
	s_clause 0x1
	global_store_b64 v5, v[1:2], s[12:13]
	global_store_b64 v5, v[3:4], s[12:13] offset:2048
.LBB130_2:
	s_and_not1_b32 vcc_lo, exec_lo, s0
	s_cbranch_vccnz .LBB130_26
; %bb.3:
	v_cmp_gt_i32_e32 vcc_lo, s2, v0
	v_dual_mov_b32 v3, 0 :: v_dual_mov_b32 v6, 0
	v_or_b32_e32 v1, s8, v0
	v_or_b32_e32 v4, 0x100, v0
	v_dual_mov_b32 v7, 0 :: v_dual_mov_b32 v2, v0
	s_and_saveexec_b32 s1, vcc_lo
	s_cbranch_execz .LBB130_5
; %bb.4:
	v_mov_b32_e32 v2, 0
	s_delay_alu instid0(VALU_DEP_1) | instskip(SKIP_1) | instid1(VALU_DEP_2)
	v_lshlrev_b64 v[5:6], 1, v[1:2]
	v_or_b32_e32 v2, 0x100, v0
	v_add_co_u32 v5, s0, s6, v5
	s_delay_alu instid0(VALU_DEP_1)
	v_add_co_ci_u32_e64 v6, s0, s7, v6, s0
	global_load_u8 v7, v1, s[10:11]
	global_load_u16 v5, v[5:6], off
	s_waitcnt vmcnt(1)
	v_cmp_ne_u16_e64 s0, 0, v7
	s_waitcnt vmcnt(0)
	v_cvt_f32_f16_e32 v6, v5
	s_delay_alu instid0(VALU_DEP_2)
	v_cndmask_b32_e64 v7, 0, 1.0, s0
.LBB130_5:
	s_or_b32 exec_lo, exec_lo, s1
	v_mov_b32_e32 v9, 0
	s_mov_b32 s1, exec_lo
	v_cmpx_gt_i32_e64 s2, v2
	s_cbranch_execz .LBB130_7
; %bb.6:
	v_dual_mov_b32 v9, 0 :: v_dual_add_nc_u32 v8, s8, v2
	v_add_nc_u32_e32 v2, 0x100, v2
	s_delay_alu instid0(VALU_DEP_2) | instskip(NEXT) | instid1(VALU_DEP_1)
	v_lshlrev_b64 v[9:10], 1, v[8:9]
	v_add_co_u32 v9, s0, s6, v9
	s_delay_alu instid0(VALU_DEP_1)
	v_add_co_ci_u32_e64 v10, s0, s7, v10, s0
	global_load_u8 v3, v8, s[10:11]
	global_load_u16 v5, v[9:10], off
	s_waitcnt vmcnt(1)
	v_cmp_ne_u16_e64 s0, 0, v3
	s_waitcnt vmcnt(0)
	v_cvt_f32_f16_e32 v3, v5
	s_delay_alu instid0(VALU_DEP_2)
	v_cndmask_b32_e64 v9, 0, 1.0, s0
.LBB130_7:
	s_or_b32 exec_lo, exec_lo, s1
	v_dual_mov_b32 v5, 0 :: v_dual_mov_b32 v10, 0
	v_mov_b32_e32 v11, 0
	s_mov_b32 s1, exec_lo
	v_cmpx_gt_i32_e64 s2, v2
	s_cbranch_execz .LBB130_9
; %bb.8:
	v_dual_mov_b32 v11, 0 :: v_dual_add_nc_u32 v10, s8, v2
	v_add_nc_u32_e32 v2, 0x100, v2
	s_delay_alu instid0(VALU_DEP_2) | instskip(NEXT) | instid1(VALU_DEP_1)
	v_lshlrev_b64 v[11:12], 1, v[10:11]
	v_add_co_u32 v11, s0, s6, v11
	s_delay_alu instid0(VALU_DEP_1)
	v_add_co_ci_u32_e64 v12, s0, s7, v12, s0
	global_load_u8 v8, v10, s[10:11]
	global_load_u16 v10, v[11:12], off
	s_waitcnt vmcnt(1)
	v_cmp_ne_u16_e64 s0, 0, v8
	s_waitcnt vmcnt(0)
	v_cvt_f32_f16_e32 v10, v10
	s_delay_alu instid0(VALU_DEP_2)
	v_cndmask_b32_e64 v11, 0, 1.0, s0
.LBB130_9:
	s_or_b32 exec_lo, exec_lo, s1
	v_mov_b32_e32 v13, 0
	s_mov_b32 s1, exec_lo
	v_cmpx_gt_i32_e64 s2, v2
	s_cbranch_execz .LBB130_11
; %bb.10:
	v_dual_mov_b32 v13, 0 :: v_dual_add_nc_u32 v12, s8, v2
	v_add_nc_u32_e32 v2, 0x100, v2
	s_delay_alu instid0(VALU_DEP_2) | instskip(NEXT) | instid1(VALU_DEP_1)
	v_lshlrev_b64 v[13:14], 1, v[12:13]
	v_add_co_u32 v13, s0, s6, v13
	s_delay_alu instid0(VALU_DEP_1)
	v_add_co_ci_u32_e64 v14, s0, s7, v14, s0
	global_load_u8 v5, v12, s[10:11]
	global_load_u16 v8, v[13:14], off
	s_waitcnt vmcnt(1)
	v_cmp_ne_u16_e64 s0, 0, v5
	s_waitcnt vmcnt(0)
	v_cvt_f32_f16_e32 v5, v8
	s_delay_alu instid0(VALU_DEP_2)
	v_cndmask_b32_e64 v13, 0, 1.0, s0
.LBB130_11:
	s_or_b32 exec_lo, exec_lo, s1
	v_dual_mov_b32 v8, 0 :: v_dual_mov_b32 v15, 0
	v_mov_b32_e32 v14, 0
	s_mov_b32 s1, exec_lo
	v_cmpx_gt_i32_e64 s2, v2
	s_cbranch_execz .LBB130_13
; %bb.12:
	v_dual_mov_b32 v15, 0 :: v_dual_add_nc_u32 v14, s8, v2
	v_add_nc_u32_e32 v2, 0x100, v2
	s_delay_alu instid0(VALU_DEP_2) | instskip(NEXT) | instid1(VALU_DEP_1)
	v_lshlrev_b64 v[15:16], 1, v[14:15]
	v_add_co_u32 v15, s0, s6, v15
	s_delay_alu instid0(VALU_DEP_1)
	v_add_co_ci_u32_e64 v16, s0, s7, v16, s0
	global_load_u8 v12, v14, s[10:11]
	global_load_u16 v14, v[15:16], off
	s_waitcnt vmcnt(1)
	v_cmp_ne_u16_e64 s0, 0, v12
	s_waitcnt vmcnt(0)
	v_cvt_f32_f16_e32 v14, v14
	s_delay_alu instid0(VALU_DEP_2)
	v_cndmask_b32_e64 v15, 0, 1.0, s0
.LBB130_13:
	s_or_b32 exec_lo, exec_lo, s1
	v_mov_b32_e32 v16, 0
	s_mov_b32 s1, exec_lo
	v_cmpx_gt_i32_e64 s2, v2
	s_cbranch_execz .LBB130_15
; %bb.14:
	v_dual_mov_b32 v17, 0 :: v_dual_add_nc_u32 v16, s8, v2
	v_add_nc_u32_e32 v2, 0x100, v2
	s_delay_alu instid0(VALU_DEP_2) | instskip(NEXT) | instid1(VALU_DEP_1)
	v_lshlrev_b64 v[17:18], 1, v[16:17]
	v_add_co_u32 v17, s0, s6, v17
	s_delay_alu instid0(VALU_DEP_1)
	v_add_co_ci_u32_e64 v18, s0, s7, v18, s0
	global_load_u8 v8, v16, s[10:11]
	global_load_u16 v12, v[17:18], off
	s_waitcnt vmcnt(1)
	v_cmp_ne_u16_e64 s0, 0, v8
	s_waitcnt vmcnt(0)
	v_cvt_f32_f16_e32 v8, v12
	s_delay_alu instid0(VALU_DEP_2)
	v_cndmask_b32_e64 v16, 0, 1.0, s0
.LBB130_15:
	s_or_b32 exec_lo, exec_lo, s1
	v_dual_mov_b32 v12, 0 :: v_dual_mov_b32 v17, 0
	v_mov_b32_e32 v18, 0
	s_mov_b32 s1, exec_lo
	v_cmpx_gt_i32_e64 s2, v2
	s_cbranch_execnz .LBB130_27
; %bb.16:
	s_or_b32 exec_lo, exec_lo, s1
	s_delay_alu instid0(SALU_CYCLE_1)
	s_mov_b32 s1, exec_lo
	v_cmpx_gt_i32_e64 s2, v2
	s_cbranch_execnz .LBB130_28
.LBB130_17:
	s_or_b32 exec_lo, exec_lo, s1
	s_and_saveexec_b32 s0, vcc_lo
	s_cbranch_execnz .LBB130_29
.LBB130_18:
	s_or_b32 exec_lo, exec_lo, s0
	s_delay_alu instid0(SALU_CYCLE_1)
	s_mov_b32 s0, exec_lo
	v_cmpx_gt_i32_e64 s2, v0
	s_cbranch_execnz .LBB130_30
.LBB130_19:
	s_or_b32 exec_lo, exec_lo, s0
	s_delay_alu instid0(SALU_CYCLE_1)
	s_mov_b32 s0, exec_lo
	v_cmpx_gt_i32_e64 s2, v0
	s_cbranch_execnz .LBB130_31
.LBB130_20:
	s_or_b32 exec_lo, exec_lo, s0
	s_delay_alu instid0(SALU_CYCLE_1)
	s_mov_b32 s0, exec_lo
	v_cmpx_gt_i32_e64 s2, v0
	s_cbranch_execnz .LBB130_32
.LBB130_21:
	s_or_b32 exec_lo, exec_lo, s0
	s_delay_alu instid0(SALU_CYCLE_1)
	s_mov_b32 s0, exec_lo
	v_cmpx_gt_i32_e64 s2, v0
	s_cbranch_execnz .LBB130_33
.LBB130_22:
	s_or_b32 exec_lo, exec_lo, s0
	s_delay_alu instid0(SALU_CYCLE_1)
	s_mov_b32 s0, exec_lo
	v_cmpx_gt_i32_e64 s2, v0
	s_cbranch_execnz .LBB130_34
.LBB130_23:
	s_or_b32 exec_lo, exec_lo, s0
	s_delay_alu instid0(SALU_CYCLE_1)
	s_mov_b32 s0, exec_lo
	v_cmpx_gt_i32_e64 s2, v0
	s_cbranch_execnz .LBB130_35
.LBB130_24:
	s_or_b32 exec_lo, exec_lo, s0
	s_delay_alu instid0(SALU_CYCLE_1)
	s_mov_b32 s0, exec_lo
	v_cmpx_gt_i32_e64 s2, v0
	s_cbranch_execz .LBB130_26
.LBB130_25:
	v_dual_mov_b32 v1, 0 :: v_dual_add_nc_u32 v0, s8, v0
	v_fma_mixlo_f16 v2, v12, s3, 0
	s_delay_alu instid0(VALU_DEP_2) | instskip(NEXT) | instid1(VALU_DEP_1)
	v_lshlrev_b64 v[0:1], 1, v[0:1]
	v_add_co_u32 v0, vcc_lo, s4, v0
	s_delay_alu instid0(VALU_DEP_2)
	v_add_co_ci_u32_e32 v1, vcc_lo, s5, v1, vcc_lo
	global_store_b16 v[0:1], v2, off
.LBB130_26:
	s_nop 0
	s_sendmsg sendmsg(MSG_DEALLOC_VGPRS)
	s_endpgm
.LBB130_27:
	v_dual_mov_b32 v18, 0 :: v_dual_add_nc_u32 v17, s8, v2
	v_add_nc_u32_e32 v2, 0x100, v2
	s_delay_alu instid0(VALU_DEP_2) | instskip(NEXT) | instid1(VALU_DEP_1)
	v_lshlrev_b64 v[18:19], 1, v[17:18]
	v_add_co_u32 v18, s0, s6, v18
	s_delay_alu instid0(VALU_DEP_1)
	v_add_co_ci_u32_e64 v19, s0, s7, v19, s0
	global_load_u8 v17, v17, s[10:11]
	global_load_u16 v19, v[18:19], off
	s_waitcnt vmcnt(1)
	v_cmp_ne_u16_e64 s0, 0, v17
	s_waitcnt vmcnt(0)
	v_cvt_f32_f16_e32 v17, v19
	s_delay_alu instid0(VALU_DEP_2) | instskip(SKIP_1) | instid1(SALU_CYCLE_1)
	v_cndmask_b32_e64 v18, 0, 1.0, s0
	s_or_b32 exec_lo, exec_lo, s1
	s_mov_b32 s1, exec_lo
	v_cmpx_gt_i32_e64 s2, v2
	s_cbranch_execz .LBB130_17
.LBB130_28:
	v_dual_mov_b32 v20, 0 :: v_dual_add_nc_u32 v19, s8, v2
	s_delay_alu instid0(VALU_DEP_1) | instskip(NEXT) | instid1(VALU_DEP_1)
	v_lshlrev_b64 v[20:21], 1, v[19:20]
	v_add_co_u32 v20, s0, s6, v20
	s_delay_alu instid0(VALU_DEP_1)
	v_add_co_ci_u32_e64 v21, s0, s7, v21, s0
	global_load_u8 v2, v19, s[10:11]
	global_load_u16 v12, v[20:21], off
	s_waitcnt vmcnt(1)
	v_cmp_ne_u16_e64 s0, 0, v2
	s_waitcnt vmcnt(0)
	v_cvt_f32_f16_e32 v12, v12
	s_delay_alu instid0(VALU_DEP_2) | instskip(NEXT) | instid1(VALU_DEP_1)
	v_cndmask_b32_e64 v2, 0, 1.0, s0
	v_mul_f32_e32 v12, v12, v2
	s_or_b32 exec_lo, exec_lo, s1
	s_and_saveexec_b32 s0, vcc_lo
	s_cbranch_execz .LBB130_18
.LBB130_29:
	v_mov_b32_e32 v2, 0
	v_mul_f32_e32 v6, v6, v7
	s_delay_alu instid0(VALU_DEP_2) | instskip(NEXT) | instid1(VALU_DEP_2)
	v_lshlrev_b64 v[0:1], 1, v[1:2]
	v_fma_mixlo_f16 v2, v6, s3, 0
	s_delay_alu instid0(VALU_DEP_2) | instskip(NEXT) | instid1(VALU_DEP_3)
	v_add_co_u32 v6, vcc_lo, s4, v0
	v_add_co_ci_u32_e32 v7, vcc_lo, s5, v1, vcc_lo
	v_mov_b32_e32 v0, v4
	global_store_b16 v[6:7], v2, off
	s_or_b32 exec_lo, exec_lo, s0
	s_delay_alu instid0(SALU_CYCLE_1)
	s_mov_b32 s0, exec_lo
	v_cmpx_gt_i32_e64 s2, v0
	s_cbranch_execz .LBB130_19
.LBB130_30:
	v_dual_mov_b32 v2, 0 :: v_dual_add_nc_u32 v1, s8, v0
	v_dual_mul_f32 v3, v3, v9 :: v_dual_add_nc_u32 v0, 0x100, v0
	s_delay_alu instid0(VALU_DEP_2) | instskip(NEXT) | instid1(VALU_DEP_2)
	v_lshlrev_b64 v[1:2], 1, v[1:2]
	v_fma_mixlo_f16 v3, v3, s3, 0
	s_delay_alu instid0(VALU_DEP_2) | instskip(NEXT) | instid1(VALU_DEP_3)
	v_add_co_u32 v1, vcc_lo, s4, v1
	v_add_co_ci_u32_e32 v2, vcc_lo, s5, v2, vcc_lo
	global_store_b16 v[1:2], v3, off
	s_or_b32 exec_lo, exec_lo, s0
	s_delay_alu instid0(SALU_CYCLE_1)
	s_mov_b32 s0, exec_lo
	v_cmpx_gt_i32_e64 s2, v0
	s_cbranch_execz .LBB130_20
.LBB130_31:
	v_dual_mov_b32 v2, 0 :: v_dual_add_nc_u32 v1, s8, v0
	v_dual_mul_f32 v3, v10, v11 :: v_dual_add_nc_u32 v0, 0x100, v0
	s_delay_alu instid0(VALU_DEP_2) | instskip(NEXT) | instid1(VALU_DEP_2)
	v_lshlrev_b64 v[1:2], 1, v[1:2]
	v_fma_mixlo_f16 v3, v3, s3, 0
	s_delay_alu instid0(VALU_DEP_2) | instskip(NEXT) | instid1(VALU_DEP_3)
	v_add_co_u32 v1, vcc_lo, s4, v1
	v_add_co_ci_u32_e32 v2, vcc_lo, s5, v2, vcc_lo
	global_store_b16 v[1:2], v3, off
	s_or_b32 exec_lo, exec_lo, s0
	s_delay_alu instid0(SALU_CYCLE_1)
	s_mov_b32 s0, exec_lo
	v_cmpx_gt_i32_e64 s2, v0
	s_cbranch_execz .LBB130_21
.LBB130_32:
	v_dual_mov_b32 v2, 0 :: v_dual_add_nc_u32 v1, s8, v0
	v_dual_mul_f32 v3, v5, v13 :: v_dual_add_nc_u32 v0, 0x100, v0
	s_delay_alu instid0(VALU_DEP_2) | instskip(NEXT) | instid1(VALU_DEP_2)
	v_lshlrev_b64 v[1:2], 1, v[1:2]
	v_fma_mixlo_f16 v3, v3, s3, 0
	s_delay_alu instid0(VALU_DEP_2) | instskip(NEXT) | instid1(VALU_DEP_3)
	v_add_co_u32 v1, vcc_lo, s4, v1
	v_add_co_ci_u32_e32 v2, vcc_lo, s5, v2, vcc_lo
	global_store_b16 v[1:2], v3, off
	s_or_b32 exec_lo, exec_lo, s0
	s_delay_alu instid0(SALU_CYCLE_1)
	s_mov_b32 s0, exec_lo
	v_cmpx_gt_i32_e64 s2, v0
	s_cbranch_execz .LBB130_22
.LBB130_33:
	v_dual_mov_b32 v2, 0 :: v_dual_add_nc_u32 v1, s8, v0
	v_dual_mul_f32 v3, v14, v15 :: v_dual_add_nc_u32 v0, 0x100, v0
	s_delay_alu instid0(VALU_DEP_2) | instskip(NEXT) | instid1(VALU_DEP_2)
	v_lshlrev_b64 v[1:2], 1, v[1:2]
	v_fma_mixlo_f16 v3, v3, s3, 0
	s_delay_alu instid0(VALU_DEP_2) | instskip(NEXT) | instid1(VALU_DEP_3)
	v_add_co_u32 v1, vcc_lo, s4, v1
	v_add_co_ci_u32_e32 v2, vcc_lo, s5, v2, vcc_lo
	global_store_b16 v[1:2], v3, off
	s_or_b32 exec_lo, exec_lo, s0
	s_delay_alu instid0(SALU_CYCLE_1)
	s_mov_b32 s0, exec_lo
	v_cmpx_gt_i32_e64 s2, v0
	s_cbranch_execz .LBB130_23
.LBB130_34:
	v_dual_mov_b32 v2, 0 :: v_dual_add_nc_u32 v1, s8, v0
	v_mul_f32_e32 v3, v8, v16
	v_add_nc_u32_e32 v0, 0x100, v0
	s_delay_alu instid0(VALU_DEP_3) | instskip(NEXT) | instid1(VALU_DEP_3)
	v_lshlrev_b64 v[1:2], 1, v[1:2]
	v_fma_mixlo_f16 v3, v3, s3, 0
	s_delay_alu instid0(VALU_DEP_2) | instskip(NEXT) | instid1(VALU_DEP_3)
	v_add_co_u32 v1, vcc_lo, s4, v1
	v_add_co_ci_u32_e32 v2, vcc_lo, s5, v2, vcc_lo
	global_store_b16 v[1:2], v3, off
	s_or_b32 exec_lo, exec_lo, s0
	s_delay_alu instid0(SALU_CYCLE_1)
	s_mov_b32 s0, exec_lo
	v_cmpx_gt_i32_e64 s2, v0
	s_cbranch_execz .LBB130_24
.LBB130_35:
	v_dual_mov_b32 v2, 0 :: v_dual_add_nc_u32 v1, s8, v0
	v_dual_mul_f32 v3, v17, v18 :: v_dual_add_nc_u32 v0, 0x100, v0
	s_delay_alu instid0(VALU_DEP_2) | instskip(NEXT) | instid1(VALU_DEP_2)
	v_lshlrev_b64 v[1:2], 1, v[1:2]
	v_fma_mixlo_f16 v3, v3, s3, 0
	s_delay_alu instid0(VALU_DEP_2) | instskip(NEXT) | instid1(VALU_DEP_3)
	v_add_co_u32 v1, vcc_lo, s4, v1
	v_add_co_ci_u32_e32 v2, vcc_lo, s5, v2, vcc_lo
	global_store_b16 v[1:2], v3, off
	s_or_b32 exec_lo, exec_lo, s0
	s_delay_alu instid0(SALU_CYCLE_1)
	s_mov_b32 s0, exec_lo
	v_cmpx_gt_i32_e64 s2, v0
	s_cbranch_execnz .LBB130_25
	s_branch .LBB130_26
	.section	.rodata,"a",@progbits
	.p2align	6, 0x0
	.amdhsa_kernel _ZN2at6native29vectorized_elementwise_kernelILi4EZNS0_12_GLOBAL__N_119masked_scale_kernelIbN3c104HalfEfEEvRNS_6TensorERKS6_S9_T1_EUlS5_bE_St5arrayIPcLm3EEEEviT0_SA_
		.amdhsa_group_segment_fixed_size 0
		.amdhsa_private_segment_fixed_size 0
		.amdhsa_kernarg_size 32
		.amdhsa_user_sgpr_count 15
		.amdhsa_user_sgpr_dispatch_ptr 0
		.amdhsa_user_sgpr_queue_ptr 0
		.amdhsa_user_sgpr_kernarg_segment_ptr 1
		.amdhsa_user_sgpr_dispatch_id 0
		.amdhsa_user_sgpr_private_segment_size 0
		.amdhsa_wavefront_size32 1
		.amdhsa_uses_dynamic_stack 0
		.amdhsa_enable_private_segment 0
		.amdhsa_system_sgpr_workgroup_id_x 1
		.amdhsa_system_sgpr_workgroup_id_y 0
		.amdhsa_system_sgpr_workgroup_id_z 0
		.amdhsa_system_sgpr_workgroup_info 0
		.amdhsa_system_vgpr_workitem_id 0
		.amdhsa_next_free_vgpr 22
		.amdhsa_next_free_sgpr 16
		.amdhsa_reserve_vcc 1
		.amdhsa_float_round_mode_32 0
		.amdhsa_float_round_mode_16_64 0
		.amdhsa_float_denorm_mode_32 3
		.amdhsa_float_denorm_mode_16_64 3
		.amdhsa_dx10_clamp 1
		.amdhsa_ieee_mode 1
		.amdhsa_fp16_overflow 0
		.amdhsa_workgroup_processor_mode 1
		.amdhsa_memory_ordered 1
		.amdhsa_forward_progress 0
		.amdhsa_shared_vgpr_count 0
		.amdhsa_exception_fp_ieee_invalid_op 0
		.amdhsa_exception_fp_denorm_src 0
		.amdhsa_exception_fp_ieee_div_zero 0
		.amdhsa_exception_fp_ieee_overflow 0
		.amdhsa_exception_fp_ieee_underflow 0
		.amdhsa_exception_fp_ieee_inexact 0
		.amdhsa_exception_int_div_zero 0
	.end_amdhsa_kernel
	.section	.text._ZN2at6native29vectorized_elementwise_kernelILi4EZNS0_12_GLOBAL__N_119masked_scale_kernelIbN3c104HalfEfEEvRNS_6TensorERKS6_S9_T1_EUlS5_bE_St5arrayIPcLm3EEEEviT0_SA_,"axG",@progbits,_ZN2at6native29vectorized_elementwise_kernelILi4EZNS0_12_GLOBAL__N_119masked_scale_kernelIbN3c104HalfEfEEvRNS_6TensorERKS6_S9_T1_EUlS5_bE_St5arrayIPcLm3EEEEviT0_SA_,comdat
.Lfunc_end130:
	.size	_ZN2at6native29vectorized_elementwise_kernelILi4EZNS0_12_GLOBAL__N_119masked_scale_kernelIbN3c104HalfEfEEvRNS_6TensorERKS6_S9_T1_EUlS5_bE_St5arrayIPcLm3EEEEviT0_SA_, .Lfunc_end130-_ZN2at6native29vectorized_elementwise_kernelILi4EZNS0_12_GLOBAL__N_119masked_scale_kernelIbN3c104HalfEfEEvRNS_6TensorERKS6_S9_T1_EUlS5_bE_St5arrayIPcLm3EEEEviT0_SA_
                                        ; -- End function
	.section	.AMDGPU.csdata,"",@progbits
; Kernel info:
; codeLenInByte = 2504
; NumSgprs: 18
; NumVgprs: 22
; ScratchSize: 0
; MemoryBound: 0
; FloatMode: 240
; IeeeMode: 1
; LDSByteSize: 0 bytes/workgroup (compile time only)
; SGPRBlocks: 2
; VGPRBlocks: 2
; NumSGPRsForWavesPerEU: 18
; NumVGPRsForWavesPerEU: 22
; Occupancy: 16
; WaveLimiterHint : 1
; COMPUTE_PGM_RSRC2:SCRATCH_EN: 0
; COMPUTE_PGM_RSRC2:USER_SGPR: 15
; COMPUTE_PGM_RSRC2:TRAP_HANDLER: 0
; COMPUTE_PGM_RSRC2:TGID_X_EN: 1
; COMPUTE_PGM_RSRC2:TGID_Y_EN: 0
; COMPUTE_PGM_RSRC2:TGID_Z_EN: 0
; COMPUTE_PGM_RSRC2:TIDIG_COMP_CNT: 0
	.section	.text._ZN2at6native29vectorized_elementwise_kernelILi2EZNS0_12_GLOBAL__N_119masked_scale_kernelIbN3c104HalfEfEEvRNS_6TensorERKS6_S9_T1_EUlS5_bE_St5arrayIPcLm3EEEEviT0_SA_,"axG",@progbits,_ZN2at6native29vectorized_elementwise_kernelILi2EZNS0_12_GLOBAL__N_119masked_scale_kernelIbN3c104HalfEfEEvRNS_6TensorERKS6_S9_T1_EUlS5_bE_St5arrayIPcLm3EEEEviT0_SA_,comdat
	.globl	_ZN2at6native29vectorized_elementwise_kernelILi2EZNS0_12_GLOBAL__N_119masked_scale_kernelIbN3c104HalfEfEEvRNS_6TensorERKS6_S9_T1_EUlS5_bE_St5arrayIPcLm3EEEEviT0_SA_ ; -- Begin function _ZN2at6native29vectorized_elementwise_kernelILi2EZNS0_12_GLOBAL__N_119masked_scale_kernelIbN3c104HalfEfEEvRNS_6TensorERKS6_S9_T1_EUlS5_bE_St5arrayIPcLm3EEEEviT0_SA_
	.p2align	8
	.type	_ZN2at6native29vectorized_elementwise_kernelILi2EZNS0_12_GLOBAL__N_119masked_scale_kernelIbN3c104HalfEfEEvRNS_6TensorERKS6_S9_T1_EUlS5_bE_St5arrayIPcLm3EEEEviT0_SA_,@function
_ZN2at6native29vectorized_elementwise_kernelILi2EZNS0_12_GLOBAL__N_119masked_scale_kernelIbN3c104HalfEfEEvRNS_6TensorERKS6_S9_T1_EUlS5_bE_St5arrayIPcLm3EEEEviT0_SA_: ; @_ZN2at6native29vectorized_elementwise_kernelILi2EZNS0_12_GLOBAL__N_119masked_scale_kernelIbN3c104HalfEfEEvRNS_6TensorERKS6_S9_T1_EUlS5_bE_St5arrayIPcLm3EEEEviT0_SA_
; %bb.0:
	s_clause 0x2
	s_load_b64 s[2:3], s[0:1], 0x0
	s_load_b128 s[4:7], s[0:1], 0x8
	s_load_b64 s[10:11], s[0:1], 0x18
	s_lshl_b32 s8, s15, 11
	s_mov_b32 s0, -1
	s_waitcnt lgkmcnt(0)
	s_sub_i32 s2, s2, s8
	s_delay_alu instid0(SALU_CYCLE_1)
	s_cmpk_gt_i32 s2, 0x7ff
	s_cbranch_scc0 .LBB131_2
; %bb.1:
	s_ashr_i32 s9, s8, 31
	v_lshlrev_b32_e32 v1, 2, v0
	s_lshl_b64 s[0:1], s[8:9], 1
	s_delay_alu instid0(SALU_CYCLE_1)
	s_add_u32 s12, s6, s0
	s_addc_u32 s13, s7, s1
	s_clause 0x3
	global_load_b32 v3, v1, s[12:13]
	global_load_b32 v4, v1, s[12:13] offset:1024
	global_load_b32 v5, v1, s[12:13] offset:2048
	global_load_b32 v6, v1, s[12:13] offset:3072
	s_add_u32 s12, s10, s8
	s_addc_u32 s13, s11, s9
	s_waitcnt vmcnt(3)
	v_lshrrev_b32_e32 v10, 16, v3
	s_waitcnt vmcnt(2)
	v_lshrrev_b32_e32 v11, 16, v4
	;; [unrolled: 2-line block ×4, first 2 shown]
	v_cvt_f32_f16_e32 v6, v6
	v_cvt_f32_f16_e32 v10, v10
	v_lshlrev_b32_e32 v2, 1, v0
	v_cvt_f32_f16_e32 v12, v12
	v_cvt_f32_f16_e32 v3, v3
	;; [unrolled: 1-line block ×3, first 2 shown]
	s_clause 0x3
	global_load_u16 v7, v2, s[12:13]
	global_load_u16 v8, v2, s[12:13] offset:512
	global_load_u16 v9, v2, s[12:13] offset:1024
	;; [unrolled: 1-line block ×3, first 2 shown]
	v_cvt_f32_f16_e32 v4, v4
	v_cvt_f32_f16_e32 v5, v5
	;; [unrolled: 1-line block ×3, first 2 shown]
	s_add_u32 s12, s4, s0
	s_addc_u32 s13, s5, s1
	s_mov_b32 s0, 0
	s_waitcnt vmcnt(3)
	v_cmp_lt_u16_e32 vcc_lo, 0xff, v7
	v_and_b32_e32 v14, 0xff, v7
	s_waitcnt vmcnt(2)
	v_and_b32_e32 v15, 0xff, v8
	s_waitcnt vmcnt(1)
	v_and_b32_e32 v16, 0xff, v9
	v_cndmask_b32_e64 v7, 0, 1.0, vcc_lo
	v_cmp_lt_u16_e32 vcc_lo, 0xff, v8
	s_delay_alu instid0(VALU_DEP_2)
	v_mul_f32_e32 v7, v10, v7
	v_cndmask_b32_e64 v8, 0, 1.0, vcc_lo
	v_cmp_lt_u16_e32 vcc_lo, 0xff, v9
	s_waitcnt vmcnt(0)
	v_and_b32_e32 v17, 0xff, v2
	v_fma_mixlo_f16 v7, v7, s3, 0
	v_mul_f32_e32 v8, v11, v8
	v_cndmask_b32_e64 v9, 0, 1.0, vcc_lo
	v_cmp_lt_u16_e32 vcc_lo, 0xff, v2
	s_delay_alu instid0(VALU_DEP_4) | instskip(NEXT) | instid1(VALU_DEP_4)
	v_lshlrev_b32_e32 v7, 16, v7
	v_fma_mixlo_f16 v8, v8, s3, 0
	s_delay_alu instid0(VALU_DEP_4) | instskip(SKIP_2) | instid1(VALU_DEP_4)
	v_mul_f32_e32 v9, v12, v9
	v_cndmask_b32_e64 v2, 0, 1.0, vcc_lo
	v_cmp_ne_u16_e32 vcc_lo, 0, v14
	v_lshlrev_b32_e32 v8, 16, v8
	s_delay_alu instid0(VALU_DEP_4) | instskip(NEXT) | instid1(VALU_DEP_4)
	v_fma_mixlo_f16 v9, v9, s3, 0
	v_mul_f32_e32 v2, v13, v2
	v_cndmask_b32_e64 v14, 0, 1.0, vcc_lo
	v_cmp_ne_u16_e32 vcc_lo, 0, v15
	s_delay_alu instid0(VALU_DEP_4) | instskip(NEXT) | instid1(VALU_DEP_4)
	v_lshlrev_b32_e32 v9, 16, v9
	v_fma_mixlo_f16 v2, v2, s3, 0
	s_delay_alu instid0(VALU_DEP_4) | instskip(SKIP_2) | instid1(VALU_DEP_4)
	v_mul_f32_e32 v3, v3, v14
	v_cndmask_b32_e64 v15, 0, 1.0, vcc_lo
	v_cmp_ne_u16_e32 vcc_lo, 0, v16
	v_lshlrev_b32_e32 v2, 16, v2
	s_delay_alu instid0(VALU_DEP_4) | instskip(SKIP_3) | instid1(VALU_DEP_4)
	v_fma_mixlo_f16 v3, v3, s3, 0
	v_cndmask_b32_e64 v16, 0, 1.0, vcc_lo
	v_cmp_ne_u16_e32 vcc_lo, 0, v17
	v_mul_f32_e32 v4, v4, v15
	v_and_b32_e32 v3, 0xffff, v3
	s_delay_alu instid0(VALU_DEP_4) | instskip(SKIP_1) | instid1(VALU_DEP_4)
	v_mul_f32_e32 v5, v5, v16
	v_cndmask_b32_e64 v17, 0, 1.0, vcc_lo
	v_fma_mixlo_f16 v4, v4, s3, 0
	s_delay_alu instid0(VALU_DEP_4) | instskip(NEXT) | instid1(VALU_DEP_4)
	v_or_b32_e32 v3, v7, v3
	v_fma_mixlo_f16 v5, v5, s3, 0
	s_delay_alu instid0(VALU_DEP_4) | instskip(NEXT) | instid1(VALU_DEP_4)
	v_mul_f32_e32 v6, v6, v17
	v_and_b32_e32 v4, 0xffff, v4
	s_delay_alu instid0(VALU_DEP_3) | instskip(NEXT) | instid1(VALU_DEP_3)
	v_and_b32_e32 v5, 0xffff, v5
	v_fma_mixlo_f16 v6, v6, s3, 0
	s_delay_alu instid0(VALU_DEP_3) | instskip(NEXT) | instid1(VALU_DEP_3)
	v_or_b32_e32 v4, v8, v4
	v_or_b32_e32 v5, v9, v5
	s_delay_alu instid0(VALU_DEP_3) | instskip(NEXT) | instid1(VALU_DEP_1)
	v_and_b32_e32 v6, 0xffff, v6
	v_or_b32_e32 v2, v2, v6
	s_clause 0x3
	global_store_b32 v1, v3, s[12:13]
	global_store_b32 v1, v4, s[12:13] offset:1024
	global_store_b32 v1, v5, s[12:13] offset:2048
	;; [unrolled: 1-line block ×3, first 2 shown]
.LBB131_2:
	s_and_not1_b32 vcc_lo, exec_lo, s0
	s_cbranch_vccnz .LBB131_26
; %bb.3:
	v_cmp_gt_i32_e32 vcc_lo, s2, v0
	v_dual_mov_b32 v3, 0 :: v_dual_mov_b32 v6, 0
	v_or_b32_e32 v1, s8, v0
	v_or_b32_e32 v4, 0x100, v0
	v_dual_mov_b32 v7, 0 :: v_dual_mov_b32 v2, v0
	s_and_saveexec_b32 s1, vcc_lo
	s_cbranch_execz .LBB131_5
; %bb.4:
	v_mov_b32_e32 v2, 0
	s_delay_alu instid0(VALU_DEP_1) | instskip(SKIP_1) | instid1(VALU_DEP_2)
	v_lshlrev_b64 v[5:6], 1, v[1:2]
	v_or_b32_e32 v2, 0x100, v0
	v_add_co_u32 v5, s0, s6, v5
	s_delay_alu instid0(VALU_DEP_1)
	v_add_co_ci_u32_e64 v6, s0, s7, v6, s0
	global_load_u8 v7, v1, s[10:11]
	global_load_u16 v5, v[5:6], off
	s_waitcnt vmcnt(1)
	v_cmp_ne_u16_e64 s0, 0, v7
	s_waitcnt vmcnt(0)
	v_cvt_f32_f16_e32 v6, v5
	s_delay_alu instid0(VALU_DEP_2)
	v_cndmask_b32_e64 v7, 0, 1.0, s0
.LBB131_5:
	s_or_b32 exec_lo, exec_lo, s1
	v_mov_b32_e32 v9, 0
	s_mov_b32 s1, exec_lo
	v_cmpx_gt_i32_e64 s2, v2
	s_cbranch_execz .LBB131_7
; %bb.6:
	v_dual_mov_b32 v9, 0 :: v_dual_add_nc_u32 v8, s8, v2
	v_add_nc_u32_e32 v2, 0x100, v2
	s_delay_alu instid0(VALU_DEP_2) | instskip(NEXT) | instid1(VALU_DEP_1)
	v_lshlrev_b64 v[9:10], 1, v[8:9]
	v_add_co_u32 v9, s0, s6, v9
	s_delay_alu instid0(VALU_DEP_1)
	v_add_co_ci_u32_e64 v10, s0, s7, v10, s0
	global_load_u8 v3, v8, s[10:11]
	global_load_u16 v5, v[9:10], off
	s_waitcnt vmcnt(1)
	v_cmp_ne_u16_e64 s0, 0, v3
	s_waitcnt vmcnt(0)
	v_cvt_f32_f16_e32 v3, v5
	s_delay_alu instid0(VALU_DEP_2)
	v_cndmask_b32_e64 v9, 0, 1.0, s0
.LBB131_7:
	s_or_b32 exec_lo, exec_lo, s1
	v_dual_mov_b32 v5, 0 :: v_dual_mov_b32 v10, 0
	v_mov_b32_e32 v11, 0
	s_mov_b32 s1, exec_lo
	v_cmpx_gt_i32_e64 s2, v2
	s_cbranch_execz .LBB131_9
; %bb.8:
	v_dual_mov_b32 v11, 0 :: v_dual_add_nc_u32 v10, s8, v2
	v_add_nc_u32_e32 v2, 0x100, v2
	s_delay_alu instid0(VALU_DEP_2) | instskip(NEXT) | instid1(VALU_DEP_1)
	v_lshlrev_b64 v[11:12], 1, v[10:11]
	v_add_co_u32 v11, s0, s6, v11
	s_delay_alu instid0(VALU_DEP_1)
	v_add_co_ci_u32_e64 v12, s0, s7, v12, s0
	global_load_u8 v8, v10, s[10:11]
	global_load_u16 v10, v[11:12], off
	s_waitcnt vmcnt(1)
	v_cmp_ne_u16_e64 s0, 0, v8
	s_waitcnt vmcnt(0)
	v_cvt_f32_f16_e32 v10, v10
	s_delay_alu instid0(VALU_DEP_2)
	v_cndmask_b32_e64 v11, 0, 1.0, s0
.LBB131_9:
	s_or_b32 exec_lo, exec_lo, s1
	v_mov_b32_e32 v13, 0
	s_mov_b32 s1, exec_lo
	v_cmpx_gt_i32_e64 s2, v2
	s_cbranch_execz .LBB131_11
; %bb.10:
	v_dual_mov_b32 v13, 0 :: v_dual_add_nc_u32 v12, s8, v2
	v_add_nc_u32_e32 v2, 0x100, v2
	s_delay_alu instid0(VALU_DEP_2) | instskip(NEXT) | instid1(VALU_DEP_1)
	v_lshlrev_b64 v[13:14], 1, v[12:13]
	v_add_co_u32 v13, s0, s6, v13
	s_delay_alu instid0(VALU_DEP_1)
	v_add_co_ci_u32_e64 v14, s0, s7, v14, s0
	global_load_u8 v5, v12, s[10:11]
	global_load_u16 v8, v[13:14], off
	s_waitcnt vmcnt(1)
	v_cmp_ne_u16_e64 s0, 0, v5
	s_waitcnt vmcnt(0)
	v_cvt_f32_f16_e32 v5, v8
	s_delay_alu instid0(VALU_DEP_2)
	v_cndmask_b32_e64 v13, 0, 1.0, s0
.LBB131_11:
	s_or_b32 exec_lo, exec_lo, s1
	v_dual_mov_b32 v8, 0 :: v_dual_mov_b32 v15, 0
	v_mov_b32_e32 v14, 0
	s_mov_b32 s1, exec_lo
	v_cmpx_gt_i32_e64 s2, v2
	s_cbranch_execz .LBB131_13
; %bb.12:
	v_dual_mov_b32 v15, 0 :: v_dual_add_nc_u32 v14, s8, v2
	v_add_nc_u32_e32 v2, 0x100, v2
	s_delay_alu instid0(VALU_DEP_2) | instskip(NEXT) | instid1(VALU_DEP_1)
	v_lshlrev_b64 v[15:16], 1, v[14:15]
	v_add_co_u32 v15, s0, s6, v15
	s_delay_alu instid0(VALU_DEP_1)
	v_add_co_ci_u32_e64 v16, s0, s7, v16, s0
	global_load_u8 v12, v14, s[10:11]
	global_load_u16 v14, v[15:16], off
	s_waitcnt vmcnt(1)
	v_cmp_ne_u16_e64 s0, 0, v12
	s_waitcnt vmcnt(0)
	v_cvt_f32_f16_e32 v14, v14
	s_delay_alu instid0(VALU_DEP_2)
	v_cndmask_b32_e64 v15, 0, 1.0, s0
.LBB131_13:
	s_or_b32 exec_lo, exec_lo, s1
	v_mov_b32_e32 v16, 0
	s_mov_b32 s1, exec_lo
	v_cmpx_gt_i32_e64 s2, v2
	s_cbranch_execz .LBB131_15
; %bb.14:
	v_dual_mov_b32 v17, 0 :: v_dual_add_nc_u32 v16, s8, v2
	v_add_nc_u32_e32 v2, 0x100, v2
	s_delay_alu instid0(VALU_DEP_2) | instskip(NEXT) | instid1(VALU_DEP_1)
	v_lshlrev_b64 v[17:18], 1, v[16:17]
	v_add_co_u32 v17, s0, s6, v17
	s_delay_alu instid0(VALU_DEP_1)
	v_add_co_ci_u32_e64 v18, s0, s7, v18, s0
	global_load_u8 v8, v16, s[10:11]
	global_load_u16 v12, v[17:18], off
	s_waitcnt vmcnt(1)
	v_cmp_ne_u16_e64 s0, 0, v8
	s_waitcnt vmcnt(0)
	v_cvt_f32_f16_e32 v8, v12
	s_delay_alu instid0(VALU_DEP_2)
	v_cndmask_b32_e64 v16, 0, 1.0, s0
.LBB131_15:
	s_or_b32 exec_lo, exec_lo, s1
	v_dual_mov_b32 v12, 0 :: v_dual_mov_b32 v17, 0
	v_mov_b32_e32 v18, 0
	s_mov_b32 s1, exec_lo
	v_cmpx_gt_i32_e64 s2, v2
	s_cbranch_execnz .LBB131_27
; %bb.16:
	s_or_b32 exec_lo, exec_lo, s1
	s_delay_alu instid0(SALU_CYCLE_1)
	s_mov_b32 s1, exec_lo
	v_cmpx_gt_i32_e64 s2, v2
	s_cbranch_execnz .LBB131_28
.LBB131_17:
	s_or_b32 exec_lo, exec_lo, s1
	s_and_saveexec_b32 s0, vcc_lo
	s_cbranch_execnz .LBB131_29
.LBB131_18:
	s_or_b32 exec_lo, exec_lo, s0
	s_delay_alu instid0(SALU_CYCLE_1)
	s_mov_b32 s0, exec_lo
	v_cmpx_gt_i32_e64 s2, v0
	s_cbranch_execnz .LBB131_30
.LBB131_19:
	s_or_b32 exec_lo, exec_lo, s0
	s_delay_alu instid0(SALU_CYCLE_1)
	s_mov_b32 s0, exec_lo
	v_cmpx_gt_i32_e64 s2, v0
	s_cbranch_execnz .LBB131_31
.LBB131_20:
	s_or_b32 exec_lo, exec_lo, s0
	s_delay_alu instid0(SALU_CYCLE_1)
	s_mov_b32 s0, exec_lo
	v_cmpx_gt_i32_e64 s2, v0
	s_cbranch_execnz .LBB131_32
.LBB131_21:
	s_or_b32 exec_lo, exec_lo, s0
	s_delay_alu instid0(SALU_CYCLE_1)
	s_mov_b32 s0, exec_lo
	v_cmpx_gt_i32_e64 s2, v0
	s_cbranch_execnz .LBB131_33
.LBB131_22:
	s_or_b32 exec_lo, exec_lo, s0
	s_delay_alu instid0(SALU_CYCLE_1)
	s_mov_b32 s0, exec_lo
	v_cmpx_gt_i32_e64 s2, v0
	s_cbranch_execnz .LBB131_34
.LBB131_23:
	s_or_b32 exec_lo, exec_lo, s0
	s_delay_alu instid0(SALU_CYCLE_1)
	s_mov_b32 s0, exec_lo
	v_cmpx_gt_i32_e64 s2, v0
	s_cbranch_execnz .LBB131_35
.LBB131_24:
	s_or_b32 exec_lo, exec_lo, s0
	s_delay_alu instid0(SALU_CYCLE_1)
	s_mov_b32 s0, exec_lo
	v_cmpx_gt_i32_e64 s2, v0
	s_cbranch_execz .LBB131_26
.LBB131_25:
	v_dual_mov_b32 v1, 0 :: v_dual_add_nc_u32 v0, s8, v0
	v_fma_mixlo_f16 v2, v12, s3, 0
	s_delay_alu instid0(VALU_DEP_2) | instskip(NEXT) | instid1(VALU_DEP_1)
	v_lshlrev_b64 v[0:1], 1, v[0:1]
	v_add_co_u32 v0, vcc_lo, s4, v0
	s_delay_alu instid0(VALU_DEP_2)
	v_add_co_ci_u32_e32 v1, vcc_lo, s5, v1, vcc_lo
	global_store_b16 v[0:1], v2, off
.LBB131_26:
	s_nop 0
	s_sendmsg sendmsg(MSG_DEALLOC_VGPRS)
	s_endpgm
.LBB131_27:
	v_dual_mov_b32 v18, 0 :: v_dual_add_nc_u32 v17, s8, v2
	v_add_nc_u32_e32 v2, 0x100, v2
	s_delay_alu instid0(VALU_DEP_2) | instskip(NEXT) | instid1(VALU_DEP_1)
	v_lshlrev_b64 v[18:19], 1, v[17:18]
	v_add_co_u32 v18, s0, s6, v18
	s_delay_alu instid0(VALU_DEP_1)
	v_add_co_ci_u32_e64 v19, s0, s7, v19, s0
	global_load_u8 v17, v17, s[10:11]
	global_load_u16 v19, v[18:19], off
	s_waitcnt vmcnt(1)
	v_cmp_ne_u16_e64 s0, 0, v17
	s_waitcnt vmcnt(0)
	v_cvt_f32_f16_e32 v17, v19
	s_delay_alu instid0(VALU_DEP_2) | instskip(SKIP_1) | instid1(SALU_CYCLE_1)
	v_cndmask_b32_e64 v18, 0, 1.0, s0
	s_or_b32 exec_lo, exec_lo, s1
	s_mov_b32 s1, exec_lo
	v_cmpx_gt_i32_e64 s2, v2
	s_cbranch_execz .LBB131_17
.LBB131_28:
	v_dual_mov_b32 v20, 0 :: v_dual_add_nc_u32 v19, s8, v2
	s_delay_alu instid0(VALU_DEP_1) | instskip(NEXT) | instid1(VALU_DEP_1)
	v_lshlrev_b64 v[20:21], 1, v[19:20]
	v_add_co_u32 v20, s0, s6, v20
	s_delay_alu instid0(VALU_DEP_1)
	v_add_co_ci_u32_e64 v21, s0, s7, v21, s0
	global_load_u8 v2, v19, s[10:11]
	global_load_u16 v12, v[20:21], off
	s_waitcnt vmcnt(1)
	v_cmp_ne_u16_e64 s0, 0, v2
	s_waitcnt vmcnt(0)
	v_cvt_f32_f16_e32 v12, v12
	s_delay_alu instid0(VALU_DEP_2) | instskip(NEXT) | instid1(VALU_DEP_1)
	v_cndmask_b32_e64 v2, 0, 1.0, s0
	v_mul_f32_e32 v12, v12, v2
	s_or_b32 exec_lo, exec_lo, s1
	s_and_saveexec_b32 s0, vcc_lo
	s_cbranch_execz .LBB131_18
.LBB131_29:
	v_mov_b32_e32 v2, 0
	v_mul_f32_e32 v6, v6, v7
	s_delay_alu instid0(VALU_DEP_2) | instskip(NEXT) | instid1(VALU_DEP_2)
	v_lshlrev_b64 v[0:1], 1, v[1:2]
	v_fma_mixlo_f16 v2, v6, s3, 0
	s_delay_alu instid0(VALU_DEP_2) | instskip(NEXT) | instid1(VALU_DEP_3)
	v_add_co_u32 v6, vcc_lo, s4, v0
	v_add_co_ci_u32_e32 v7, vcc_lo, s5, v1, vcc_lo
	v_mov_b32_e32 v0, v4
	global_store_b16 v[6:7], v2, off
	s_or_b32 exec_lo, exec_lo, s0
	s_delay_alu instid0(SALU_CYCLE_1)
	s_mov_b32 s0, exec_lo
	v_cmpx_gt_i32_e64 s2, v0
	s_cbranch_execz .LBB131_19
.LBB131_30:
	v_dual_mov_b32 v2, 0 :: v_dual_add_nc_u32 v1, s8, v0
	v_dual_mul_f32 v3, v3, v9 :: v_dual_add_nc_u32 v0, 0x100, v0
	s_delay_alu instid0(VALU_DEP_2) | instskip(NEXT) | instid1(VALU_DEP_2)
	v_lshlrev_b64 v[1:2], 1, v[1:2]
	v_fma_mixlo_f16 v3, v3, s3, 0
	s_delay_alu instid0(VALU_DEP_2) | instskip(NEXT) | instid1(VALU_DEP_3)
	v_add_co_u32 v1, vcc_lo, s4, v1
	v_add_co_ci_u32_e32 v2, vcc_lo, s5, v2, vcc_lo
	global_store_b16 v[1:2], v3, off
	s_or_b32 exec_lo, exec_lo, s0
	s_delay_alu instid0(SALU_CYCLE_1)
	s_mov_b32 s0, exec_lo
	v_cmpx_gt_i32_e64 s2, v0
	s_cbranch_execz .LBB131_20
.LBB131_31:
	v_dual_mov_b32 v2, 0 :: v_dual_add_nc_u32 v1, s8, v0
	v_dual_mul_f32 v3, v10, v11 :: v_dual_add_nc_u32 v0, 0x100, v0
	s_delay_alu instid0(VALU_DEP_2) | instskip(NEXT) | instid1(VALU_DEP_2)
	v_lshlrev_b64 v[1:2], 1, v[1:2]
	v_fma_mixlo_f16 v3, v3, s3, 0
	s_delay_alu instid0(VALU_DEP_2) | instskip(NEXT) | instid1(VALU_DEP_3)
	v_add_co_u32 v1, vcc_lo, s4, v1
	v_add_co_ci_u32_e32 v2, vcc_lo, s5, v2, vcc_lo
	global_store_b16 v[1:2], v3, off
	s_or_b32 exec_lo, exec_lo, s0
	s_delay_alu instid0(SALU_CYCLE_1)
	s_mov_b32 s0, exec_lo
	v_cmpx_gt_i32_e64 s2, v0
	s_cbranch_execz .LBB131_21
.LBB131_32:
	v_dual_mov_b32 v2, 0 :: v_dual_add_nc_u32 v1, s8, v0
	v_dual_mul_f32 v3, v5, v13 :: v_dual_add_nc_u32 v0, 0x100, v0
	s_delay_alu instid0(VALU_DEP_2) | instskip(NEXT) | instid1(VALU_DEP_2)
	v_lshlrev_b64 v[1:2], 1, v[1:2]
	v_fma_mixlo_f16 v3, v3, s3, 0
	s_delay_alu instid0(VALU_DEP_2) | instskip(NEXT) | instid1(VALU_DEP_3)
	v_add_co_u32 v1, vcc_lo, s4, v1
	v_add_co_ci_u32_e32 v2, vcc_lo, s5, v2, vcc_lo
	global_store_b16 v[1:2], v3, off
	s_or_b32 exec_lo, exec_lo, s0
	s_delay_alu instid0(SALU_CYCLE_1)
	s_mov_b32 s0, exec_lo
	v_cmpx_gt_i32_e64 s2, v0
	s_cbranch_execz .LBB131_22
.LBB131_33:
	v_dual_mov_b32 v2, 0 :: v_dual_add_nc_u32 v1, s8, v0
	v_dual_mul_f32 v3, v14, v15 :: v_dual_add_nc_u32 v0, 0x100, v0
	s_delay_alu instid0(VALU_DEP_2) | instskip(NEXT) | instid1(VALU_DEP_2)
	v_lshlrev_b64 v[1:2], 1, v[1:2]
	v_fma_mixlo_f16 v3, v3, s3, 0
	s_delay_alu instid0(VALU_DEP_2) | instskip(NEXT) | instid1(VALU_DEP_3)
	v_add_co_u32 v1, vcc_lo, s4, v1
	v_add_co_ci_u32_e32 v2, vcc_lo, s5, v2, vcc_lo
	global_store_b16 v[1:2], v3, off
	s_or_b32 exec_lo, exec_lo, s0
	s_delay_alu instid0(SALU_CYCLE_1)
	s_mov_b32 s0, exec_lo
	v_cmpx_gt_i32_e64 s2, v0
	s_cbranch_execz .LBB131_23
.LBB131_34:
	v_dual_mov_b32 v2, 0 :: v_dual_add_nc_u32 v1, s8, v0
	v_mul_f32_e32 v3, v8, v16
	v_add_nc_u32_e32 v0, 0x100, v0
	s_delay_alu instid0(VALU_DEP_3) | instskip(NEXT) | instid1(VALU_DEP_3)
	v_lshlrev_b64 v[1:2], 1, v[1:2]
	v_fma_mixlo_f16 v3, v3, s3, 0
	s_delay_alu instid0(VALU_DEP_2) | instskip(NEXT) | instid1(VALU_DEP_3)
	v_add_co_u32 v1, vcc_lo, s4, v1
	v_add_co_ci_u32_e32 v2, vcc_lo, s5, v2, vcc_lo
	global_store_b16 v[1:2], v3, off
	s_or_b32 exec_lo, exec_lo, s0
	s_delay_alu instid0(SALU_CYCLE_1)
	s_mov_b32 s0, exec_lo
	v_cmpx_gt_i32_e64 s2, v0
	s_cbranch_execz .LBB131_24
.LBB131_35:
	v_dual_mov_b32 v2, 0 :: v_dual_add_nc_u32 v1, s8, v0
	v_dual_mul_f32 v3, v17, v18 :: v_dual_add_nc_u32 v0, 0x100, v0
	s_delay_alu instid0(VALU_DEP_2) | instskip(NEXT) | instid1(VALU_DEP_2)
	v_lshlrev_b64 v[1:2], 1, v[1:2]
	v_fma_mixlo_f16 v3, v3, s3, 0
	s_delay_alu instid0(VALU_DEP_2) | instskip(NEXT) | instid1(VALU_DEP_3)
	v_add_co_u32 v1, vcc_lo, s4, v1
	v_add_co_ci_u32_e32 v2, vcc_lo, s5, v2, vcc_lo
	global_store_b16 v[1:2], v3, off
	s_or_b32 exec_lo, exec_lo, s0
	s_delay_alu instid0(SALU_CYCLE_1)
	s_mov_b32 s0, exec_lo
	v_cmpx_gt_i32_e64 s2, v0
	s_cbranch_execnz .LBB131_25
	s_branch .LBB131_26
	.section	.rodata,"a",@progbits
	.p2align	6, 0x0
	.amdhsa_kernel _ZN2at6native29vectorized_elementwise_kernelILi2EZNS0_12_GLOBAL__N_119masked_scale_kernelIbN3c104HalfEfEEvRNS_6TensorERKS6_S9_T1_EUlS5_bE_St5arrayIPcLm3EEEEviT0_SA_
		.amdhsa_group_segment_fixed_size 0
		.amdhsa_private_segment_fixed_size 0
		.amdhsa_kernarg_size 32
		.amdhsa_user_sgpr_count 15
		.amdhsa_user_sgpr_dispatch_ptr 0
		.amdhsa_user_sgpr_queue_ptr 0
		.amdhsa_user_sgpr_kernarg_segment_ptr 1
		.amdhsa_user_sgpr_dispatch_id 0
		.amdhsa_user_sgpr_private_segment_size 0
		.amdhsa_wavefront_size32 1
		.amdhsa_uses_dynamic_stack 0
		.amdhsa_enable_private_segment 0
		.amdhsa_system_sgpr_workgroup_id_x 1
		.amdhsa_system_sgpr_workgroup_id_y 0
		.amdhsa_system_sgpr_workgroup_id_z 0
		.amdhsa_system_sgpr_workgroup_info 0
		.amdhsa_system_vgpr_workitem_id 0
		.amdhsa_next_free_vgpr 22
		.amdhsa_next_free_sgpr 16
		.amdhsa_reserve_vcc 1
		.amdhsa_float_round_mode_32 0
		.amdhsa_float_round_mode_16_64 0
		.amdhsa_float_denorm_mode_32 3
		.amdhsa_float_denorm_mode_16_64 3
		.amdhsa_dx10_clamp 1
		.amdhsa_ieee_mode 1
		.amdhsa_fp16_overflow 0
		.amdhsa_workgroup_processor_mode 1
		.amdhsa_memory_ordered 1
		.amdhsa_forward_progress 0
		.amdhsa_shared_vgpr_count 0
		.amdhsa_exception_fp_ieee_invalid_op 0
		.amdhsa_exception_fp_denorm_src 0
		.amdhsa_exception_fp_ieee_div_zero 0
		.amdhsa_exception_fp_ieee_overflow 0
		.amdhsa_exception_fp_ieee_underflow 0
		.amdhsa_exception_fp_ieee_inexact 0
		.amdhsa_exception_int_div_zero 0
	.end_amdhsa_kernel
	.section	.text._ZN2at6native29vectorized_elementwise_kernelILi2EZNS0_12_GLOBAL__N_119masked_scale_kernelIbN3c104HalfEfEEvRNS_6TensorERKS6_S9_T1_EUlS5_bE_St5arrayIPcLm3EEEEviT0_SA_,"axG",@progbits,_ZN2at6native29vectorized_elementwise_kernelILi2EZNS0_12_GLOBAL__N_119masked_scale_kernelIbN3c104HalfEfEEvRNS_6TensorERKS6_S9_T1_EUlS5_bE_St5arrayIPcLm3EEEEviT0_SA_,comdat
.Lfunc_end131:
	.size	_ZN2at6native29vectorized_elementwise_kernelILi2EZNS0_12_GLOBAL__N_119masked_scale_kernelIbN3c104HalfEfEEvRNS_6TensorERKS6_S9_T1_EUlS5_bE_St5arrayIPcLm3EEEEviT0_SA_, .Lfunc_end131-_ZN2at6native29vectorized_elementwise_kernelILi2EZNS0_12_GLOBAL__N_119masked_scale_kernelIbN3c104HalfEfEEvRNS_6TensorERKS6_S9_T1_EUlS5_bE_St5arrayIPcLm3EEEEviT0_SA_
                                        ; -- End function
	.section	.AMDGPU.csdata,"",@progbits
; Kernel info:
; codeLenInByte = 2536
; NumSgprs: 18
; NumVgprs: 22
; ScratchSize: 0
; MemoryBound: 0
; FloatMode: 240
; IeeeMode: 1
; LDSByteSize: 0 bytes/workgroup (compile time only)
; SGPRBlocks: 2
; VGPRBlocks: 2
; NumSGPRsForWavesPerEU: 18
; NumVGPRsForWavesPerEU: 22
; Occupancy: 16
; WaveLimiterHint : 1
; COMPUTE_PGM_RSRC2:SCRATCH_EN: 0
; COMPUTE_PGM_RSRC2:USER_SGPR: 15
; COMPUTE_PGM_RSRC2:TRAP_HANDLER: 0
; COMPUTE_PGM_RSRC2:TGID_X_EN: 1
; COMPUTE_PGM_RSRC2:TGID_Y_EN: 0
; COMPUTE_PGM_RSRC2:TGID_Z_EN: 0
; COMPUTE_PGM_RSRC2:TIDIG_COMP_CNT: 0
	.section	.text._ZN2at6native27unrolled_elementwise_kernelIZNS0_12_GLOBAL__N_119masked_scale_kernelIbN3c104HalfEfEEvRNS_6TensorERKS6_S9_T1_EUlS5_bE_St5arrayIPcLm3EELi4E23TrivialOffsetCalculatorILi2EjESF_ILi1EjENS0_6memory15LoadWithoutCastENSI_16StoreWithoutCastEEEviT_T0_T2_T3_T4_T5_,"axG",@progbits,_ZN2at6native27unrolled_elementwise_kernelIZNS0_12_GLOBAL__N_119masked_scale_kernelIbN3c104HalfEfEEvRNS_6TensorERKS6_S9_T1_EUlS5_bE_St5arrayIPcLm3EELi4E23TrivialOffsetCalculatorILi2EjESF_ILi1EjENS0_6memory15LoadWithoutCastENSI_16StoreWithoutCastEEEviT_T0_T2_T3_T4_T5_,comdat
	.globl	_ZN2at6native27unrolled_elementwise_kernelIZNS0_12_GLOBAL__N_119masked_scale_kernelIbN3c104HalfEfEEvRNS_6TensorERKS6_S9_T1_EUlS5_bE_St5arrayIPcLm3EELi4E23TrivialOffsetCalculatorILi2EjESF_ILi1EjENS0_6memory15LoadWithoutCastENSI_16StoreWithoutCastEEEviT_T0_T2_T3_T4_T5_ ; -- Begin function _ZN2at6native27unrolled_elementwise_kernelIZNS0_12_GLOBAL__N_119masked_scale_kernelIbN3c104HalfEfEEvRNS_6TensorERKS6_S9_T1_EUlS5_bE_St5arrayIPcLm3EELi4E23TrivialOffsetCalculatorILi2EjESF_ILi1EjENS0_6memory15LoadWithoutCastENSI_16StoreWithoutCastEEEviT_T0_T2_T3_T4_T5_
	.p2align	8
	.type	_ZN2at6native27unrolled_elementwise_kernelIZNS0_12_GLOBAL__N_119masked_scale_kernelIbN3c104HalfEfEEvRNS_6TensorERKS6_S9_T1_EUlS5_bE_St5arrayIPcLm3EELi4E23TrivialOffsetCalculatorILi2EjESF_ILi1EjENS0_6memory15LoadWithoutCastENSI_16StoreWithoutCastEEEviT_T0_T2_T3_T4_T5_,@function
_ZN2at6native27unrolled_elementwise_kernelIZNS0_12_GLOBAL__N_119masked_scale_kernelIbN3c104HalfEfEEvRNS_6TensorERKS6_S9_T1_EUlS5_bE_St5arrayIPcLm3EELi4E23TrivialOffsetCalculatorILi2EjESF_ILi1EjENS0_6memory15LoadWithoutCastENSI_16StoreWithoutCastEEEviT_T0_T2_T3_T4_T5_: ; @_ZN2at6native27unrolled_elementwise_kernelIZNS0_12_GLOBAL__N_119masked_scale_kernelIbN3c104HalfEfEEvRNS_6TensorERKS6_S9_T1_EUlS5_bE_St5arrayIPcLm3EELi4E23TrivialOffsetCalculatorILi2EjESF_ILi1EjENS0_6memory15LoadWithoutCastENSI_16StoreWithoutCastEEEviT_T0_T2_T3_T4_T5_
; %bb.0:
	s_clause 0x2
	s_load_b64 s[2:3], s[0:1], 0x0
	s_load_b128 s[4:7], s[0:1], 0x8
	s_load_b64 s[8:9], s[0:1], 0x18
	s_lshl_b32 s1, s15, 10
	v_dual_mov_b32 v3, 0 :: v_dual_mov_b32 v6, 0
	v_dual_mov_b32 v7, 0 :: v_dual_mov_b32 v2, v0
	v_or_b32_e32 v1, s1, v0
	v_or_b32_e32 v4, 0x100, v0
	s_waitcnt lgkmcnt(0)
	s_sub_i32 s2, s2, s1
	s_delay_alu instid0(SALU_CYCLE_1)
	v_cmp_gt_i32_e32 vcc_lo, s2, v0
	s_and_saveexec_b32 s10, vcc_lo
	s_cbranch_execz .LBB132_2
; %bb.1:
	v_mov_b32_e32 v2, 0
	s_delay_alu instid0(VALU_DEP_1) | instskip(SKIP_1) | instid1(VALU_DEP_2)
	v_lshlrev_b64 v[5:6], 1, v[1:2]
	v_or_b32_e32 v2, 0x100, v0
	v_add_co_u32 v5, s0, s6, v5
	s_delay_alu instid0(VALU_DEP_1)
	v_add_co_ci_u32_e64 v6, s0, s7, v6, s0
	global_load_u8 v7, v1, s[8:9]
	global_load_u16 v5, v[5:6], off
	s_waitcnt vmcnt(1)
	v_cmp_ne_u16_e64 s0, 0, v7
	s_waitcnt vmcnt(0)
	v_cvt_f32_f16_e32 v6, v5
	s_delay_alu instid0(VALU_DEP_2)
	v_cndmask_b32_e64 v7, 0, 1.0, s0
.LBB132_2:
	s_or_b32 exec_lo, exec_lo, s10
	v_mov_b32_e32 v8, 0
	s_mov_b32 s10, exec_lo
	v_cmpx_gt_i32_e64 s2, v2
	s_cbranch_execz .LBB132_4
; %bb.3:
	v_dual_mov_b32 v9, 0 :: v_dual_add_nc_u32 v8, s1, v2
	v_add_nc_u32_e32 v2, 0x100, v2
	s_delay_alu instid0(VALU_DEP_2) | instskip(NEXT) | instid1(VALU_DEP_1)
	v_lshlrev_b64 v[9:10], 1, v[8:9]
	v_add_co_u32 v9, s0, s6, v9
	s_delay_alu instid0(VALU_DEP_1)
	v_add_co_ci_u32_e64 v10, s0, s7, v10, s0
	global_load_u8 v3, v8, s[8:9]
	global_load_u16 v5, v[9:10], off
	s_waitcnt vmcnt(1)
	v_cmp_ne_u16_e64 s0, 0, v3
	s_waitcnt vmcnt(0)
	v_cvt_f32_f16_e32 v3, v5
	s_delay_alu instid0(VALU_DEP_2)
	v_cndmask_b32_e64 v8, 0, 1.0, s0
.LBB132_4:
	s_or_b32 exec_lo, exec_lo, s10
	v_dual_mov_b32 v5, 0 :: v_dual_mov_b32 v10, 0
	v_mov_b32_e32 v9, 0
	s_mov_b32 s10, exec_lo
	v_cmpx_gt_i32_e64 s2, v2
	s_cbranch_execnz .LBB132_11
; %bb.5:
	s_or_b32 exec_lo, exec_lo, s10
	s_delay_alu instid0(SALU_CYCLE_1)
	s_mov_b32 s10, exec_lo
	v_cmpx_gt_i32_e64 s2, v2
	s_cbranch_execnz .LBB132_12
.LBB132_6:
	s_or_b32 exec_lo, exec_lo, s10
	s_and_saveexec_b32 s0, vcc_lo
	s_cbranch_execnz .LBB132_13
.LBB132_7:
	s_or_b32 exec_lo, exec_lo, s0
	s_delay_alu instid0(SALU_CYCLE_1)
	s_mov_b32 s0, exec_lo
	v_cmpx_gt_i32_e64 s2, v0
	s_cbranch_execnz .LBB132_14
.LBB132_8:
	s_or_b32 exec_lo, exec_lo, s0
	s_delay_alu instid0(SALU_CYCLE_1)
	s_mov_b32 s0, exec_lo
	v_cmpx_gt_i32_e64 s2, v0
	s_cbranch_execnz .LBB132_15
.LBB132_9:
	s_or_b32 exec_lo, exec_lo, s0
	s_delay_alu instid0(SALU_CYCLE_1)
	s_mov_b32 s0, exec_lo
	v_cmpx_gt_i32_e64 s2, v0
	s_cbranch_execnz .LBB132_16
.LBB132_10:
	s_nop 0
	s_sendmsg sendmsg(MSG_DEALLOC_VGPRS)
	s_endpgm
.LBB132_11:
	v_dual_mov_b32 v10, 0 :: v_dual_add_nc_u32 v9, s1, v2
	v_add_nc_u32_e32 v2, 0x100, v2
	s_delay_alu instid0(VALU_DEP_2) | instskip(NEXT) | instid1(VALU_DEP_1)
	v_lshlrev_b64 v[10:11], 1, v[9:10]
	v_add_co_u32 v10, s0, s6, v10
	s_delay_alu instid0(VALU_DEP_1)
	v_add_co_ci_u32_e64 v11, s0, s7, v11, s0
	global_load_u8 v9, v9, s[8:9]
	global_load_u16 v11, v[10:11], off
	s_waitcnt vmcnt(1)
	v_cmp_ne_u16_e64 s0, 0, v9
	s_waitcnt vmcnt(0)
	v_cvt_f32_f16_e32 v9, v11
	s_delay_alu instid0(VALU_DEP_2) | instskip(SKIP_1) | instid1(SALU_CYCLE_1)
	v_cndmask_b32_e64 v10, 0, 1.0, s0
	s_or_b32 exec_lo, exec_lo, s10
	s_mov_b32 s10, exec_lo
	v_cmpx_gt_i32_e64 s2, v2
	s_cbranch_execz .LBB132_6
.LBB132_12:
	v_dual_mov_b32 v12, 0 :: v_dual_add_nc_u32 v11, s1, v2
	s_delay_alu instid0(VALU_DEP_1) | instskip(NEXT) | instid1(VALU_DEP_1)
	v_lshlrev_b64 v[12:13], 1, v[11:12]
	v_add_co_u32 v12, s0, s6, v12
	s_delay_alu instid0(VALU_DEP_1)
	v_add_co_ci_u32_e64 v13, s0, s7, v13, s0
	global_load_u8 v2, v11, s[8:9]
	global_load_u16 v5, v[12:13], off
	s_waitcnt vmcnt(1)
	v_cmp_ne_u16_e64 s0, 0, v2
	s_waitcnt vmcnt(0)
	v_cvt_f32_f16_e32 v5, v5
	s_delay_alu instid0(VALU_DEP_2) | instskip(NEXT) | instid1(VALU_DEP_1)
	v_cndmask_b32_e64 v2, 0, 1.0, s0
	v_mul_f32_e32 v5, v5, v2
	s_or_b32 exec_lo, exec_lo, s10
	s_and_saveexec_b32 s0, vcc_lo
	s_cbranch_execz .LBB132_7
.LBB132_13:
	v_mov_b32_e32 v2, 0
	s_delay_alu instid0(VALU_DEP_1) | instskip(SKIP_1) | instid1(VALU_DEP_2)
	v_lshlrev_b64 v[0:1], 1, v[1:2]
	v_mul_f32_e32 v2, v6, v7
	v_add_co_u32 v6, vcc_lo, s4, v0
	s_delay_alu instid0(VALU_DEP_3) | instskip(NEXT) | instid1(VALU_DEP_3)
	v_add_co_ci_u32_e32 v7, vcc_lo, s5, v1, vcc_lo
	v_fma_mixlo_f16 v1, v2, s3, 0
	v_mov_b32_e32 v0, v4
	global_store_b16 v[6:7], v1, off
	s_or_b32 exec_lo, exec_lo, s0
	s_delay_alu instid0(SALU_CYCLE_1)
	s_mov_b32 s0, exec_lo
	v_cmpx_gt_i32_e64 s2, v0
	s_cbranch_execz .LBB132_8
.LBB132_14:
	v_dual_mov_b32 v2, 0 :: v_dual_add_nc_u32 v1, s1, v0
	v_mul_f32_e32 v3, v3, v8
	v_add_nc_u32_e32 v0, 0x100, v0
	s_delay_alu instid0(VALU_DEP_3) | instskip(NEXT) | instid1(VALU_DEP_3)
	v_lshlrev_b64 v[1:2], 1, v[1:2]
	v_fma_mixlo_f16 v3, v3, s3, 0
	s_delay_alu instid0(VALU_DEP_2) | instskip(NEXT) | instid1(VALU_DEP_3)
	v_add_co_u32 v1, vcc_lo, s4, v1
	v_add_co_ci_u32_e32 v2, vcc_lo, s5, v2, vcc_lo
	global_store_b16 v[1:2], v3, off
	s_or_b32 exec_lo, exec_lo, s0
	s_delay_alu instid0(SALU_CYCLE_1)
	s_mov_b32 s0, exec_lo
	v_cmpx_gt_i32_e64 s2, v0
	s_cbranch_execz .LBB132_9
.LBB132_15:
	v_dual_mov_b32 v2, 0 :: v_dual_add_nc_u32 v1, s1, v0
	v_dual_mul_f32 v3, v9, v10 :: v_dual_add_nc_u32 v0, 0x100, v0
	s_delay_alu instid0(VALU_DEP_2) | instskip(NEXT) | instid1(VALU_DEP_2)
	v_lshlrev_b64 v[1:2], 1, v[1:2]
	v_fma_mixlo_f16 v3, v3, s3, 0
	s_delay_alu instid0(VALU_DEP_2) | instskip(NEXT) | instid1(VALU_DEP_3)
	v_add_co_u32 v1, vcc_lo, s4, v1
	v_add_co_ci_u32_e32 v2, vcc_lo, s5, v2, vcc_lo
	global_store_b16 v[1:2], v3, off
	s_or_b32 exec_lo, exec_lo, s0
	s_delay_alu instid0(SALU_CYCLE_1)
	s_mov_b32 s0, exec_lo
	v_cmpx_gt_i32_e64 s2, v0
	s_cbranch_execz .LBB132_10
.LBB132_16:
	v_dual_mov_b32 v1, 0 :: v_dual_add_nc_u32 v0, s1, v0
	v_fma_mixlo_f16 v2, v5, s3, 0
	s_delay_alu instid0(VALU_DEP_2) | instskip(NEXT) | instid1(VALU_DEP_1)
	v_lshlrev_b64 v[0:1], 1, v[0:1]
	v_add_co_u32 v0, vcc_lo, s4, v0
	s_delay_alu instid0(VALU_DEP_2)
	v_add_co_ci_u32_e32 v1, vcc_lo, s5, v1, vcc_lo
	global_store_b16 v[0:1], v2, off
	s_nop 0
	s_sendmsg sendmsg(MSG_DEALLOC_VGPRS)
	s_endpgm
	.section	.rodata,"a",@progbits
	.p2align	6, 0x0
	.amdhsa_kernel _ZN2at6native27unrolled_elementwise_kernelIZNS0_12_GLOBAL__N_119masked_scale_kernelIbN3c104HalfEfEEvRNS_6TensorERKS6_S9_T1_EUlS5_bE_St5arrayIPcLm3EELi4E23TrivialOffsetCalculatorILi2EjESF_ILi1EjENS0_6memory15LoadWithoutCastENSI_16StoreWithoutCastEEEviT_T0_T2_T3_T4_T5_
		.amdhsa_group_segment_fixed_size 0
		.amdhsa_private_segment_fixed_size 0
		.amdhsa_kernarg_size 36
		.amdhsa_user_sgpr_count 15
		.amdhsa_user_sgpr_dispatch_ptr 0
		.amdhsa_user_sgpr_queue_ptr 0
		.amdhsa_user_sgpr_kernarg_segment_ptr 1
		.amdhsa_user_sgpr_dispatch_id 0
		.amdhsa_user_sgpr_private_segment_size 0
		.amdhsa_wavefront_size32 1
		.amdhsa_uses_dynamic_stack 0
		.amdhsa_enable_private_segment 0
		.amdhsa_system_sgpr_workgroup_id_x 1
		.amdhsa_system_sgpr_workgroup_id_y 0
		.amdhsa_system_sgpr_workgroup_id_z 0
		.amdhsa_system_sgpr_workgroup_info 0
		.amdhsa_system_vgpr_workitem_id 0
		.amdhsa_next_free_vgpr 14
		.amdhsa_next_free_sgpr 16
		.amdhsa_reserve_vcc 1
		.amdhsa_float_round_mode_32 0
		.amdhsa_float_round_mode_16_64 0
		.amdhsa_float_denorm_mode_32 3
		.amdhsa_float_denorm_mode_16_64 3
		.amdhsa_dx10_clamp 1
		.amdhsa_ieee_mode 1
		.amdhsa_fp16_overflow 0
		.amdhsa_workgroup_processor_mode 1
		.amdhsa_memory_ordered 1
		.amdhsa_forward_progress 0
		.amdhsa_shared_vgpr_count 0
		.amdhsa_exception_fp_ieee_invalid_op 0
		.amdhsa_exception_fp_denorm_src 0
		.amdhsa_exception_fp_ieee_div_zero 0
		.amdhsa_exception_fp_ieee_overflow 0
		.amdhsa_exception_fp_ieee_underflow 0
		.amdhsa_exception_fp_ieee_inexact 0
		.amdhsa_exception_int_div_zero 0
	.end_amdhsa_kernel
	.section	.text._ZN2at6native27unrolled_elementwise_kernelIZNS0_12_GLOBAL__N_119masked_scale_kernelIbN3c104HalfEfEEvRNS_6TensorERKS6_S9_T1_EUlS5_bE_St5arrayIPcLm3EELi4E23TrivialOffsetCalculatorILi2EjESF_ILi1EjENS0_6memory15LoadWithoutCastENSI_16StoreWithoutCastEEEviT_T0_T2_T3_T4_T5_,"axG",@progbits,_ZN2at6native27unrolled_elementwise_kernelIZNS0_12_GLOBAL__N_119masked_scale_kernelIbN3c104HalfEfEEvRNS_6TensorERKS6_S9_T1_EUlS5_bE_St5arrayIPcLm3EELi4E23TrivialOffsetCalculatorILi2EjESF_ILi1EjENS0_6memory15LoadWithoutCastENSI_16StoreWithoutCastEEEviT_T0_T2_T3_T4_T5_,comdat
.Lfunc_end132:
	.size	_ZN2at6native27unrolled_elementwise_kernelIZNS0_12_GLOBAL__N_119masked_scale_kernelIbN3c104HalfEfEEvRNS_6TensorERKS6_S9_T1_EUlS5_bE_St5arrayIPcLm3EELi4E23TrivialOffsetCalculatorILi2EjESF_ILi1EjENS0_6memory15LoadWithoutCastENSI_16StoreWithoutCastEEEviT_T0_T2_T3_T4_T5_, .Lfunc_end132-_ZN2at6native27unrolled_elementwise_kernelIZNS0_12_GLOBAL__N_119masked_scale_kernelIbN3c104HalfEfEEvRNS_6TensorERKS6_S9_T1_EUlS5_bE_St5arrayIPcLm3EELi4E23TrivialOffsetCalculatorILi2EjESF_ILi1EjENS0_6memory15LoadWithoutCastENSI_16StoreWithoutCastEEEviT_T0_T2_T3_T4_T5_
                                        ; -- End function
	.section	.AMDGPU.csdata,"",@progbits
; Kernel info:
; codeLenInByte = 988
; NumSgprs: 18
; NumVgprs: 14
; ScratchSize: 0
; MemoryBound: 0
; FloatMode: 240
; IeeeMode: 1
; LDSByteSize: 0 bytes/workgroup (compile time only)
; SGPRBlocks: 2
; VGPRBlocks: 1
; NumSGPRsForWavesPerEU: 18
; NumVGPRsForWavesPerEU: 14
; Occupancy: 16
; WaveLimiterHint : 0
; COMPUTE_PGM_RSRC2:SCRATCH_EN: 0
; COMPUTE_PGM_RSRC2:USER_SGPR: 15
; COMPUTE_PGM_RSRC2:TRAP_HANDLER: 0
; COMPUTE_PGM_RSRC2:TGID_X_EN: 1
; COMPUTE_PGM_RSRC2:TGID_Y_EN: 0
; COMPUTE_PGM_RSRC2:TGID_Z_EN: 0
; COMPUTE_PGM_RSRC2:TIDIG_COMP_CNT: 0
	.section	.text._ZN2at6native32elementwise_kernel_manual_unrollILi128ELi8EZNS0_22gpu_kernel_impl_nocastIZNS0_12_GLOBAL__N_119masked_scale_kernelIbN3c104HalfEfEEvRNS_6TensorERKS7_SA_T1_EUlS6_bE_EEvRNS_18TensorIteratorBaseERKT_EUlibE_EEviSB_,"axG",@progbits,_ZN2at6native32elementwise_kernel_manual_unrollILi128ELi8EZNS0_22gpu_kernel_impl_nocastIZNS0_12_GLOBAL__N_119masked_scale_kernelIbN3c104HalfEfEEvRNS_6TensorERKS7_SA_T1_EUlS6_bE_EEvRNS_18TensorIteratorBaseERKT_EUlibE_EEviSB_,comdat
	.globl	_ZN2at6native32elementwise_kernel_manual_unrollILi128ELi8EZNS0_22gpu_kernel_impl_nocastIZNS0_12_GLOBAL__N_119masked_scale_kernelIbN3c104HalfEfEEvRNS_6TensorERKS7_SA_T1_EUlS6_bE_EEvRNS_18TensorIteratorBaseERKT_EUlibE_EEviSB_ ; -- Begin function _ZN2at6native32elementwise_kernel_manual_unrollILi128ELi8EZNS0_22gpu_kernel_impl_nocastIZNS0_12_GLOBAL__N_119masked_scale_kernelIbN3c104HalfEfEEvRNS_6TensorERKS7_SA_T1_EUlS6_bE_EEvRNS_18TensorIteratorBaseERKT_EUlibE_EEviSB_
	.p2align	8
	.type	_ZN2at6native32elementwise_kernel_manual_unrollILi128ELi8EZNS0_22gpu_kernel_impl_nocastIZNS0_12_GLOBAL__N_119masked_scale_kernelIbN3c104HalfEfEEvRNS_6TensorERKS7_SA_T1_EUlS6_bE_EEvRNS_18TensorIteratorBaseERKT_EUlibE_EEviSB_,@function
_ZN2at6native32elementwise_kernel_manual_unrollILi128ELi8EZNS0_22gpu_kernel_impl_nocastIZNS0_12_GLOBAL__N_119masked_scale_kernelIbN3c104HalfEfEEvRNS_6TensorERKS7_SA_T1_EUlS6_bE_EEvRNS_18TensorIteratorBaseERKT_EUlibE_EEviSB_: ; @_ZN2at6native32elementwise_kernel_manual_unrollILi128ELi8EZNS0_22gpu_kernel_impl_nocastIZNS0_12_GLOBAL__N_119masked_scale_kernelIbN3c104HalfEfEEvRNS_6TensorERKS7_SA_T1_EUlS6_bE_EEvRNS_18TensorIteratorBaseERKT_EUlibE_EEviSB_
; %bb.0:
	s_clause 0x1
	s_load_b32 s22, s[0:1], 0x8
	s_load_b32 s29, s[0:1], 0x0
	v_lshl_or_b32 v18, s15, 10, v0
	s_or_b32 s0, s0, 8
	s_mov_b32 s2, exec_lo
	s_delay_alu instid0(VALU_DEP_1) | instskip(SKIP_2) | instid1(SALU_CYCLE_1)
	v_or_b32_e32 v24, 0x380, v18
	s_waitcnt lgkmcnt(0)
	s_add_i32 s23, s22, -1
	s_cmp_gt_u32 s23, 1
	s_cselect_b32 s24, -1, 0
	v_cmpx_le_i32_e64 s29, v24
	s_xor_b32 s25, exec_lo, s2
	s_cbranch_execz .LBB133_8
; %bb.1:
	s_clause 0x6
	s_load_b128 s[12:15], s[0:1], 0x4
	s_load_b64 s[18:19], s[0:1], 0x14
	s_load_b128 s[8:11], s[0:1], 0xc4
	s_load_b64 s[16:17], s[0:1], 0xd4
	s_load_b64 s[2:3], s[0:1], 0x198
	s_load_b128 s[4:7], s[0:1], 0x188
	s_load_b32 s26, s[0:1], 0x1a0
	s_cmp_lg_u32 s22, 0
	s_mov_b32 s31, exec_lo
	s_cselect_b32 s30, -1, 0
	s_min_u32 s28, s23, 15
	s_cmp_gt_u32 s22, 1
	s_cselect_b32 s27, -1, 0
	v_cmpx_gt_i32_e64 s29, v18
	s_cbranch_execz .LBB133_15
; %bb.2:
	s_and_not1_b32 vcc_lo, exec_lo, s24
	s_cbranch_vccnz .LBB133_97
; %bb.3:
	v_dual_mov_b32 v0, 0 :: v_dual_mov_b32 v1, 0
	v_mov_b32_e32 v2, 0
	s_and_not1_b32 vcc_lo, exec_lo, s30
	s_mov_b32 s33, 0
	s_cbranch_vccnz .LBB133_98
; %bb.4:
	s_add_i32 s20, s28, 1
	v_dual_mov_b32 v1, 0 :: v_dual_mov_b32 v2, 0
	v_dual_mov_b32 v0, 0 :: v_dual_mov_b32 v3, v18
	s_and_b32 s34, s20, 30
	s_add_u32 s20, s0, 0xffffffec
	s_addc_u32 s21, s1, -1
	s_set_inst_prefetch_distance 0x1
	.p2align	6
.LBB133_5:                              ; =>This Inner Loop Header: Depth=1
	s_clause 0x2
	s_load_b128 s[36:39], s[20:21], 0x18
	s_load_b64 s[44:45], s[20:21], 0x28
	s_load_b128 s[40:43], s[20:21], 0xd8
	s_waitcnt lgkmcnt(0)
	v_mul_hi_u32 v4, s37, v3
	s_delay_alu instid0(VALU_DEP_1) | instskip(NEXT) | instid1(VALU_DEP_1)
	v_add_nc_u32_e32 v4, v3, v4
	v_lshrrev_b32_e32 v4, s38, v4
	s_delay_alu instid0(VALU_DEP_1)
	v_mul_hi_u32 v5, s44, v4
	v_mul_lo_u32 v6, v4, s36
	s_load_b64 s[36:37], s[20:21], 0xe8
	s_add_u32 s20, s20, 24
	s_addc_u32 s21, s21, 0
	s_add_i32 s34, s34, -2
	s_delay_alu instid0(SALU_CYCLE_1) | instskip(NEXT) | instid1(VALU_DEP_2)
	s_cmp_lg_u32 s34, 0
	v_add_nc_u32_e32 v5, v4, v5
	s_delay_alu instid0(VALU_DEP_2) | instskip(NEXT) | instid1(VALU_DEP_2)
	v_sub_nc_u32_e32 v6, v3, v6
	v_lshrrev_b32_e32 v3, s45, v5
	s_delay_alu instid0(VALU_DEP_2) | instskip(NEXT) | instid1(VALU_DEP_2)
	v_mul_lo_u32 v7, v6, s40
	v_mul_lo_u32 v5, v3, s39
	s_delay_alu instid0(VALU_DEP_1) | instskip(SKIP_2) | instid1(VALU_DEP_3)
	v_sub_nc_u32_e32 v4, v4, v5
	v_mul_lo_u32 v5, v6, s41
	v_mul_lo_u32 v6, v6, s42
	v_mul_lo_u32 v8, v4, s43
	s_waitcnt lgkmcnt(0)
	v_mul_lo_u32 v9, v4, s36
	v_mul_lo_u32 v4, v4, s37
	s_delay_alu instid0(VALU_DEP_3) | instskip(NEXT) | instid1(VALU_DEP_3)
	v_add3_u32 v0, v7, v0, v8
	v_add3_u32 v2, v5, v2, v9
	s_delay_alu instid0(VALU_DEP_3)
	v_add3_u32 v1, v6, v1, v4
	s_cbranch_scc1 .LBB133_5
; %bb.6:
	s_set_inst_prefetch_distance 0x2
	s_bitcmp1_b32 s28, 0
	s_cselect_b32 s34, -1, 0
	s_delay_alu instid0(SALU_CYCLE_1)
	s_and_b32 vcc_lo, exec_lo, s34
	s_cbranch_vccnz .LBB133_98
; %bb.7:
	s_clause 0x3
	s_load_b64 s[34:35], s[20:21], 0x18
	s_load_b32 s38, s[20:21], 0x20
	s_load_b64 s[36:37], s[20:21], 0xd8
	s_load_b32 s20, s[20:21], 0xe0
	s_waitcnt lgkmcnt(0)
	v_mul_hi_u32 v4, s35, v3
	s_delay_alu instid0(VALU_DEP_1) | instskip(NEXT) | instid1(VALU_DEP_1)
	v_add_nc_u32_e32 v4, v3, v4
	v_lshrrev_b32_e32 v4, s38, v4
	s_delay_alu instid0(VALU_DEP_1) | instskip(NEXT) | instid1(VALU_DEP_1)
	v_mul_lo_u32 v4, v4, s34
	v_sub_nc_u32_e32 v7, v3, v4
	s_delay_alu instid0(VALU_DEP_1) | instskip(NEXT) | instid1(VALU_DEP_1)
	v_mad_u64_u32 v[3:4], null, v7, s36, v[0:1]
	v_mad_u64_u32 v[4:5], null, v7, s37, v[2:3]
	;; [unrolled: 1-line block ×3, first 2 shown]
	v_mov_b32_e32 v0, v3
	s_delay_alu instid0(VALU_DEP_2)
	v_dual_mov_b32 v2, v4 :: v_dual_mov_b32 v1, v5
	s_branch .LBB133_98
.LBB133_8:
	s_and_not1_saveexec_b32 s2, s25
	s_cbranch_execz .LBB133_164
.LBB133_9:
	v_cndmask_b32_e64 v21, 0, 1, s24
	s_and_not1_b32 vcc_lo, exec_lo, s24
	s_cbranch_vccnz .LBB133_22
; %bb.10:
	v_dual_mov_b32 v0, 0 :: v_dual_mov_b32 v1, 0
	v_mov_b32_e32 v2, 0
	s_cmp_lg_u32 s22, 0
	s_mov_b32 s4, 0
	s_cbranch_scc0 .LBB133_23
; %bb.11:
	s_min_u32 s5, s23, 15
	v_dual_mov_b32 v1, 0 :: v_dual_mov_b32 v2, 0
	s_add_i32 s2, s5, 1
	v_dual_mov_b32 v0, 0 :: v_dual_mov_b32 v3, v18
	s_and_b32 s6, s2, 30
	s_add_u32 s2, s0, 0xffffffec
	s_addc_u32 s3, s1, -1
	s_set_inst_prefetch_distance 0x1
	.p2align	6
.LBB133_12:                             ; =>This Inner Loop Header: Depth=1
	s_clause 0x2
	s_load_b128 s[8:11], s[2:3], 0x18
	s_load_b64 s[16:17], s[2:3], 0x28
	s_load_b128 s[12:15], s[2:3], 0xd8
	s_waitcnt lgkmcnt(0)
	v_mul_hi_u32 v4, s9, v3
	s_delay_alu instid0(VALU_DEP_1) | instskip(NEXT) | instid1(VALU_DEP_1)
	v_add_nc_u32_e32 v4, v3, v4
	v_lshrrev_b32_e32 v4, s10, v4
	s_delay_alu instid0(VALU_DEP_1)
	v_mul_hi_u32 v5, s16, v4
	v_mul_lo_u32 v6, v4, s8
	s_load_b64 s[8:9], s[2:3], 0xe8
	s_add_u32 s2, s2, 24
	s_addc_u32 s3, s3, 0
	s_add_i32 s6, s6, -2
	s_delay_alu instid0(SALU_CYCLE_1) | instskip(NEXT) | instid1(VALU_DEP_2)
	s_cmp_lg_u32 s6, 0
	v_add_nc_u32_e32 v5, v4, v5
	s_delay_alu instid0(VALU_DEP_2) | instskip(NEXT) | instid1(VALU_DEP_2)
	v_sub_nc_u32_e32 v6, v3, v6
	v_lshrrev_b32_e32 v3, s17, v5
	s_delay_alu instid0(VALU_DEP_2) | instskip(NEXT) | instid1(VALU_DEP_2)
	v_mul_lo_u32 v7, v6, s12
	v_mul_lo_u32 v5, v3, s11
	s_delay_alu instid0(VALU_DEP_1) | instskip(SKIP_2) | instid1(VALU_DEP_3)
	v_sub_nc_u32_e32 v4, v4, v5
	v_mul_lo_u32 v5, v6, s13
	v_mul_lo_u32 v6, v6, s14
	;; [unrolled: 1-line block ×3, first 2 shown]
	s_waitcnt lgkmcnt(0)
	v_mul_lo_u32 v9, v4, s8
	v_mul_lo_u32 v4, v4, s9
	s_delay_alu instid0(VALU_DEP_3) | instskip(NEXT) | instid1(VALU_DEP_3)
	v_add3_u32 v0, v7, v0, v8
	v_add3_u32 v2, v5, v2, v9
	s_delay_alu instid0(VALU_DEP_3)
	v_add3_u32 v1, v6, v1, v4
	s_cbranch_scc1 .LBB133_12
; %bb.13:
	s_set_inst_prefetch_distance 0x2
	s_bitcmp1_b32 s5, 0
	s_cselect_b32 s5, -1, 0
	s_delay_alu instid0(SALU_CYCLE_1)
	s_and_b32 vcc_lo, exec_lo, s5
	s_cbranch_vccnz .LBB133_23
; %bb.14:
	s_clause 0x3
	s_load_b64 s[6:7], s[2:3], 0x18
	s_load_b32 s5, s[2:3], 0x20
	s_load_b64 s[8:9], s[2:3], 0xd8
	s_load_b32 s2, s[2:3], 0xe0
	s_waitcnt lgkmcnt(0)
	v_mul_hi_u32 v4, s7, v3
	s_delay_alu instid0(VALU_DEP_1) | instskip(NEXT) | instid1(VALU_DEP_1)
	v_add_nc_u32_e32 v4, v3, v4
	v_lshrrev_b32_e32 v4, s5, v4
	s_delay_alu instid0(VALU_DEP_1) | instskip(NEXT) | instid1(VALU_DEP_1)
	v_mul_lo_u32 v4, v4, s6
	v_sub_nc_u32_e32 v7, v3, v4
	s_delay_alu instid0(VALU_DEP_1) | instskip(NEXT) | instid1(VALU_DEP_1)
	v_mad_u64_u32 v[3:4], null, v7, s8, v[0:1]
	v_mad_u64_u32 v[4:5], null, v7, s9, v[2:3]
	;; [unrolled: 1-line block ×3, first 2 shown]
	v_mov_b32_e32 v0, v3
	s_delay_alu instid0(VALU_DEP_2)
	v_dual_mov_b32 v2, v4 :: v_dual_mov_b32 v1, v5
	s_branch .LBB133_23
.LBB133_15:
	s_or_b32 exec_lo, exec_lo, s31
	s_delay_alu instid0(SALU_CYCLE_1)
	s_mov_b32 s31, exec_lo
	v_cmpx_gt_i32_e64 s29, v18
	s_cbranch_execz .LBB133_102
.LBB133_16:
	s_and_not1_b32 vcc_lo, exec_lo, s24
	s_cbranch_vccnz .LBB133_109
; %bb.17:
	v_dual_mov_b32 v0, 0 :: v_dual_mov_b32 v1, 0
	v_mov_b32_e32 v2, 0
	s_and_not1_b32 vcc_lo, exec_lo, s30
	s_mov_b32 s33, 0
	s_cbranch_vccnz .LBB133_110
; %bb.18:
	s_add_i32 s20, s28, 1
	v_dual_mov_b32 v1, 0 :: v_dual_mov_b32 v2, 0
	v_dual_mov_b32 v0, 0 :: v_dual_mov_b32 v3, v18
	s_and_b32 s34, s20, 30
	s_add_u32 s20, s0, 0xffffffec
	s_addc_u32 s21, s1, -1
	s_set_inst_prefetch_distance 0x1
	.p2align	6
.LBB133_19:                             ; =>This Inner Loop Header: Depth=1
	s_clause 0x2
	s_load_b128 s[36:39], s[20:21], 0x18
	s_load_b64 s[44:45], s[20:21], 0x28
	s_load_b128 s[40:43], s[20:21], 0xd8
	s_waitcnt lgkmcnt(0)
	v_mul_hi_u32 v4, s37, v3
	s_delay_alu instid0(VALU_DEP_1) | instskip(NEXT) | instid1(VALU_DEP_1)
	v_add_nc_u32_e32 v4, v3, v4
	v_lshrrev_b32_e32 v4, s38, v4
	s_delay_alu instid0(VALU_DEP_1)
	v_mul_hi_u32 v5, s44, v4
	v_mul_lo_u32 v6, v4, s36
	s_load_b64 s[36:37], s[20:21], 0xe8
	s_add_u32 s20, s20, 24
	s_addc_u32 s21, s21, 0
	s_add_i32 s34, s34, -2
	s_delay_alu instid0(SALU_CYCLE_1) | instskip(NEXT) | instid1(VALU_DEP_2)
	s_cmp_eq_u32 s34, 0
	v_add_nc_u32_e32 v5, v4, v5
	s_delay_alu instid0(VALU_DEP_2) | instskip(NEXT) | instid1(VALU_DEP_2)
	v_sub_nc_u32_e32 v6, v3, v6
	v_lshrrev_b32_e32 v3, s45, v5
	s_delay_alu instid0(VALU_DEP_2) | instskip(NEXT) | instid1(VALU_DEP_2)
	v_mul_lo_u32 v7, v6, s40
	v_mul_lo_u32 v5, v3, s39
	s_delay_alu instid0(VALU_DEP_1) | instskip(SKIP_2) | instid1(VALU_DEP_3)
	v_sub_nc_u32_e32 v4, v4, v5
	v_mul_lo_u32 v5, v6, s41
	v_mul_lo_u32 v6, v6, s42
	;; [unrolled: 1-line block ×3, first 2 shown]
	s_waitcnt lgkmcnt(0)
	v_mul_lo_u32 v9, v4, s36
	v_mul_lo_u32 v4, v4, s37
	s_delay_alu instid0(VALU_DEP_3) | instskip(NEXT) | instid1(VALU_DEP_3)
	v_add3_u32 v0, v7, v0, v8
	v_add3_u32 v2, v5, v2, v9
	s_delay_alu instid0(VALU_DEP_3)
	v_add3_u32 v1, v6, v1, v4
	s_cbranch_scc0 .LBB133_19
; %bb.20:
	s_set_inst_prefetch_distance 0x2
	s_bitcmp1_b32 s28, 0
	s_cselect_b32 s34, -1, 0
	s_delay_alu instid0(SALU_CYCLE_1)
	s_and_b32 vcc_lo, exec_lo, s34
	s_cbranch_vccnz .LBB133_110
; %bb.21:
	s_clause 0x3
	s_load_b64 s[34:35], s[20:21], 0x18
	s_load_b32 s38, s[20:21], 0x20
	s_load_b64 s[36:37], s[20:21], 0xd8
	s_load_b32 s20, s[20:21], 0xe0
	s_waitcnt lgkmcnt(0)
	v_mul_hi_u32 v4, s35, v3
	s_delay_alu instid0(VALU_DEP_1) | instskip(NEXT) | instid1(VALU_DEP_1)
	v_add_nc_u32_e32 v4, v3, v4
	v_lshrrev_b32_e32 v4, s38, v4
	s_delay_alu instid0(VALU_DEP_1) | instskip(NEXT) | instid1(VALU_DEP_1)
	v_mul_lo_u32 v4, v4, s34
	v_sub_nc_u32_e32 v7, v3, v4
	s_delay_alu instid0(VALU_DEP_1) | instskip(NEXT) | instid1(VALU_DEP_1)
	v_mad_u64_u32 v[3:4], null, v7, s36, v[0:1]
	v_mad_u64_u32 v[4:5], null, v7, s37, v[2:3]
	;; [unrolled: 1-line block ×3, first 2 shown]
	v_mov_b32_e32 v0, v3
	s_delay_alu instid0(VALU_DEP_2)
	v_dual_mov_b32 v2, v4 :: v_dual_mov_b32 v1, v5
	s_branch .LBB133_110
.LBB133_22:
	s_mov_b32 s4, -1
                                        ; implicit-def: $vgpr0
                                        ; implicit-def: $vgpr2
                                        ; implicit-def: $vgpr1
.LBB133_23:
	s_delay_alu instid0(SALU_CYCLE_1)
	s_and_not1_b32 vcc_lo, exec_lo, s4
	s_cbranch_vccnz .LBB133_26
; %bb.24:
	s_clause 0x1
	s_load_b128 s[4:7], s[0:1], 0x4
	s_load_b128 s[8:11], s[0:1], 0xc4
	s_cmp_lt_u32 s22, 2
	s_waitcnt lgkmcnt(0)
	v_mul_hi_u32 v0, s5, v18
	s_delay_alu instid0(VALU_DEP_1) | instskip(NEXT) | instid1(VALU_DEP_1)
	v_add_nc_u32_e32 v0, v18, v0
	v_lshrrev_b32_e32 v3, s6, v0
	s_delay_alu instid0(VALU_DEP_1) | instskip(NEXT) | instid1(VALU_DEP_1)
	v_mul_lo_u32 v0, v3, s4
	v_sub_nc_u32_e32 v1, v18, v0
	s_delay_alu instid0(VALU_DEP_1)
	v_mul_lo_u32 v0, v1, s8
	v_mul_lo_u32 v2, v1, s9
	;; [unrolled: 1-line block ×3, first 2 shown]
	s_cbranch_scc1 .LBB133_26
; %bb.25:
	s_clause 0x1
	s_load_b128 s[4:7], s[0:1], 0x10
	s_load_b128 s[8:11], s[0:1], 0xd0
	s_waitcnt lgkmcnt(0)
	v_mul_hi_u32 v4, s5, v3
	s_delay_alu instid0(VALU_DEP_1) | instskip(NEXT) | instid1(VALU_DEP_1)
	v_add_nc_u32_e32 v4, v3, v4
	v_lshrrev_b32_e32 v4, s6, v4
	s_delay_alu instid0(VALU_DEP_1) | instskip(NEXT) | instid1(VALU_DEP_1)
	v_mul_lo_u32 v4, v4, s4
	v_sub_nc_u32_e32 v7, v3, v4
	s_delay_alu instid0(VALU_DEP_1) | instskip(NEXT) | instid1(VALU_DEP_1)
	v_mad_u64_u32 v[3:4], null, v7, s8, v[0:1]
	v_mad_u64_u32 v[4:5], null, v7, s9, v[2:3]
	;; [unrolled: 1-line block ×3, first 2 shown]
	v_mov_b32_e32 v0, v3
	s_delay_alu instid0(VALU_DEP_2)
	v_dual_mov_b32 v2, v4 :: v_dual_mov_b32 v1, v5
.LBB133_26:
	v_cmp_ne_u32_e32 vcc_lo, 1, v21
	v_add_nc_u32_e32 v6, 0x80, v18
	s_cbranch_vccnz .LBB133_32
; %bb.27:
	v_dual_mov_b32 v3, 0 :: v_dual_mov_b32 v4, 0
	v_mov_b32_e32 v5, 0
	s_cmp_lg_u32 s22, 0
	s_mov_b32 s4, 0
	s_cbranch_scc0 .LBB133_33
; %bb.28:
	s_min_u32 s5, s23, 15
	v_dual_mov_b32 v4, 0 :: v_dual_mov_b32 v5, 0
	s_add_i32 s2, s5, 1
	v_mov_b32_e32 v3, 0
	v_mov_b32_e32 v7, v6
	s_and_b32 s6, s2, 30
	s_add_u32 s2, s0, 0xffffffec
	s_addc_u32 s3, s1, -1
	s_set_inst_prefetch_distance 0x1
	.p2align	6
.LBB133_29:                             ; =>This Inner Loop Header: Depth=1
	s_clause 0x2
	s_load_b128 s[8:11], s[2:3], 0x18
	s_load_b64 s[16:17], s[2:3], 0x28
	s_load_b128 s[12:15], s[2:3], 0xd8
	s_waitcnt lgkmcnt(0)
	v_mul_hi_u32 v8, s9, v7
	s_delay_alu instid0(VALU_DEP_1) | instskip(NEXT) | instid1(VALU_DEP_1)
	v_add_nc_u32_e32 v8, v7, v8
	v_lshrrev_b32_e32 v8, s10, v8
	s_delay_alu instid0(VALU_DEP_1)
	v_mul_hi_u32 v9, s16, v8
	v_mul_lo_u32 v10, v8, s8
	s_load_b64 s[8:9], s[2:3], 0xe8
	s_add_u32 s2, s2, 24
	s_addc_u32 s3, s3, 0
	s_add_i32 s6, s6, -2
	s_delay_alu instid0(SALU_CYCLE_1) | instskip(NEXT) | instid1(VALU_DEP_2)
	s_cmp_lg_u32 s6, 0
	v_add_nc_u32_e32 v9, v8, v9
	s_delay_alu instid0(VALU_DEP_2) | instskip(NEXT) | instid1(VALU_DEP_2)
	v_sub_nc_u32_e32 v10, v7, v10
	v_lshrrev_b32_e32 v7, s17, v9
	s_delay_alu instid0(VALU_DEP_2) | instskip(NEXT) | instid1(VALU_DEP_2)
	v_mul_lo_u32 v11, v10, s12
	v_mul_lo_u32 v9, v7, s11
	s_delay_alu instid0(VALU_DEP_1) | instskip(SKIP_2) | instid1(VALU_DEP_3)
	v_sub_nc_u32_e32 v8, v8, v9
	v_mul_lo_u32 v9, v10, s13
	v_mul_lo_u32 v10, v10, s14
	;; [unrolled: 1-line block ×3, first 2 shown]
	s_waitcnt lgkmcnt(0)
	v_mul_lo_u32 v13, v8, s8
	v_mul_lo_u32 v8, v8, s9
	s_delay_alu instid0(VALU_DEP_3) | instskip(NEXT) | instid1(VALU_DEP_3)
	v_add3_u32 v3, v11, v3, v12
	v_add3_u32 v5, v9, v5, v13
	s_delay_alu instid0(VALU_DEP_3)
	v_add3_u32 v4, v10, v4, v8
	s_cbranch_scc1 .LBB133_29
; %bb.30:
	s_set_inst_prefetch_distance 0x2
	s_bitcmp1_b32 s5, 0
	s_cselect_b32 s5, -1, 0
	s_delay_alu instid0(SALU_CYCLE_1)
	s_and_b32 vcc_lo, exec_lo, s5
	s_cbranch_vccnz .LBB133_33
; %bb.31:
	s_clause 0x3
	s_load_b64 s[6:7], s[2:3], 0x18
	s_load_b32 s5, s[2:3], 0x20
	s_load_b64 s[8:9], s[2:3], 0xd8
	s_load_b32 s2, s[2:3], 0xe0
	s_waitcnt lgkmcnt(0)
	v_mul_hi_u32 v8, s7, v7
	s_delay_alu instid0(VALU_DEP_1) | instskip(NEXT) | instid1(VALU_DEP_1)
	v_add_nc_u32_e32 v8, v7, v8
	v_lshrrev_b32_e32 v8, s5, v8
	s_delay_alu instid0(VALU_DEP_1) | instskip(NEXT) | instid1(VALU_DEP_1)
	v_mul_lo_u32 v8, v8, s6
	v_sub_nc_u32_e32 v11, v7, v8
	s_delay_alu instid0(VALU_DEP_1) | instskip(SKIP_2) | instid1(VALU_DEP_3)
	v_mad_u64_u32 v[7:8], null, v11, s8, v[3:4]
	v_mad_u64_u32 v[8:9], null, v11, s9, v[5:6]
	;; [unrolled: 1-line block ×3, first 2 shown]
	v_mov_b32_e32 v3, v7
	s_delay_alu instid0(VALU_DEP_2)
	v_dual_mov_b32 v5, v8 :: v_dual_mov_b32 v4, v9
	s_branch .LBB133_33
.LBB133_32:
	s_mov_b32 s4, -1
                                        ; implicit-def: $vgpr3
                                        ; implicit-def: $vgpr5
                                        ; implicit-def: $vgpr4
.LBB133_33:
	s_delay_alu instid0(SALU_CYCLE_1)
	s_and_not1_b32 vcc_lo, exec_lo, s4
	s_cbranch_vccnz .LBB133_36
; %bb.34:
	s_clause 0x1
	s_load_b128 s[4:7], s[0:1], 0x4
	s_load_b128 s[8:11], s[0:1], 0xc4
	s_cmp_lt_u32 s22, 2
	s_waitcnt lgkmcnt(0)
	v_mul_hi_u32 v3, s5, v6
	s_delay_alu instid0(VALU_DEP_1) | instskip(NEXT) | instid1(VALU_DEP_1)
	v_add_nc_u32_e32 v3, v6, v3
	v_lshrrev_b32_e32 v7, s6, v3
	s_delay_alu instid0(VALU_DEP_1) | instskip(NEXT) | instid1(VALU_DEP_1)
	v_mul_lo_u32 v3, v7, s4
	v_sub_nc_u32_e32 v4, v6, v3
	s_delay_alu instid0(VALU_DEP_1)
	v_mul_lo_u32 v3, v4, s8
	v_mul_lo_u32 v5, v4, s9
	;; [unrolled: 1-line block ×3, first 2 shown]
	s_cbranch_scc1 .LBB133_36
; %bb.35:
	s_clause 0x1
	s_load_b128 s[4:7], s[0:1], 0x10
	s_load_b128 s[8:11], s[0:1], 0xd0
	s_waitcnt lgkmcnt(0)
	v_mul_hi_u32 v6, s5, v7
	s_delay_alu instid0(VALU_DEP_1) | instskip(NEXT) | instid1(VALU_DEP_1)
	v_add_nc_u32_e32 v6, v7, v6
	v_lshrrev_b32_e32 v6, s6, v6
	s_delay_alu instid0(VALU_DEP_1) | instskip(NEXT) | instid1(VALU_DEP_1)
	v_mul_lo_u32 v6, v6, s4
	v_sub_nc_u32_e32 v10, v7, v6
	s_delay_alu instid0(VALU_DEP_1) | instskip(NEXT) | instid1(VALU_DEP_1)
	v_mad_u64_u32 v[6:7], null, v10, s8, v[3:4]
	v_mad_u64_u32 v[7:8], null, v10, s9, v[5:6]
	;; [unrolled: 1-line block ×3, first 2 shown]
	v_mov_b32_e32 v3, v6
	s_delay_alu instid0(VALU_DEP_2)
	v_dual_mov_b32 v5, v7 :: v_dual_mov_b32 v4, v8
.LBB133_36:
	v_cmp_ne_u32_e32 vcc_lo, 1, v21
	v_add_nc_u32_e32 v9, 0x100, v18
	s_cbranch_vccnz .LBB133_42
; %bb.37:
	v_dual_mov_b32 v6, 0 :: v_dual_mov_b32 v7, 0
	v_mov_b32_e32 v8, 0
	s_cmp_lg_u32 s22, 0
	s_mov_b32 s4, 0
	s_cbranch_scc0 .LBB133_43
; %bb.38:
	s_min_u32 s5, s23, 15
	v_dual_mov_b32 v7, 0 :: v_dual_mov_b32 v8, 0
	s_add_i32 s2, s5, 1
	v_mov_b32_e32 v6, 0
	v_mov_b32_e32 v10, v9
	s_and_b32 s6, s2, 30
	s_add_u32 s2, s0, 0xffffffec
	s_addc_u32 s3, s1, -1
	s_set_inst_prefetch_distance 0x1
	.p2align	6
.LBB133_39:                             ; =>This Inner Loop Header: Depth=1
	s_clause 0x2
	s_load_b128 s[8:11], s[2:3], 0x18
	s_load_b64 s[16:17], s[2:3], 0x28
	s_load_b128 s[12:15], s[2:3], 0xd8
	s_waitcnt lgkmcnt(0)
	v_mul_hi_u32 v11, s9, v10
	s_delay_alu instid0(VALU_DEP_1) | instskip(NEXT) | instid1(VALU_DEP_1)
	v_add_nc_u32_e32 v11, v10, v11
	v_lshrrev_b32_e32 v11, s10, v11
	s_delay_alu instid0(VALU_DEP_1)
	v_mul_hi_u32 v12, s16, v11
	v_mul_lo_u32 v13, v11, s8
	s_load_b64 s[8:9], s[2:3], 0xe8
	s_add_u32 s2, s2, 24
	s_addc_u32 s3, s3, 0
	s_add_i32 s6, s6, -2
	s_delay_alu instid0(SALU_CYCLE_1) | instskip(NEXT) | instid1(VALU_DEP_2)
	s_cmp_lg_u32 s6, 0
	v_add_nc_u32_e32 v12, v11, v12
	s_delay_alu instid0(VALU_DEP_2) | instskip(NEXT) | instid1(VALU_DEP_2)
	v_sub_nc_u32_e32 v13, v10, v13
	v_lshrrev_b32_e32 v10, s17, v12
	s_delay_alu instid0(VALU_DEP_2) | instskip(NEXT) | instid1(VALU_DEP_2)
	v_mul_lo_u32 v14, v13, s12
	v_mul_lo_u32 v12, v10, s11
	s_delay_alu instid0(VALU_DEP_1) | instskip(SKIP_2) | instid1(VALU_DEP_3)
	v_sub_nc_u32_e32 v11, v11, v12
	v_mul_lo_u32 v12, v13, s13
	v_mul_lo_u32 v13, v13, s14
	;; [unrolled: 1-line block ×3, first 2 shown]
	s_waitcnt lgkmcnt(0)
	v_mul_lo_u32 v16, v11, s8
	v_mul_lo_u32 v11, v11, s9
	s_delay_alu instid0(VALU_DEP_3) | instskip(NEXT) | instid1(VALU_DEP_3)
	v_add3_u32 v6, v14, v6, v15
	v_add3_u32 v8, v12, v8, v16
	s_delay_alu instid0(VALU_DEP_3)
	v_add3_u32 v7, v13, v7, v11
	s_cbranch_scc1 .LBB133_39
; %bb.40:
	s_set_inst_prefetch_distance 0x2
	s_bitcmp1_b32 s5, 0
	s_cselect_b32 s5, -1, 0
	s_delay_alu instid0(SALU_CYCLE_1)
	s_and_b32 vcc_lo, exec_lo, s5
	s_cbranch_vccnz .LBB133_43
; %bb.41:
	s_clause 0x3
	s_load_b64 s[6:7], s[2:3], 0x18
	s_load_b32 s5, s[2:3], 0x20
	s_load_b64 s[8:9], s[2:3], 0xd8
	s_load_b32 s2, s[2:3], 0xe0
	s_waitcnt lgkmcnt(0)
	v_mul_hi_u32 v11, s7, v10
	s_delay_alu instid0(VALU_DEP_1) | instskip(NEXT) | instid1(VALU_DEP_1)
	v_add_nc_u32_e32 v11, v10, v11
	v_lshrrev_b32_e32 v11, s5, v11
	s_delay_alu instid0(VALU_DEP_1) | instskip(NEXT) | instid1(VALU_DEP_1)
	v_mul_lo_u32 v11, v11, s6
	v_sub_nc_u32_e32 v14, v10, v11
	s_delay_alu instid0(VALU_DEP_1) | instskip(SKIP_2) | instid1(VALU_DEP_3)
	v_mad_u64_u32 v[10:11], null, v14, s8, v[6:7]
	v_mad_u64_u32 v[11:12], null, v14, s9, v[8:9]
	;; [unrolled: 1-line block ×3, first 2 shown]
	v_mov_b32_e32 v6, v10
	s_delay_alu instid0(VALU_DEP_2)
	v_dual_mov_b32 v8, v11 :: v_dual_mov_b32 v7, v12
	s_branch .LBB133_43
.LBB133_42:
	s_mov_b32 s4, -1
                                        ; implicit-def: $vgpr6
                                        ; implicit-def: $vgpr8
                                        ; implicit-def: $vgpr7
.LBB133_43:
	s_delay_alu instid0(SALU_CYCLE_1)
	s_and_not1_b32 vcc_lo, exec_lo, s4
	s_cbranch_vccnz .LBB133_46
; %bb.44:
	s_clause 0x1
	s_load_b128 s[4:7], s[0:1], 0x4
	s_load_b128 s[8:11], s[0:1], 0xc4
	s_cmp_lt_u32 s22, 2
	s_waitcnt lgkmcnt(0)
	v_mul_hi_u32 v6, s5, v9
	s_delay_alu instid0(VALU_DEP_1) | instskip(NEXT) | instid1(VALU_DEP_1)
	v_add_nc_u32_e32 v6, v9, v6
	v_lshrrev_b32_e32 v10, s6, v6
	s_delay_alu instid0(VALU_DEP_1) | instskip(NEXT) | instid1(VALU_DEP_1)
	v_mul_lo_u32 v6, v10, s4
	v_sub_nc_u32_e32 v7, v9, v6
	s_delay_alu instid0(VALU_DEP_1)
	v_mul_lo_u32 v6, v7, s8
	v_mul_lo_u32 v8, v7, s9
	;; [unrolled: 1-line block ×3, first 2 shown]
	s_cbranch_scc1 .LBB133_46
; %bb.45:
	s_clause 0x1
	s_load_b128 s[4:7], s[0:1], 0x10
	s_load_b128 s[8:11], s[0:1], 0xd0
	s_waitcnt lgkmcnt(0)
	v_mul_hi_u32 v9, s5, v10
	s_delay_alu instid0(VALU_DEP_1) | instskip(NEXT) | instid1(VALU_DEP_1)
	v_add_nc_u32_e32 v9, v10, v9
	v_lshrrev_b32_e32 v9, s6, v9
	s_delay_alu instid0(VALU_DEP_1) | instskip(NEXT) | instid1(VALU_DEP_1)
	v_mul_lo_u32 v9, v9, s4
	v_sub_nc_u32_e32 v13, v10, v9
	s_delay_alu instid0(VALU_DEP_1) | instskip(NEXT) | instid1(VALU_DEP_1)
	v_mad_u64_u32 v[9:10], null, v13, s8, v[6:7]
	v_mad_u64_u32 v[10:11], null, v13, s9, v[8:9]
	;; [unrolled: 1-line block ×3, first 2 shown]
	v_mov_b32_e32 v6, v9
	s_delay_alu instid0(VALU_DEP_2)
	v_dual_mov_b32 v8, v10 :: v_dual_mov_b32 v7, v11
.LBB133_46:
	v_cmp_ne_u32_e32 vcc_lo, 1, v21
	v_add_nc_u32_e32 v12, 0x180, v18
	s_cbranch_vccnz .LBB133_52
; %bb.47:
	v_dual_mov_b32 v9, 0 :: v_dual_mov_b32 v10, 0
	v_mov_b32_e32 v11, 0
	s_cmp_lg_u32 s22, 0
	s_mov_b32 s4, 0
	s_cbranch_scc0 .LBB133_53
; %bb.48:
	s_min_u32 s5, s23, 15
	v_dual_mov_b32 v10, 0 :: v_dual_mov_b32 v11, 0
	s_add_i32 s2, s5, 1
	v_mov_b32_e32 v9, 0
	v_mov_b32_e32 v13, v12
	s_and_b32 s6, s2, 30
	s_add_u32 s2, s0, 0xffffffec
	s_addc_u32 s3, s1, -1
	s_set_inst_prefetch_distance 0x1
	.p2align	6
.LBB133_49:                             ; =>This Inner Loop Header: Depth=1
	s_clause 0x2
	s_load_b128 s[8:11], s[2:3], 0x18
	s_load_b64 s[16:17], s[2:3], 0x28
	s_load_b128 s[12:15], s[2:3], 0xd8
	s_waitcnt lgkmcnt(0)
	v_mul_hi_u32 v14, s9, v13
	s_delay_alu instid0(VALU_DEP_1) | instskip(NEXT) | instid1(VALU_DEP_1)
	v_add_nc_u32_e32 v14, v13, v14
	v_lshrrev_b32_e32 v14, s10, v14
	s_delay_alu instid0(VALU_DEP_1)
	v_mul_hi_u32 v15, s16, v14
	v_mul_lo_u32 v16, v14, s8
	s_load_b64 s[8:9], s[2:3], 0xe8
	s_add_u32 s2, s2, 24
	s_addc_u32 s3, s3, 0
	s_add_i32 s6, s6, -2
	s_delay_alu instid0(SALU_CYCLE_1) | instskip(NEXT) | instid1(VALU_DEP_2)
	s_cmp_lg_u32 s6, 0
	v_add_nc_u32_e32 v15, v14, v15
	s_delay_alu instid0(VALU_DEP_2) | instskip(NEXT) | instid1(VALU_DEP_2)
	v_sub_nc_u32_e32 v16, v13, v16
	v_lshrrev_b32_e32 v13, s17, v15
	s_delay_alu instid0(VALU_DEP_2) | instskip(NEXT) | instid1(VALU_DEP_2)
	v_mul_lo_u32 v17, v16, s12
	v_mul_lo_u32 v15, v13, s11
	s_delay_alu instid0(VALU_DEP_1) | instskip(SKIP_2) | instid1(VALU_DEP_3)
	v_sub_nc_u32_e32 v14, v14, v15
	v_mul_lo_u32 v15, v16, s13
	v_mul_lo_u32 v16, v16, s14
	;; [unrolled: 1-line block ×3, first 2 shown]
	s_waitcnt lgkmcnt(0)
	v_mul_lo_u32 v20, v14, s8
	v_mul_lo_u32 v14, v14, s9
	s_delay_alu instid0(VALU_DEP_3) | instskip(NEXT) | instid1(VALU_DEP_3)
	v_add3_u32 v9, v17, v9, v19
	v_add3_u32 v11, v15, v11, v20
	s_delay_alu instid0(VALU_DEP_3)
	v_add3_u32 v10, v16, v10, v14
	s_cbranch_scc1 .LBB133_49
; %bb.50:
	s_set_inst_prefetch_distance 0x2
	s_bitcmp1_b32 s5, 0
	s_cselect_b32 s5, -1, 0
	s_delay_alu instid0(SALU_CYCLE_1)
	s_and_b32 vcc_lo, exec_lo, s5
	s_cbranch_vccnz .LBB133_53
; %bb.51:
	s_clause 0x3
	s_load_b64 s[6:7], s[2:3], 0x18
	s_load_b32 s5, s[2:3], 0x20
	s_load_b64 s[8:9], s[2:3], 0xd8
	s_load_b32 s2, s[2:3], 0xe0
	s_waitcnt lgkmcnt(0)
	v_mul_hi_u32 v14, s7, v13
	s_delay_alu instid0(VALU_DEP_1) | instskip(NEXT) | instid1(VALU_DEP_1)
	v_add_nc_u32_e32 v14, v13, v14
	v_lshrrev_b32_e32 v14, s5, v14
	s_delay_alu instid0(VALU_DEP_1) | instskip(NEXT) | instid1(VALU_DEP_1)
	v_mul_lo_u32 v14, v14, s6
	v_sub_nc_u32_e32 v17, v13, v14
	s_delay_alu instid0(VALU_DEP_1) | instskip(SKIP_2) | instid1(VALU_DEP_3)
	v_mad_u64_u32 v[13:14], null, v17, s8, v[9:10]
	v_mad_u64_u32 v[14:15], null, v17, s9, v[11:12]
	;; [unrolled: 1-line block ×3, first 2 shown]
	v_mov_b32_e32 v9, v13
	s_delay_alu instid0(VALU_DEP_2)
	v_dual_mov_b32 v11, v14 :: v_dual_mov_b32 v10, v15
	s_branch .LBB133_53
.LBB133_52:
	s_mov_b32 s4, -1
                                        ; implicit-def: $vgpr9
                                        ; implicit-def: $vgpr11
                                        ; implicit-def: $vgpr10
.LBB133_53:
	s_delay_alu instid0(SALU_CYCLE_1)
	s_and_not1_b32 vcc_lo, exec_lo, s4
	s_cbranch_vccnz .LBB133_56
; %bb.54:
	s_clause 0x1
	s_load_b128 s[4:7], s[0:1], 0x4
	s_load_b128 s[8:11], s[0:1], 0xc4
	s_cmp_lt_u32 s22, 2
	s_waitcnt lgkmcnt(0)
	v_mul_hi_u32 v9, s5, v12
	s_delay_alu instid0(VALU_DEP_1) | instskip(NEXT) | instid1(VALU_DEP_1)
	v_add_nc_u32_e32 v9, v12, v9
	v_lshrrev_b32_e32 v13, s6, v9
	s_delay_alu instid0(VALU_DEP_1) | instskip(NEXT) | instid1(VALU_DEP_1)
	v_mul_lo_u32 v9, v13, s4
	v_sub_nc_u32_e32 v10, v12, v9
	s_delay_alu instid0(VALU_DEP_1)
	v_mul_lo_u32 v9, v10, s8
	v_mul_lo_u32 v11, v10, s9
	;; [unrolled: 1-line block ×3, first 2 shown]
	s_cbranch_scc1 .LBB133_56
; %bb.55:
	s_clause 0x1
	s_load_b128 s[4:7], s[0:1], 0x10
	s_load_b128 s[8:11], s[0:1], 0xd0
	s_waitcnt lgkmcnt(0)
	v_mul_hi_u32 v12, s5, v13
	s_delay_alu instid0(VALU_DEP_1) | instskip(NEXT) | instid1(VALU_DEP_1)
	v_add_nc_u32_e32 v12, v13, v12
	v_lshrrev_b32_e32 v12, s6, v12
	s_delay_alu instid0(VALU_DEP_1) | instskip(NEXT) | instid1(VALU_DEP_1)
	v_mul_lo_u32 v12, v12, s4
	v_sub_nc_u32_e32 v16, v13, v12
	s_delay_alu instid0(VALU_DEP_1) | instskip(NEXT) | instid1(VALU_DEP_1)
	v_mad_u64_u32 v[12:13], null, v16, s8, v[9:10]
	v_mad_u64_u32 v[13:14], null, v16, s9, v[11:12]
	;; [unrolled: 1-line block ×3, first 2 shown]
	v_mov_b32_e32 v9, v12
	s_delay_alu instid0(VALU_DEP_2)
	v_dual_mov_b32 v11, v13 :: v_dual_mov_b32 v10, v14
.LBB133_56:
	v_cmp_ne_u32_e32 vcc_lo, 1, v21
	v_add_nc_u32_e32 v15, 0x200, v18
	s_cbranch_vccnz .LBB133_62
; %bb.57:
	v_dual_mov_b32 v12, 0 :: v_dual_mov_b32 v13, 0
	v_mov_b32_e32 v14, 0
	s_cmp_lg_u32 s22, 0
	s_mov_b32 s4, 0
	s_cbranch_scc0 .LBB133_63
; %bb.58:
	s_min_u32 s5, s23, 15
	v_dual_mov_b32 v13, 0 :: v_dual_mov_b32 v14, 0
	s_add_i32 s2, s5, 1
	v_mov_b32_e32 v12, 0
	v_mov_b32_e32 v16, v15
	s_and_b32 s6, s2, 30
	s_add_u32 s2, s0, 0xffffffec
	s_addc_u32 s3, s1, -1
	s_set_inst_prefetch_distance 0x1
	.p2align	6
.LBB133_59:                             ; =>This Inner Loop Header: Depth=1
	s_clause 0x2
	s_load_b128 s[8:11], s[2:3], 0x18
	s_load_b64 s[16:17], s[2:3], 0x28
	s_load_b128 s[12:15], s[2:3], 0xd8
	s_waitcnt lgkmcnt(0)
	v_mul_hi_u32 v17, s9, v16
	s_delay_alu instid0(VALU_DEP_1) | instskip(NEXT) | instid1(VALU_DEP_1)
	v_add_nc_u32_e32 v17, v16, v17
	v_lshrrev_b32_e32 v17, s10, v17
	s_delay_alu instid0(VALU_DEP_1)
	v_mul_hi_u32 v19, s16, v17
	v_mul_lo_u32 v20, v17, s8
	s_load_b64 s[8:9], s[2:3], 0xe8
	s_add_u32 s2, s2, 24
	s_addc_u32 s3, s3, 0
	s_add_i32 s6, s6, -2
	s_delay_alu instid0(SALU_CYCLE_1) | instskip(NEXT) | instid1(VALU_DEP_2)
	s_cmp_lg_u32 s6, 0
	v_add_nc_u32_e32 v19, v17, v19
	s_delay_alu instid0(VALU_DEP_2) | instskip(NEXT) | instid1(VALU_DEP_2)
	v_sub_nc_u32_e32 v20, v16, v20
	v_lshrrev_b32_e32 v16, s17, v19
	s_delay_alu instid0(VALU_DEP_2) | instskip(NEXT) | instid1(VALU_DEP_2)
	v_mul_lo_u32 v22, v20, s12
	v_mul_lo_u32 v19, v16, s11
	s_delay_alu instid0(VALU_DEP_1) | instskip(SKIP_2) | instid1(VALU_DEP_3)
	v_sub_nc_u32_e32 v17, v17, v19
	v_mul_lo_u32 v19, v20, s13
	v_mul_lo_u32 v20, v20, s14
	;; [unrolled: 1-line block ×3, first 2 shown]
	s_waitcnt lgkmcnt(0)
	v_mul_lo_u32 v25, v17, s8
	v_mul_lo_u32 v17, v17, s9
	s_delay_alu instid0(VALU_DEP_3) | instskip(NEXT) | instid1(VALU_DEP_3)
	v_add3_u32 v12, v22, v12, v23
	v_add3_u32 v14, v19, v14, v25
	s_delay_alu instid0(VALU_DEP_3)
	v_add3_u32 v13, v20, v13, v17
	s_cbranch_scc1 .LBB133_59
; %bb.60:
	s_set_inst_prefetch_distance 0x2
	s_bitcmp1_b32 s5, 0
	s_cselect_b32 s5, -1, 0
	s_delay_alu instid0(SALU_CYCLE_1)
	s_and_b32 vcc_lo, exec_lo, s5
	s_cbranch_vccnz .LBB133_63
; %bb.61:
	s_clause 0x3
	s_load_b64 s[6:7], s[2:3], 0x18
	s_load_b32 s5, s[2:3], 0x20
	s_load_b64 s[8:9], s[2:3], 0xd8
	s_load_b32 s2, s[2:3], 0xe0
	s_waitcnt lgkmcnt(0)
	v_mul_hi_u32 v17, s7, v16
	s_delay_alu instid0(VALU_DEP_1) | instskip(NEXT) | instid1(VALU_DEP_1)
	v_add_nc_u32_e32 v17, v16, v17
	v_lshrrev_b32_e32 v17, s5, v17
	s_delay_alu instid0(VALU_DEP_1) | instskip(NEXT) | instid1(VALU_DEP_1)
	v_mul_lo_u32 v17, v17, s6
	v_sub_nc_u32_e32 v25, v16, v17
	s_delay_alu instid0(VALU_DEP_1) | instskip(SKIP_2) | instid1(VALU_DEP_3)
	v_mad_u64_u32 v[16:17], null, v25, s8, v[12:13]
	v_mad_u64_u32 v[19:20], null, v25, s9, v[14:15]
	;; [unrolled: 1-line block ×3, first 2 shown]
	v_mov_b32_e32 v12, v16
	s_delay_alu instid0(VALU_DEP_2)
	v_dual_mov_b32 v14, v19 :: v_dual_mov_b32 v13, v22
	s_branch .LBB133_63
.LBB133_62:
	s_mov_b32 s4, -1
                                        ; implicit-def: $vgpr12
                                        ; implicit-def: $vgpr14
                                        ; implicit-def: $vgpr13
.LBB133_63:
	s_delay_alu instid0(SALU_CYCLE_1)
	s_and_not1_b32 vcc_lo, exec_lo, s4
	s_cbranch_vccnz .LBB133_66
; %bb.64:
	s_clause 0x1
	s_load_b128 s[4:7], s[0:1], 0x4
	s_load_b128 s[8:11], s[0:1], 0xc4
	s_cmp_lt_u32 s22, 2
	s_waitcnt lgkmcnt(0)
	v_mul_hi_u32 v12, s5, v15
	s_delay_alu instid0(VALU_DEP_1) | instskip(NEXT) | instid1(VALU_DEP_1)
	v_add_nc_u32_e32 v12, v15, v12
	v_lshrrev_b32_e32 v16, s6, v12
	s_delay_alu instid0(VALU_DEP_1) | instskip(NEXT) | instid1(VALU_DEP_1)
	v_mul_lo_u32 v12, v16, s4
	v_sub_nc_u32_e32 v13, v15, v12
	s_delay_alu instid0(VALU_DEP_1)
	v_mul_lo_u32 v12, v13, s8
	v_mul_lo_u32 v14, v13, s9
	;; [unrolled: 1-line block ×3, first 2 shown]
	s_cbranch_scc1 .LBB133_66
; %bb.65:
	s_clause 0x1
	s_load_b128 s[4:7], s[0:1], 0x10
	s_load_b128 s[8:11], s[0:1], 0xd0
	s_waitcnt lgkmcnt(0)
	v_mul_hi_u32 v15, s5, v16
	s_delay_alu instid0(VALU_DEP_1) | instskip(NEXT) | instid1(VALU_DEP_1)
	v_add_nc_u32_e32 v15, v16, v15
	v_lshrrev_b32_e32 v15, s6, v15
	s_delay_alu instid0(VALU_DEP_1) | instskip(NEXT) | instid1(VALU_DEP_1)
	v_mul_lo_u32 v15, v15, s4
	v_sub_nc_u32_e32 v22, v16, v15
	s_delay_alu instid0(VALU_DEP_1) | instskip(SKIP_1) | instid1(VALU_DEP_2)
	v_mad_u64_u32 v[15:16], null, v22, s8, v[12:13]
	v_mad_u64_u32 v[19:20], null, v22, s10, v[13:14]
	;; [unrolled: 1-line block ×3, first 2 shown]
	v_mov_b32_e32 v12, v15
	s_delay_alu instid0(VALU_DEP_2)
	v_dual_mov_b32 v13, v19 :: v_dual_mov_b32 v14, v16
.LBB133_66:
	v_cmp_ne_u32_e32 vcc_lo, 1, v21
	v_add_nc_u32_e32 v19, 0x280, v18
	s_cbranch_vccnz .LBB133_72
; %bb.67:
	v_dual_mov_b32 v15, 0 :: v_dual_mov_b32 v16, 0
	v_mov_b32_e32 v17, 0
	s_cmp_lg_u32 s22, 0
	s_mov_b32 s4, 0
	s_cbranch_scc0 .LBB133_73
; %bb.68:
	s_min_u32 s5, s23, 15
	v_dual_mov_b32 v16, 0 :: v_dual_mov_b32 v17, 0
	s_add_i32 s2, s5, 1
	v_dual_mov_b32 v15, 0 :: v_dual_mov_b32 v20, v19
	s_and_b32 s6, s2, 30
	s_add_u32 s2, s0, 0xffffffec
	s_addc_u32 s3, s1, -1
	s_set_inst_prefetch_distance 0x1
	.p2align	6
.LBB133_69:                             ; =>This Inner Loop Header: Depth=1
	s_clause 0x2
	s_load_b128 s[8:11], s[2:3], 0x18
	s_load_b64 s[16:17], s[2:3], 0x28
	s_load_b128 s[12:15], s[2:3], 0xd8
	s_waitcnt lgkmcnt(0)
	v_mul_hi_u32 v22, s9, v20
	s_delay_alu instid0(VALU_DEP_1) | instskip(NEXT) | instid1(VALU_DEP_1)
	v_add_nc_u32_e32 v22, v20, v22
	v_lshrrev_b32_e32 v22, s10, v22
	s_delay_alu instid0(VALU_DEP_1)
	v_mul_hi_u32 v23, s16, v22
	v_mul_lo_u32 v25, v22, s8
	s_load_b64 s[8:9], s[2:3], 0xe8
	s_add_u32 s2, s2, 24
	s_addc_u32 s3, s3, 0
	s_add_i32 s6, s6, -2
	s_delay_alu instid0(SALU_CYCLE_1) | instskip(NEXT) | instid1(VALU_DEP_2)
	s_cmp_lg_u32 s6, 0
	v_add_nc_u32_e32 v23, v22, v23
	s_delay_alu instid0(VALU_DEP_2) | instskip(NEXT) | instid1(VALU_DEP_2)
	v_sub_nc_u32_e32 v25, v20, v25
	v_lshrrev_b32_e32 v20, s17, v23
	s_delay_alu instid0(VALU_DEP_2) | instskip(NEXT) | instid1(VALU_DEP_2)
	v_mul_lo_u32 v26, v25, s12
	v_mul_lo_u32 v23, v20, s11
	s_delay_alu instid0(VALU_DEP_1) | instskip(SKIP_2) | instid1(VALU_DEP_3)
	v_sub_nc_u32_e32 v22, v22, v23
	v_mul_lo_u32 v23, v25, s13
	v_mul_lo_u32 v25, v25, s14
	;; [unrolled: 1-line block ×3, first 2 shown]
	s_waitcnt lgkmcnt(0)
	v_mul_lo_u32 v28, v22, s8
	v_mul_lo_u32 v22, v22, s9
	s_delay_alu instid0(VALU_DEP_3) | instskip(NEXT) | instid1(VALU_DEP_3)
	v_add3_u32 v15, v26, v15, v27
	v_add3_u32 v17, v23, v17, v28
	s_delay_alu instid0(VALU_DEP_3)
	v_add3_u32 v16, v25, v16, v22
	s_cbranch_scc1 .LBB133_69
; %bb.70:
	s_set_inst_prefetch_distance 0x2
	s_bitcmp1_b32 s5, 0
	s_cselect_b32 s5, -1, 0
	s_delay_alu instid0(SALU_CYCLE_1)
	s_and_b32 vcc_lo, exec_lo, s5
	s_cbranch_vccnz .LBB133_73
; %bb.71:
	s_clause 0x3
	s_load_b64 s[6:7], s[2:3], 0x18
	s_load_b32 s5, s[2:3], 0x20
	s_load_b64 s[8:9], s[2:3], 0xd8
	s_load_b32 s2, s[2:3], 0xe0
	s_waitcnt lgkmcnt(0)
	v_mul_hi_u32 v22, s7, v20
	s_delay_alu instid0(VALU_DEP_1) | instskip(NEXT) | instid1(VALU_DEP_1)
	v_add_nc_u32_e32 v22, v20, v22
	v_lshrrev_b32_e32 v22, s5, v22
	s_delay_alu instid0(VALU_DEP_1) | instskip(NEXT) | instid1(VALU_DEP_1)
	v_mul_lo_u32 v22, v22, s6
	v_sub_nc_u32_e32 v20, v20, v22
	s_delay_alu instid0(VALU_DEP_1) | instskip(SKIP_2) | instid1(VALU_DEP_3)
	v_mad_u64_u32 v[25:26], null, v20, s9, v[17:18]
	v_mad_u64_u32 v[22:23], null, v20, s8, v[15:16]
	;; [unrolled: 1-line block ×3, first 2 shown]
	v_mov_b32_e32 v17, v25
	s_delay_alu instid0(VALU_DEP_3) | instskip(NEXT) | instid1(VALU_DEP_3)
	v_mov_b32_e32 v15, v22
	v_mov_b32_e32 v16, v26
	s_branch .LBB133_73
.LBB133_72:
	s_mov_b32 s4, -1
                                        ; implicit-def: $vgpr15
                                        ; implicit-def: $vgpr17
                                        ; implicit-def: $vgpr16
.LBB133_73:
	s_delay_alu instid0(SALU_CYCLE_1)
	s_and_not1_b32 vcc_lo, exec_lo, s4
	s_cbranch_vccnz .LBB133_76
; %bb.74:
	s_clause 0x1
	s_load_b128 s[4:7], s[0:1], 0x4
	s_load_b128 s[8:11], s[0:1], 0xc4
	s_cmp_lt_u32 s22, 2
	s_waitcnt lgkmcnt(0)
	v_mul_hi_u32 v15, s5, v19
	s_delay_alu instid0(VALU_DEP_1) | instskip(NEXT) | instid1(VALU_DEP_1)
	v_add_nc_u32_e32 v15, v19, v15
	v_lshrrev_b32_e32 v20, s6, v15
	s_delay_alu instid0(VALU_DEP_1) | instskip(NEXT) | instid1(VALU_DEP_1)
	v_mul_lo_u32 v15, v20, s4
	v_sub_nc_u32_e32 v16, v19, v15
	s_delay_alu instid0(VALU_DEP_1)
	v_mul_lo_u32 v15, v16, s8
	v_mul_lo_u32 v17, v16, s9
	;; [unrolled: 1-line block ×3, first 2 shown]
	s_cbranch_scc1 .LBB133_76
; %bb.75:
	s_clause 0x1
	s_load_b128 s[4:7], s[0:1], 0x10
	s_load_b128 s[8:11], s[0:1], 0xd0
	s_waitcnt lgkmcnt(0)
	v_mul_hi_u32 v19, s5, v20
	s_delay_alu instid0(VALU_DEP_1) | instskip(NEXT) | instid1(VALU_DEP_1)
	v_add_nc_u32_e32 v19, v20, v19
	v_lshrrev_b32_e32 v19, s6, v19
	s_delay_alu instid0(VALU_DEP_1) | instskip(NEXT) | instid1(VALU_DEP_1)
	v_mul_lo_u32 v19, v19, s4
	v_sub_nc_u32_e32 v27, v20, v19
	s_delay_alu instid0(VALU_DEP_1) | instskip(SKIP_2) | instid1(VALU_DEP_3)
	v_mad_u64_u32 v[19:20], null, v27, s8, v[15:16]
	v_mad_u64_u32 v[22:23], null, v27, s9, v[17:18]
	;; [unrolled: 1-line block ×3, first 2 shown]
	v_mov_b32_e32 v15, v19
	s_delay_alu instid0(VALU_DEP_2)
	v_dual_mov_b32 v17, v22 :: v_dual_mov_b32 v16, v25
.LBB133_76:
	v_cmp_ne_u32_e32 vcc_lo, 1, v21
	v_add_nc_u32_e32 v22, 0x300, v18
	s_cbranch_vccnz .LBB133_82
; %bb.77:
	v_dual_mov_b32 v18, 0 :: v_dual_mov_b32 v19, 0
	v_mov_b32_e32 v20, 0
	s_cmp_lg_u32 s22, 0
	s_mov_b32 s4, 0
	s_cbranch_scc0 .LBB133_83
; %bb.78:
	s_min_u32 s5, s23, 15
	v_dual_mov_b32 v19, 0 :: v_dual_mov_b32 v20, 0
	s_add_i32 s2, s5, 1
	v_dual_mov_b32 v18, 0 :: v_dual_mov_b32 v23, v22
	s_and_b32 s6, s2, 30
	s_add_u32 s2, s0, 0xffffffec
	s_addc_u32 s3, s1, -1
	s_set_inst_prefetch_distance 0x1
	.p2align	6
.LBB133_79:                             ; =>This Inner Loop Header: Depth=1
	s_clause 0x2
	s_load_b128 s[8:11], s[2:3], 0x18
	s_load_b64 s[16:17], s[2:3], 0x28
	s_load_b128 s[12:15], s[2:3], 0xd8
	s_waitcnt lgkmcnt(0)
	v_mul_hi_u32 v25, s9, v23
	s_delay_alu instid0(VALU_DEP_1) | instskip(NEXT) | instid1(VALU_DEP_1)
	v_add_nc_u32_e32 v25, v23, v25
	v_lshrrev_b32_e32 v25, s10, v25
	s_delay_alu instid0(VALU_DEP_1)
	v_mul_hi_u32 v26, s16, v25
	v_mul_lo_u32 v27, v25, s8
	s_load_b64 s[8:9], s[2:3], 0xe8
	s_add_u32 s2, s2, 24
	s_addc_u32 s3, s3, 0
	s_add_i32 s6, s6, -2
	s_delay_alu instid0(SALU_CYCLE_1) | instskip(NEXT) | instid1(VALU_DEP_2)
	s_cmp_lg_u32 s6, 0
	v_add_nc_u32_e32 v26, v25, v26
	s_delay_alu instid0(VALU_DEP_2) | instskip(NEXT) | instid1(VALU_DEP_2)
	v_sub_nc_u32_e32 v27, v23, v27
	v_lshrrev_b32_e32 v23, s17, v26
	s_delay_alu instid0(VALU_DEP_2) | instskip(NEXT) | instid1(VALU_DEP_2)
	v_mul_lo_u32 v28, v27, s12
	v_mul_lo_u32 v26, v23, s11
	s_delay_alu instid0(VALU_DEP_1) | instskip(SKIP_2) | instid1(VALU_DEP_3)
	v_sub_nc_u32_e32 v25, v25, v26
	v_mul_lo_u32 v26, v27, s13
	v_mul_lo_u32 v27, v27, s14
	;; [unrolled: 1-line block ×3, first 2 shown]
	s_waitcnt lgkmcnt(0)
	v_mul_lo_u32 v30, v25, s8
	v_mul_lo_u32 v25, v25, s9
	s_delay_alu instid0(VALU_DEP_3) | instskip(NEXT) | instid1(VALU_DEP_3)
	v_add3_u32 v18, v28, v18, v29
	v_add3_u32 v20, v26, v20, v30
	s_delay_alu instid0(VALU_DEP_3)
	v_add3_u32 v19, v27, v19, v25
	s_cbranch_scc1 .LBB133_79
; %bb.80:
	s_set_inst_prefetch_distance 0x2
	s_bitcmp1_b32 s5, 0
	s_cselect_b32 s5, -1, 0
	s_delay_alu instid0(SALU_CYCLE_1)
	s_and_b32 vcc_lo, exec_lo, s5
	s_cbranch_vccnz .LBB133_83
; %bb.81:
	s_clause 0x3
	s_load_b64 s[6:7], s[2:3], 0x18
	s_load_b32 s5, s[2:3], 0x20
	s_load_b64 s[8:9], s[2:3], 0xd8
	s_load_b32 s2, s[2:3], 0xe0
	s_waitcnt lgkmcnt(0)
	v_mul_hi_u32 v25, s7, v23
	s_delay_alu instid0(VALU_DEP_1) | instskip(NEXT) | instid1(VALU_DEP_1)
	v_add_nc_u32_e32 v25, v23, v25
	v_lshrrev_b32_e32 v25, s5, v25
	s_delay_alu instid0(VALU_DEP_1) | instskip(NEXT) | instid1(VALU_DEP_1)
	v_mul_lo_u32 v25, v25, s6
	v_sub_nc_u32_e32 v23, v23, v25
	s_delay_alu instid0(VALU_DEP_1) | instskip(SKIP_2) | instid1(VALU_DEP_3)
	v_mad_u64_u32 v[25:26], null, v23, s8, v[18:19]
	v_mad_u64_u32 v[26:27], null, v23, s9, v[20:21]
	;; [unrolled: 1-line block ×3, first 2 shown]
	v_mov_b32_e32 v18, v25
	s_delay_alu instid0(VALU_DEP_2)
	v_dual_mov_b32 v20, v26 :: v_dual_mov_b32 v19, v27
	s_branch .LBB133_83
.LBB133_82:
	s_mov_b32 s4, -1
                                        ; implicit-def: $vgpr18
                                        ; implicit-def: $vgpr20
                                        ; implicit-def: $vgpr19
.LBB133_83:
	s_delay_alu instid0(SALU_CYCLE_1)
	s_and_not1_b32 vcc_lo, exec_lo, s4
	s_cbranch_vccnz .LBB133_86
; %bb.84:
	s_clause 0x1
	s_load_b128 s[4:7], s[0:1], 0x4
	s_load_b128 s[8:11], s[0:1], 0xc4
	s_cmp_lt_u32 s22, 2
	s_waitcnt lgkmcnt(0)
	v_mul_hi_u32 v18, s5, v22
	s_delay_alu instid0(VALU_DEP_1) | instskip(NEXT) | instid1(VALU_DEP_1)
	v_add_nc_u32_e32 v18, v22, v18
	v_lshrrev_b32_e32 v23, s6, v18
	s_delay_alu instid0(VALU_DEP_1) | instskip(NEXT) | instid1(VALU_DEP_1)
	v_mul_lo_u32 v18, v23, s4
	v_sub_nc_u32_e32 v19, v22, v18
	s_delay_alu instid0(VALU_DEP_1)
	v_mul_lo_u32 v18, v19, s8
	v_mul_lo_u32 v20, v19, s9
	;; [unrolled: 1-line block ×3, first 2 shown]
	s_cbranch_scc1 .LBB133_86
; %bb.85:
	s_clause 0x1
	s_load_b128 s[4:7], s[0:1], 0x10
	s_load_b128 s[8:11], s[0:1], 0xd0
	s_waitcnt lgkmcnt(0)
	v_mul_hi_u32 v22, s5, v23
	s_delay_alu instid0(VALU_DEP_1) | instskip(NEXT) | instid1(VALU_DEP_1)
	v_add_nc_u32_e32 v22, v23, v22
	v_lshrrev_b32_e32 v22, s6, v22
	s_delay_alu instid0(VALU_DEP_1) | instskip(NEXT) | instid1(VALU_DEP_1)
	v_mul_lo_u32 v22, v22, s4
	v_sub_nc_u32_e32 v28, v23, v22
	s_delay_alu instid0(VALU_DEP_1) | instskip(SKIP_2) | instid1(VALU_DEP_3)
	v_mad_u64_u32 v[25:26], null, v28, s9, v[20:21]
	v_mad_u64_u32 v[22:23], null, v28, s8, v[18:19]
	;; [unrolled: 1-line block ×3, first 2 shown]
	v_mov_b32_e32 v20, v25
	s_delay_alu instid0(VALU_DEP_3) | instskip(NEXT) | instid1(VALU_DEP_3)
	v_mov_b32_e32 v18, v22
	v_mov_b32_e32 v19, v26
.LBB133_86:
	v_cmp_ne_u32_e32 vcc_lo, 1, v21
	s_cbranch_vccnz .LBB133_92
; %bb.87:
	v_dual_mov_b32 v21, 0 :: v_dual_mov_b32 v22, 0
	v_mov_b32_e32 v23, 0
	s_cmp_lg_u32 s22, 0
	s_mov_b32 s4, 0
	s_cbranch_scc0 .LBB133_93
; %bb.88:
	s_min_u32 s5, s23, 15
	v_dual_mov_b32 v22, 0 :: v_dual_mov_b32 v23, 0
	s_add_i32 s2, s5, 1
	v_mov_b32_e32 v21, 0
	v_mov_b32_e32 v25, v24
	s_and_b32 s6, s2, 30
	s_add_u32 s2, s0, 0xffffffec
	s_addc_u32 s3, s1, -1
	s_set_inst_prefetch_distance 0x1
	.p2align	6
.LBB133_89:                             ; =>This Inner Loop Header: Depth=1
	s_clause 0x2
	s_load_b128 s[8:11], s[2:3], 0x18
	s_load_b64 s[16:17], s[2:3], 0x28
	s_load_b128 s[12:15], s[2:3], 0xd8
	s_waitcnt lgkmcnt(0)
	v_mul_hi_u32 v26, s9, v25
	s_delay_alu instid0(VALU_DEP_1) | instskip(NEXT) | instid1(VALU_DEP_1)
	v_add_nc_u32_e32 v26, v25, v26
	v_lshrrev_b32_e32 v26, s10, v26
	s_delay_alu instid0(VALU_DEP_1)
	v_mul_hi_u32 v27, s16, v26
	v_mul_lo_u32 v28, v26, s8
	s_load_b64 s[8:9], s[2:3], 0xe8
	s_add_u32 s2, s2, 24
	s_addc_u32 s3, s3, 0
	s_add_i32 s6, s6, -2
	s_delay_alu instid0(SALU_CYCLE_1) | instskip(NEXT) | instid1(VALU_DEP_2)
	s_cmp_lg_u32 s6, 0
	v_add_nc_u32_e32 v27, v26, v27
	s_delay_alu instid0(VALU_DEP_2) | instskip(NEXT) | instid1(VALU_DEP_2)
	v_sub_nc_u32_e32 v28, v25, v28
	v_lshrrev_b32_e32 v25, s17, v27
	s_delay_alu instid0(VALU_DEP_2) | instskip(NEXT) | instid1(VALU_DEP_2)
	v_mul_lo_u32 v29, v28, s12
	v_mul_lo_u32 v27, v25, s11
	s_delay_alu instid0(VALU_DEP_1) | instskip(SKIP_2) | instid1(VALU_DEP_3)
	v_sub_nc_u32_e32 v26, v26, v27
	v_mul_lo_u32 v27, v28, s13
	v_mul_lo_u32 v28, v28, s14
	;; [unrolled: 1-line block ×3, first 2 shown]
	s_waitcnt lgkmcnt(0)
	v_mul_lo_u32 v31, v26, s8
	v_mul_lo_u32 v26, v26, s9
	s_delay_alu instid0(VALU_DEP_3) | instskip(NEXT) | instid1(VALU_DEP_3)
	v_add3_u32 v21, v29, v21, v30
	v_add3_u32 v23, v27, v23, v31
	s_delay_alu instid0(VALU_DEP_3)
	v_add3_u32 v22, v28, v22, v26
	s_cbranch_scc1 .LBB133_89
; %bb.90:
	s_set_inst_prefetch_distance 0x2
	s_bitcmp1_b32 s5, 0
	s_cselect_b32 s5, -1, 0
	s_delay_alu instid0(SALU_CYCLE_1)
	s_and_b32 vcc_lo, exec_lo, s5
	s_cbranch_vccnz .LBB133_93
; %bb.91:
	s_clause 0x3
	s_load_b64 s[6:7], s[2:3], 0x18
	s_load_b32 s5, s[2:3], 0x20
	s_load_b64 s[8:9], s[2:3], 0xd8
	s_load_b32 s2, s[2:3], 0xe0
	s_waitcnt lgkmcnt(0)
	v_mul_hi_u32 v26, s7, v25
	s_delay_alu instid0(VALU_DEP_1) | instskip(NEXT) | instid1(VALU_DEP_1)
	v_add_nc_u32_e32 v26, v25, v26
	v_lshrrev_b32_e32 v26, s5, v26
	s_delay_alu instid0(VALU_DEP_1) | instskip(NEXT) | instid1(VALU_DEP_1)
	v_mul_lo_u32 v26, v26, s6
	v_sub_nc_u32_e32 v29, v25, v26
	s_delay_alu instid0(VALU_DEP_1) | instskip(SKIP_2) | instid1(VALU_DEP_3)
	v_mad_u64_u32 v[25:26], null, v29, s8, v[21:22]
	v_mad_u64_u32 v[26:27], null, v29, s9, v[23:24]
	v_mad_u64_u32 v[27:28], null, v29, s2, v[22:23]
	v_mov_b32_e32 v21, v25
	s_delay_alu instid0(VALU_DEP_2)
	v_dual_mov_b32 v23, v26 :: v_dual_mov_b32 v22, v27
	s_branch .LBB133_93
.LBB133_92:
	s_mov_b32 s4, -1
                                        ; implicit-def: $vgpr21
                                        ; implicit-def: $vgpr23
                                        ; implicit-def: $vgpr22
.LBB133_93:
	s_delay_alu instid0(SALU_CYCLE_1)
	s_and_not1_b32 vcc_lo, exec_lo, s4
	s_cbranch_vccnz .LBB133_96
; %bb.94:
	s_clause 0x1
	s_load_b128 s[4:7], s[0:1], 0x4
	s_load_b128 s[8:11], s[0:1], 0xc4
	s_cmp_lt_u32 s22, 2
	s_waitcnt lgkmcnt(0)
	v_mul_hi_u32 v21, s5, v24
	s_delay_alu instid0(VALU_DEP_1) | instskip(NEXT) | instid1(VALU_DEP_1)
	v_add_nc_u32_e32 v21, v24, v21
	v_lshrrev_b32_e32 v25, s6, v21
	s_delay_alu instid0(VALU_DEP_1) | instskip(NEXT) | instid1(VALU_DEP_1)
	v_mul_lo_u32 v21, v25, s4
	v_sub_nc_u32_e32 v22, v24, v21
	s_delay_alu instid0(VALU_DEP_1)
	v_mul_lo_u32 v21, v22, s8
	v_mul_lo_u32 v23, v22, s9
	;; [unrolled: 1-line block ×3, first 2 shown]
	s_cbranch_scc1 .LBB133_96
; %bb.95:
	s_clause 0x1
	s_load_b128 s[4:7], s[0:1], 0x10
	s_load_b128 s[8:11], s[0:1], 0xd0
	s_waitcnt lgkmcnt(0)
	v_mul_hi_u32 v24, s5, v25
	s_delay_alu instid0(VALU_DEP_1) | instskip(NEXT) | instid1(VALU_DEP_1)
	v_add_nc_u32_e32 v24, v25, v24
	v_lshrrev_b32_e32 v24, s6, v24
	s_delay_alu instid0(VALU_DEP_1) | instskip(NEXT) | instid1(VALU_DEP_1)
	v_mul_lo_u32 v24, v24, s4
	v_sub_nc_u32_e32 v28, v25, v24
	s_delay_alu instid0(VALU_DEP_1) | instskip(NEXT) | instid1(VALU_DEP_1)
	v_mad_u64_u32 v[24:25], null, v28, s8, v[21:22]
	v_mad_u64_u32 v[25:26], null, v28, s9, v[23:24]
	;; [unrolled: 1-line block ×3, first 2 shown]
	v_mov_b32_e32 v21, v24
	s_delay_alu instid0(VALU_DEP_2)
	v_dual_mov_b32 v23, v25 :: v_dual_mov_b32 v22, v26
.LBB133_96:
	s_clause 0x2
	s_load_b64 s[2:3], s[0:1], 0x198
	s_load_b128 s[4:7], s[0:1], 0x188
	s_load_b32 s0, s[0:1], 0x1a0
	s_waitcnt lgkmcnt(0)
	global_load_u8 v1, v1, s[2:3]
	global_load_u16 v2, v2, s[6:7]
	global_load_u8 v4, v4, s[2:3]
	global_load_u16 v5, v5, s[6:7]
	;; [unrolled: 2-line block ×8, first 2 shown]
	s_waitcnt vmcnt(15)
	v_cmp_ne_u16_e32 vcc_lo, 0, v1
	s_waitcnt vmcnt(14)
	v_cvt_f32_f16_e32 v2, v2
	s_waitcnt vmcnt(12)
	v_cvt_f32_f16_e32 v5, v5
	v_cndmask_b32_e64 v1, 0, 1.0, vcc_lo
	v_cmp_ne_u16_e32 vcc_lo, 0, v4
	s_waitcnt vmcnt(10)
	v_cvt_f32_f16_e32 v8, v8
	s_waitcnt vmcnt(8)
	v_cvt_f32_f16_e32 v11, v11
	;; [unrolled: 2-line block ×3, first 2 shown]
	v_cndmask_b32_e64 v4, 0, 1.0, vcc_lo
	v_cmp_ne_u16_e32 vcc_lo, 0, v7
	s_waitcnt vmcnt(4)
	v_cvt_f32_f16_e32 v17, v17
	s_waitcnt vmcnt(2)
	v_cvt_f32_f16_e32 v20, v20
	;; [unrolled: 2-line block ×3, first 2 shown]
	v_dual_mul_f32 v1, v2, v1 :: v_dual_mul_f32 v2, v5, v4
	v_cndmask_b32_e64 v7, 0, 1.0, vcc_lo
	v_cmp_ne_u16_e32 vcc_lo, 0, v10
	s_delay_alu instid0(VALU_DEP_3) | instskip(NEXT) | instid1(VALU_DEP_4)
	v_fma_mixlo_f16 v1, s0, v1, 0
	v_fma_mixlo_f16 v2, s0, v2, 0
	v_cndmask_b32_e64 v10, 0, 1.0, vcc_lo
	v_cmp_ne_u16_e32 vcc_lo, 0, v13
	s_delay_alu instid0(VALU_DEP_2) | instskip(SKIP_2) | instid1(VALU_DEP_3)
	v_dual_mul_f32 v4, v8, v7 :: v_dual_mul_f32 v5, v11, v10
	v_cndmask_b32_e64 v13, 0, 1.0, vcc_lo
	v_cmp_ne_u16_e32 vcc_lo, 0, v16
	v_fma_mixlo_f16 v4, s0, v4, 0
	s_delay_alu instid0(VALU_DEP_4) | instskip(SKIP_2) | instid1(VALU_DEP_2)
	v_fma_mixlo_f16 v5, s0, v5, 0
	v_cndmask_b32_e64 v16, 0, 1.0, vcc_lo
	v_cmp_ne_u16_e32 vcc_lo, 0, v19
	v_dual_mul_f32 v7, v14, v13 :: v_dual_mul_f32 v8, v17, v16
	v_cndmask_b32_e64 v19, 0, 1.0, vcc_lo
	v_cmp_ne_u16_e32 vcc_lo, 0, v22
	s_delay_alu instid0(VALU_DEP_3) | instskip(NEXT) | instid1(VALU_DEP_4)
	v_fma_mixlo_f16 v7, s0, v7, 0
	v_fma_mixlo_f16 v8, s0, v8, 0
	v_cndmask_b32_e64 v22, 0, 1.0, vcc_lo
	s_delay_alu instid0(VALU_DEP_1) | instskip(NEXT) | instid1(VALU_DEP_1)
	v_dual_mul_f32 v10, v20, v19 :: v_dual_mul_f32 v11, v23, v22
	v_fma_mixlo_f16 v10, s0, v10, 0
	s_delay_alu instid0(VALU_DEP_2)
	v_fma_mixlo_f16 v11, s0, v11, 0
	s_clause 0x7
	global_store_b16 v0, v1, s[4:5]
	global_store_b16 v3, v2, s[4:5]
	;; [unrolled: 1-line block ×8, first 2 shown]
	s_nop 0
	s_sendmsg sendmsg(MSG_DEALLOC_VGPRS)
	s_endpgm
.LBB133_97:
	s_mov_b32 s33, -1
                                        ; implicit-def: $vgpr0
                                        ; implicit-def: $vgpr2
                                        ; implicit-def: $vgpr1
.LBB133_98:
	s_delay_alu instid0(SALU_CYCLE_1)
	s_and_not1_b32 vcc_lo, exec_lo, s33
	s_cbranch_vccnz .LBB133_101
; %bb.99:
	s_waitcnt lgkmcnt(0)
	v_mul_hi_u32 v0, s13, v18
	s_and_not1_b32 vcc_lo, exec_lo, s27
	s_delay_alu instid0(VALU_DEP_1) | instskip(NEXT) | instid1(VALU_DEP_1)
	v_add_nc_u32_e32 v0, v18, v0
	v_lshrrev_b32_e32 v3, s14, v0
	s_delay_alu instid0(VALU_DEP_1) | instskip(NEXT) | instid1(VALU_DEP_1)
	v_mul_lo_u32 v0, v3, s12
	v_sub_nc_u32_e32 v1, v18, v0
	s_delay_alu instid0(VALU_DEP_1)
	v_mul_lo_u32 v0, v1, s8
	v_mul_lo_u32 v2, v1, s9
	;; [unrolled: 1-line block ×3, first 2 shown]
	s_cbranch_vccnz .LBB133_101
; %bb.100:
	v_mul_hi_u32 v4, s18, v3
	s_delay_alu instid0(VALU_DEP_1) | instskip(NEXT) | instid1(VALU_DEP_1)
	v_add_nc_u32_e32 v4, v3, v4
	v_lshrrev_b32_e32 v4, s19, v4
	s_delay_alu instid0(VALU_DEP_1) | instskip(NEXT) | instid1(VALU_DEP_1)
	v_mul_lo_u32 v4, v4, s15
	v_sub_nc_u32_e32 v7, v3, v4
	s_delay_alu instid0(VALU_DEP_1) | instskip(NEXT) | instid1(VALU_DEP_1)
	v_mad_u64_u32 v[3:4], null, v7, s11, v[0:1]
	v_mad_u64_u32 v[4:5], null, v7, s16, v[2:3]
	;; [unrolled: 1-line block ×3, first 2 shown]
	v_mov_b32_e32 v0, v3
	s_delay_alu instid0(VALU_DEP_2)
	v_dual_mov_b32 v2, v4 :: v_dual_mov_b32 v1, v5
.LBB133_101:
	s_waitcnt lgkmcnt(0)
	global_load_u8 v1, v1, s[2:3]
	global_load_u16 v2, v2, s[6:7]
	v_add_nc_u32_e32 v18, 0x80, v18
	s_waitcnt vmcnt(1)
	v_cmp_ne_u16_e32 vcc_lo, 0, v1
	s_waitcnt vmcnt(0)
	v_cvt_f32_f16_e32 v2, v2
	v_cndmask_b32_e64 v1, 0, 1.0, vcc_lo
	s_delay_alu instid0(VALU_DEP_1) | instskip(NEXT) | instid1(VALU_DEP_1)
	v_mul_f32_e32 v1, v2, v1
	v_fma_mixlo_f16 v1, s26, v1, 0
	global_store_b16 v0, v1, s[4:5]
	s_or_b32 exec_lo, exec_lo, s31
	s_delay_alu instid0(SALU_CYCLE_1)
	s_mov_b32 s31, exec_lo
	v_cmpx_gt_i32_e64 s29, v18
	s_cbranch_execnz .LBB133_16
.LBB133_102:
	s_or_b32 exec_lo, exec_lo, s31
	s_delay_alu instid0(SALU_CYCLE_1)
	s_mov_b32 s31, exec_lo
	v_cmpx_gt_i32_e64 s29, v18
	s_cbranch_execz .LBB133_114
.LBB133_103:
	s_and_not1_b32 vcc_lo, exec_lo, s24
	s_cbranch_vccnz .LBB133_121
; %bb.104:
	v_dual_mov_b32 v0, 0 :: v_dual_mov_b32 v1, 0
	v_mov_b32_e32 v2, 0
	s_and_not1_b32 vcc_lo, exec_lo, s30
	s_mov_b32 s33, 0
	s_cbranch_vccnz .LBB133_122
; %bb.105:
	s_add_i32 s20, s28, 1
	v_dual_mov_b32 v1, 0 :: v_dual_mov_b32 v2, 0
	v_dual_mov_b32 v0, 0 :: v_dual_mov_b32 v3, v18
	s_and_b32 s34, s20, 30
	s_add_u32 s20, s0, 0xffffffec
	s_addc_u32 s21, s1, -1
	s_set_inst_prefetch_distance 0x1
	.p2align	6
.LBB133_106:                            ; =>This Inner Loop Header: Depth=1
	s_clause 0x2
	s_load_b128 s[36:39], s[20:21], 0x18
	s_load_b64 s[44:45], s[20:21], 0x28
	s_load_b128 s[40:43], s[20:21], 0xd8
	s_waitcnt lgkmcnt(0)
	v_mul_hi_u32 v4, s37, v3
	s_delay_alu instid0(VALU_DEP_1) | instskip(NEXT) | instid1(VALU_DEP_1)
	v_add_nc_u32_e32 v4, v3, v4
	v_lshrrev_b32_e32 v4, s38, v4
	s_delay_alu instid0(VALU_DEP_1)
	v_mul_hi_u32 v5, s44, v4
	v_mul_lo_u32 v6, v4, s36
	s_load_b64 s[36:37], s[20:21], 0xe8
	s_add_u32 s20, s20, 24
	s_addc_u32 s21, s21, 0
	s_add_i32 s34, s34, -2
	s_delay_alu instid0(SALU_CYCLE_1) | instskip(NEXT) | instid1(VALU_DEP_2)
	s_cmp_eq_u32 s34, 0
	v_add_nc_u32_e32 v5, v4, v5
	s_delay_alu instid0(VALU_DEP_2) | instskip(NEXT) | instid1(VALU_DEP_2)
	v_sub_nc_u32_e32 v6, v3, v6
	v_lshrrev_b32_e32 v3, s45, v5
	s_delay_alu instid0(VALU_DEP_2) | instskip(NEXT) | instid1(VALU_DEP_2)
	v_mul_lo_u32 v7, v6, s40
	v_mul_lo_u32 v5, v3, s39
	s_delay_alu instid0(VALU_DEP_1) | instskip(SKIP_2) | instid1(VALU_DEP_3)
	v_sub_nc_u32_e32 v4, v4, v5
	v_mul_lo_u32 v5, v6, s41
	v_mul_lo_u32 v6, v6, s42
	;; [unrolled: 1-line block ×3, first 2 shown]
	s_waitcnt lgkmcnt(0)
	v_mul_lo_u32 v9, v4, s36
	v_mul_lo_u32 v4, v4, s37
	s_delay_alu instid0(VALU_DEP_3) | instskip(NEXT) | instid1(VALU_DEP_3)
	v_add3_u32 v0, v7, v0, v8
	v_add3_u32 v2, v5, v2, v9
	s_delay_alu instid0(VALU_DEP_3)
	v_add3_u32 v1, v6, v1, v4
	s_cbranch_scc0 .LBB133_106
; %bb.107:
	s_set_inst_prefetch_distance 0x2
	s_bitcmp1_b32 s28, 0
	s_cselect_b32 s34, -1, 0
	s_delay_alu instid0(SALU_CYCLE_1)
	s_and_b32 vcc_lo, exec_lo, s34
	s_cbranch_vccnz .LBB133_122
; %bb.108:
	s_clause 0x3
	s_load_b64 s[34:35], s[20:21], 0x18
	s_load_b32 s38, s[20:21], 0x20
	s_load_b64 s[36:37], s[20:21], 0xd8
	s_load_b32 s20, s[20:21], 0xe0
	s_waitcnt lgkmcnt(0)
	v_mul_hi_u32 v4, s35, v3
	s_delay_alu instid0(VALU_DEP_1) | instskip(NEXT) | instid1(VALU_DEP_1)
	v_add_nc_u32_e32 v4, v3, v4
	v_lshrrev_b32_e32 v4, s38, v4
	s_delay_alu instid0(VALU_DEP_1) | instskip(NEXT) | instid1(VALU_DEP_1)
	v_mul_lo_u32 v4, v4, s34
	v_sub_nc_u32_e32 v7, v3, v4
	s_delay_alu instid0(VALU_DEP_1) | instskip(NEXT) | instid1(VALU_DEP_1)
	v_mad_u64_u32 v[3:4], null, v7, s36, v[0:1]
	v_mad_u64_u32 v[4:5], null, v7, s37, v[2:3]
	;; [unrolled: 1-line block ×3, first 2 shown]
	v_mov_b32_e32 v0, v3
	s_delay_alu instid0(VALU_DEP_2)
	v_dual_mov_b32 v2, v4 :: v_dual_mov_b32 v1, v5
	s_branch .LBB133_122
.LBB133_109:
	s_mov_b32 s33, -1
                                        ; implicit-def: $vgpr0
                                        ; implicit-def: $vgpr2
                                        ; implicit-def: $vgpr1
.LBB133_110:
	s_delay_alu instid0(SALU_CYCLE_1)
	s_and_not1_b32 vcc_lo, exec_lo, s33
	s_cbranch_vccnz .LBB133_113
; %bb.111:
	s_waitcnt lgkmcnt(0)
	v_mul_hi_u32 v0, s13, v18
	s_and_not1_b32 vcc_lo, exec_lo, s27
	s_delay_alu instid0(VALU_DEP_1) | instskip(NEXT) | instid1(VALU_DEP_1)
	v_add_nc_u32_e32 v0, v18, v0
	v_lshrrev_b32_e32 v3, s14, v0
	s_delay_alu instid0(VALU_DEP_1) | instskip(NEXT) | instid1(VALU_DEP_1)
	v_mul_lo_u32 v0, v3, s12
	v_sub_nc_u32_e32 v1, v18, v0
	s_delay_alu instid0(VALU_DEP_1)
	v_mul_lo_u32 v0, v1, s8
	v_mul_lo_u32 v2, v1, s9
	;; [unrolled: 1-line block ×3, first 2 shown]
	s_cbranch_vccnz .LBB133_113
; %bb.112:
	v_mul_hi_u32 v4, s18, v3
	s_delay_alu instid0(VALU_DEP_1) | instskip(NEXT) | instid1(VALU_DEP_1)
	v_add_nc_u32_e32 v4, v3, v4
	v_lshrrev_b32_e32 v4, s19, v4
	s_delay_alu instid0(VALU_DEP_1) | instskip(NEXT) | instid1(VALU_DEP_1)
	v_mul_lo_u32 v4, v4, s15
	v_sub_nc_u32_e32 v7, v3, v4
	s_delay_alu instid0(VALU_DEP_1) | instskip(NEXT) | instid1(VALU_DEP_1)
	v_mad_u64_u32 v[3:4], null, v7, s11, v[0:1]
	v_mad_u64_u32 v[4:5], null, v7, s16, v[2:3]
	;; [unrolled: 1-line block ×3, first 2 shown]
	v_mov_b32_e32 v0, v3
	s_delay_alu instid0(VALU_DEP_2)
	v_dual_mov_b32 v2, v4 :: v_dual_mov_b32 v1, v5
.LBB133_113:
	s_waitcnt lgkmcnt(0)
	global_load_u8 v1, v1, s[2:3]
	global_load_u16 v2, v2, s[6:7]
	v_add_nc_u32_e32 v18, 0x80, v18
	s_waitcnt vmcnt(1)
	v_cmp_ne_u16_e32 vcc_lo, 0, v1
	s_waitcnt vmcnt(0)
	v_cvt_f32_f16_e32 v2, v2
	v_cndmask_b32_e64 v1, 0, 1.0, vcc_lo
	s_delay_alu instid0(VALU_DEP_1) | instskip(NEXT) | instid1(VALU_DEP_1)
	v_mul_f32_e32 v1, v2, v1
	v_fma_mixlo_f16 v1, s26, v1, 0
	global_store_b16 v0, v1, s[4:5]
	s_or_b32 exec_lo, exec_lo, s31
	s_delay_alu instid0(SALU_CYCLE_1)
	s_mov_b32 s31, exec_lo
	v_cmpx_gt_i32_e64 s29, v18
	s_cbranch_execnz .LBB133_103
.LBB133_114:
	s_or_b32 exec_lo, exec_lo, s31
	s_delay_alu instid0(SALU_CYCLE_1)
	s_mov_b32 s31, exec_lo
	v_cmpx_gt_i32_e64 s29, v18
	s_cbranch_execz .LBB133_126
.LBB133_115:
	s_and_not1_b32 vcc_lo, exec_lo, s24
	s_cbranch_vccnz .LBB133_133
; %bb.116:
	v_dual_mov_b32 v0, 0 :: v_dual_mov_b32 v1, 0
	v_mov_b32_e32 v2, 0
	s_and_not1_b32 vcc_lo, exec_lo, s30
	s_mov_b32 s33, 0
	s_cbranch_vccnz .LBB133_134
; %bb.117:
	s_add_i32 s20, s28, 1
	v_dual_mov_b32 v1, 0 :: v_dual_mov_b32 v2, 0
	v_dual_mov_b32 v0, 0 :: v_dual_mov_b32 v3, v18
	s_and_b32 s34, s20, 30
	s_add_u32 s20, s0, 0xffffffec
	s_addc_u32 s21, s1, -1
	s_set_inst_prefetch_distance 0x1
	.p2align	6
.LBB133_118:                            ; =>This Inner Loop Header: Depth=1
	s_clause 0x2
	s_load_b128 s[36:39], s[20:21], 0x18
	s_load_b64 s[44:45], s[20:21], 0x28
	s_load_b128 s[40:43], s[20:21], 0xd8
	s_waitcnt lgkmcnt(0)
	v_mul_hi_u32 v4, s37, v3
	s_delay_alu instid0(VALU_DEP_1) | instskip(NEXT) | instid1(VALU_DEP_1)
	v_add_nc_u32_e32 v4, v3, v4
	v_lshrrev_b32_e32 v4, s38, v4
	s_delay_alu instid0(VALU_DEP_1)
	v_mul_hi_u32 v5, s44, v4
	v_mul_lo_u32 v6, v4, s36
	s_load_b64 s[36:37], s[20:21], 0xe8
	s_add_u32 s20, s20, 24
	s_addc_u32 s21, s21, 0
	s_add_i32 s34, s34, -2
	s_delay_alu instid0(SALU_CYCLE_1) | instskip(NEXT) | instid1(VALU_DEP_2)
	s_cmp_eq_u32 s34, 0
	v_add_nc_u32_e32 v5, v4, v5
	s_delay_alu instid0(VALU_DEP_2) | instskip(NEXT) | instid1(VALU_DEP_2)
	v_sub_nc_u32_e32 v6, v3, v6
	v_lshrrev_b32_e32 v3, s45, v5
	s_delay_alu instid0(VALU_DEP_2) | instskip(NEXT) | instid1(VALU_DEP_2)
	v_mul_lo_u32 v7, v6, s40
	v_mul_lo_u32 v5, v3, s39
	s_delay_alu instid0(VALU_DEP_1) | instskip(SKIP_2) | instid1(VALU_DEP_3)
	v_sub_nc_u32_e32 v4, v4, v5
	v_mul_lo_u32 v5, v6, s41
	v_mul_lo_u32 v6, v6, s42
	;; [unrolled: 1-line block ×3, first 2 shown]
	s_waitcnt lgkmcnt(0)
	v_mul_lo_u32 v9, v4, s36
	v_mul_lo_u32 v4, v4, s37
	s_delay_alu instid0(VALU_DEP_3) | instskip(NEXT) | instid1(VALU_DEP_3)
	v_add3_u32 v0, v7, v0, v8
	v_add3_u32 v2, v5, v2, v9
	s_delay_alu instid0(VALU_DEP_3)
	v_add3_u32 v1, v6, v1, v4
	s_cbranch_scc0 .LBB133_118
; %bb.119:
	s_set_inst_prefetch_distance 0x2
	s_bitcmp1_b32 s28, 0
	s_cselect_b32 s34, -1, 0
	s_delay_alu instid0(SALU_CYCLE_1)
	s_and_b32 vcc_lo, exec_lo, s34
	s_cbranch_vccnz .LBB133_134
; %bb.120:
	s_clause 0x3
	s_load_b64 s[34:35], s[20:21], 0x18
	s_load_b32 s38, s[20:21], 0x20
	s_load_b64 s[36:37], s[20:21], 0xd8
	s_load_b32 s20, s[20:21], 0xe0
	s_waitcnt lgkmcnt(0)
	v_mul_hi_u32 v4, s35, v3
	s_delay_alu instid0(VALU_DEP_1) | instskip(NEXT) | instid1(VALU_DEP_1)
	v_add_nc_u32_e32 v4, v3, v4
	v_lshrrev_b32_e32 v4, s38, v4
	s_delay_alu instid0(VALU_DEP_1) | instskip(NEXT) | instid1(VALU_DEP_1)
	v_mul_lo_u32 v4, v4, s34
	v_sub_nc_u32_e32 v7, v3, v4
	s_delay_alu instid0(VALU_DEP_1) | instskip(NEXT) | instid1(VALU_DEP_1)
	v_mad_u64_u32 v[3:4], null, v7, s36, v[0:1]
	v_mad_u64_u32 v[4:5], null, v7, s37, v[2:3]
	;; [unrolled: 1-line block ×3, first 2 shown]
	v_mov_b32_e32 v0, v3
	s_delay_alu instid0(VALU_DEP_2)
	v_dual_mov_b32 v2, v4 :: v_dual_mov_b32 v1, v5
	s_branch .LBB133_134
.LBB133_121:
	s_mov_b32 s33, -1
                                        ; implicit-def: $vgpr0
                                        ; implicit-def: $vgpr2
                                        ; implicit-def: $vgpr1
.LBB133_122:
	s_delay_alu instid0(SALU_CYCLE_1)
	s_and_not1_b32 vcc_lo, exec_lo, s33
	s_cbranch_vccnz .LBB133_125
; %bb.123:
	s_waitcnt lgkmcnt(0)
	v_mul_hi_u32 v0, s13, v18
	s_and_not1_b32 vcc_lo, exec_lo, s27
	s_delay_alu instid0(VALU_DEP_1) | instskip(NEXT) | instid1(VALU_DEP_1)
	v_add_nc_u32_e32 v0, v18, v0
	v_lshrrev_b32_e32 v3, s14, v0
	s_delay_alu instid0(VALU_DEP_1) | instskip(NEXT) | instid1(VALU_DEP_1)
	v_mul_lo_u32 v0, v3, s12
	v_sub_nc_u32_e32 v1, v18, v0
	s_delay_alu instid0(VALU_DEP_1)
	v_mul_lo_u32 v0, v1, s8
	v_mul_lo_u32 v2, v1, s9
	;; [unrolled: 1-line block ×3, first 2 shown]
	s_cbranch_vccnz .LBB133_125
; %bb.124:
	v_mul_hi_u32 v4, s18, v3
	s_delay_alu instid0(VALU_DEP_1) | instskip(NEXT) | instid1(VALU_DEP_1)
	v_add_nc_u32_e32 v4, v3, v4
	v_lshrrev_b32_e32 v4, s19, v4
	s_delay_alu instid0(VALU_DEP_1) | instskip(NEXT) | instid1(VALU_DEP_1)
	v_mul_lo_u32 v4, v4, s15
	v_sub_nc_u32_e32 v7, v3, v4
	s_delay_alu instid0(VALU_DEP_1) | instskip(NEXT) | instid1(VALU_DEP_1)
	v_mad_u64_u32 v[3:4], null, v7, s11, v[0:1]
	v_mad_u64_u32 v[4:5], null, v7, s16, v[2:3]
	;; [unrolled: 1-line block ×3, first 2 shown]
	v_mov_b32_e32 v0, v3
	s_delay_alu instid0(VALU_DEP_2)
	v_dual_mov_b32 v2, v4 :: v_dual_mov_b32 v1, v5
.LBB133_125:
	s_waitcnt lgkmcnt(0)
	global_load_u8 v1, v1, s[2:3]
	global_load_u16 v2, v2, s[6:7]
	v_add_nc_u32_e32 v18, 0x80, v18
	s_waitcnt vmcnt(1)
	v_cmp_ne_u16_e32 vcc_lo, 0, v1
	s_waitcnt vmcnt(0)
	v_cvt_f32_f16_e32 v2, v2
	v_cndmask_b32_e64 v1, 0, 1.0, vcc_lo
	s_delay_alu instid0(VALU_DEP_1) | instskip(NEXT) | instid1(VALU_DEP_1)
	v_mul_f32_e32 v1, v2, v1
	v_fma_mixlo_f16 v1, s26, v1, 0
	global_store_b16 v0, v1, s[4:5]
	s_or_b32 exec_lo, exec_lo, s31
	s_delay_alu instid0(SALU_CYCLE_1)
	s_mov_b32 s31, exec_lo
	v_cmpx_gt_i32_e64 s29, v18
	s_cbranch_execnz .LBB133_115
.LBB133_126:
	s_or_b32 exec_lo, exec_lo, s31
	s_delay_alu instid0(SALU_CYCLE_1)
	s_mov_b32 s31, exec_lo
	v_cmpx_gt_i32_e64 s29, v18
	s_cbranch_execz .LBB133_138
.LBB133_127:
	s_and_not1_b32 vcc_lo, exec_lo, s24
	s_cbranch_vccnz .LBB133_145
; %bb.128:
	v_dual_mov_b32 v0, 0 :: v_dual_mov_b32 v1, 0
	v_mov_b32_e32 v2, 0
	s_and_not1_b32 vcc_lo, exec_lo, s30
	s_mov_b32 s33, 0
	s_cbranch_vccnz .LBB133_146
; %bb.129:
	s_add_i32 s20, s28, 1
	v_dual_mov_b32 v1, 0 :: v_dual_mov_b32 v2, 0
	v_dual_mov_b32 v0, 0 :: v_dual_mov_b32 v3, v18
	s_and_b32 s34, s20, 30
	s_add_u32 s20, s0, 0xffffffec
	s_addc_u32 s21, s1, -1
	s_set_inst_prefetch_distance 0x1
	.p2align	6
.LBB133_130:                            ; =>This Inner Loop Header: Depth=1
	s_clause 0x2
	s_load_b128 s[36:39], s[20:21], 0x18
	s_load_b64 s[44:45], s[20:21], 0x28
	s_load_b128 s[40:43], s[20:21], 0xd8
	s_waitcnt lgkmcnt(0)
	v_mul_hi_u32 v4, s37, v3
	s_delay_alu instid0(VALU_DEP_1) | instskip(NEXT) | instid1(VALU_DEP_1)
	v_add_nc_u32_e32 v4, v3, v4
	v_lshrrev_b32_e32 v4, s38, v4
	s_delay_alu instid0(VALU_DEP_1)
	v_mul_hi_u32 v5, s44, v4
	v_mul_lo_u32 v6, v4, s36
	s_load_b64 s[36:37], s[20:21], 0xe8
	s_add_u32 s20, s20, 24
	s_addc_u32 s21, s21, 0
	s_add_i32 s34, s34, -2
	s_delay_alu instid0(SALU_CYCLE_1) | instskip(NEXT) | instid1(VALU_DEP_2)
	s_cmp_eq_u32 s34, 0
	v_add_nc_u32_e32 v5, v4, v5
	s_delay_alu instid0(VALU_DEP_2) | instskip(NEXT) | instid1(VALU_DEP_2)
	v_sub_nc_u32_e32 v6, v3, v6
	v_lshrrev_b32_e32 v3, s45, v5
	s_delay_alu instid0(VALU_DEP_2) | instskip(NEXT) | instid1(VALU_DEP_2)
	v_mul_lo_u32 v7, v6, s40
	v_mul_lo_u32 v5, v3, s39
	s_delay_alu instid0(VALU_DEP_1) | instskip(SKIP_2) | instid1(VALU_DEP_3)
	v_sub_nc_u32_e32 v4, v4, v5
	v_mul_lo_u32 v5, v6, s41
	v_mul_lo_u32 v6, v6, s42
	;; [unrolled: 1-line block ×3, first 2 shown]
	s_waitcnt lgkmcnt(0)
	v_mul_lo_u32 v9, v4, s36
	v_mul_lo_u32 v4, v4, s37
	s_delay_alu instid0(VALU_DEP_3) | instskip(NEXT) | instid1(VALU_DEP_3)
	v_add3_u32 v0, v7, v0, v8
	v_add3_u32 v2, v5, v2, v9
	s_delay_alu instid0(VALU_DEP_3)
	v_add3_u32 v1, v6, v1, v4
	s_cbranch_scc0 .LBB133_130
; %bb.131:
	s_set_inst_prefetch_distance 0x2
	s_bitcmp1_b32 s28, 0
	s_cselect_b32 s34, -1, 0
	s_delay_alu instid0(SALU_CYCLE_1)
	s_and_b32 vcc_lo, exec_lo, s34
	s_cbranch_vccnz .LBB133_146
; %bb.132:
	s_clause 0x3
	s_load_b64 s[34:35], s[20:21], 0x18
	s_load_b32 s38, s[20:21], 0x20
	s_load_b64 s[36:37], s[20:21], 0xd8
	s_load_b32 s20, s[20:21], 0xe0
	s_waitcnt lgkmcnt(0)
	v_mul_hi_u32 v4, s35, v3
	s_delay_alu instid0(VALU_DEP_1) | instskip(NEXT) | instid1(VALU_DEP_1)
	v_add_nc_u32_e32 v4, v3, v4
	v_lshrrev_b32_e32 v4, s38, v4
	s_delay_alu instid0(VALU_DEP_1) | instskip(NEXT) | instid1(VALU_DEP_1)
	v_mul_lo_u32 v4, v4, s34
	v_sub_nc_u32_e32 v7, v3, v4
	s_delay_alu instid0(VALU_DEP_1) | instskip(NEXT) | instid1(VALU_DEP_1)
	v_mad_u64_u32 v[3:4], null, v7, s36, v[0:1]
	v_mad_u64_u32 v[4:5], null, v7, s37, v[2:3]
	;; [unrolled: 1-line block ×3, first 2 shown]
	v_mov_b32_e32 v0, v3
	s_delay_alu instid0(VALU_DEP_2)
	v_dual_mov_b32 v2, v4 :: v_dual_mov_b32 v1, v5
	s_branch .LBB133_146
.LBB133_133:
	s_mov_b32 s33, -1
                                        ; implicit-def: $vgpr0
                                        ; implicit-def: $vgpr2
                                        ; implicit-def: $vgpr1
.LBB133_134:
	s_delay_alu instid0(SALU_CYCLE_1)
	s_and_not1_b32 vcc_lo, exec_lo, s33
	s_cbranch_vccnz .LBB133_137
; %bb.135:
	s_waitcnt lgkmcnt(0)
	v_mul_hi_u32 v0, s13, v18
	s_and_not1_b32 vcc_lo, exec_lo, s27
	s_delay_alu instid0(VALU_DEP_1) | instskip(NEXT) | instid1(VALU_DEP_1)
	v_add_nc_u32_e32 v0, v18, v0
	v_lshrrev_b32_e32 v3, s14, v0
	s_delay_alu instid0(VALU_DEP_1) | instskip(NEXT) | instid1(VALU_DEP_1)
	v_mul_lo_u32 v0, v3, s12
	v_sub_nc_u32_e32 v1, v18, v0
	s_delay_alu instid0(VALU_DEP_1)
	v_mul_lo_u32 v0, v1, s8
	v_mul_lo_u32 v2, v1, s9
	;; [unrolled: 1-line block ×3, first 2 shown]
	s_cbranch_vccnz .LBB133_137
; %bb.136:
	v_mul_hi_u32 v4, s18, v3
	s_delay_alu instid0(VALU_DEP_1) | instskip(NEXT) | instid1(VALU_DEP_1)
	v_add_nc_u32_e32 v4, v3, v4
	v_lshrrev_b32_e32 v4, s19, v4
	s_delay_alu instid0(VALU_DEP_1) | instskip(NEXT) | instid1(VALU_DEP_1)
	v_mul_lo_u32 v4, v4, s15
	v_sub_nc_u32_e32 v7, v3, v4
	s_delay_alu instid0(VALU_DEP_1) | instskip(NEXT) | instid1(VALU_DEP_1)
	v_mad_u64_u32 v[3:4], null, v7, s11, v[0:1]
	v_mad_u64_u32 v[4:5], null, v7, s16, v[2:3]
	;; [unrolled: 1-line block ×3, first 2 shown]
	v_mov_b32_e32 v0, v3
	s_delay_alu instid0(VALU_DEP_2)
	v_dual_mov_b32 v2, v4 :: v_dual_mov_b32 v1, v5
.LBB133_137:
	s_waitcnt lgkmcnt(0)
	global_load_u8 v1, v1, s[2:3]
	global_load_u16 v2, v2, s[6:7]
	v_add_nc_u32_e32 v18, 0x80, v18
	s_waitcnt vmcnt(1)
	v_cmp_ne_u16_e32 vcc_lo, 0, v1
	s_waitcnt vmcnt(0)
	v_cvt_f32_f16_e32 v2, v2
	v_cndmask_b32_e64 v1, 0, 1.0, vcc_lo
	s_delay_alu instid0(VALU_DEP_1) | instskip(NEXT) | instid1(VALU_DEP_1)
	v_mul_f32_e32 v1, v2, v1
	v_fma_mixlo_f16 v1, s26, v1, 0
	global_store_b16 v0, v1, s[4:5]
	s_or_b32 exec_lo, exec_lo, s31
	s_delay_alu instid0(SALU_CYCLE_1)
	s_mov_b32 s31, exec_lo
	v_cmpx_gt_i32_e64 s29, v18
	s_cbranch_execnz .LBB133_127
.LBB133_138:
	s_or_b32 exec_lo, exec_lo, s31
	s_delay_alu instid0(SALU_CYCLE_1)
	s_mov_b32 s31, exec_lo
	v_cmpx_gt_i32_e64 s29, v18
	s_cbranch_execz .LBB133_150
.LBB133_139:
	s_and_not1_b32 vcc_lo, exec_lo, s24
	s_cbranch_vccnz .LBB133_157
; %bb.140:
	v_dual_mov_b32 v0, 0 :: v_dual_mov_b32 v1, 0
	v_mov_b32_e32 v2, 0
	s_and_not1_b32 vcc_lo, exec_lo, s30
	s_mov_b32 s33, 0
	s_cbranch_vccnz .LBB133_158
; %bb.141:
	s_add_i32 s20, s28, 1
	v_dual_mov_b32 v1, 0 :: v_dual_mov_b32 v2, 0
	v_dual_mov_b32 v0, 0 :: v_dual_mov_b32 v3, v18
	s_and_b32 s34, s20, 30
	s_add_u32 s20, s0, 0xffffffec
	s_addc_u32 s21, s1, -1
	s_set_inst_prefetch_distance 0x1
	.p2align	6
.LBB133_142:                            ; =>This Inner Loop Header: Depth=1
	s_clause 0x2
	s_load_b128 s[36:39], s[20:21], 0x18
	s_load_b64 s[44:45], s[20:21], 0x28
	s_load_b128 s[40:43], s[20:21], 0xd8
	s_waitcnt lgkmcnt(0)
	v_mul_hi_u32 v4, s37, v3
	s_delay_alu instid0(VALU_DEP_1) | instskip(NEXT) | instid1(VALU_DEP_1)
	v_add_nc_u32_e32 v4, v3, v4
	v_lshrrev_b32_e32 v4, s38, v4
	s_delay_alu instid0(VALU_DEP_1)
	v_mul_hi_u32 v5, s44, v4
	v_mul_lo_u32 v6, v4, s36
	s_load_b64 s[36:37], s[20:21], 0xe8
	s_add_u32 s20, s20, 24
	s_addc_u32 s21, s21, 0
	s_add_i32 s34, s34, -2
	s_delay_alu instid0(SALU_CYCLE_1) | instskip(NEXT) | instid1(VALU_DEP_2)
	s_cmp_eq_u32 s34, 0
	v_add_nc_u32_e32 v5, v4, v5
	s_delay_alu instid0(VALU_DEP_2) | instskip(NEXT) | instid1(VALU_DEP_2)
	v_sub_nc_u32_e32 v6, v3, v6
	v_lshrrev_b32_e32 v3, s45, v5
	s_delay_alu instid0(VALU_DEP_2) | instskip(NEXT) | instid1(VALU_DEP_2)
	v_mul_lo_u32 v7, v6, s40
	v_mul_lo_u32 v5, v3, s39
	s_delay_alu instid0(VALU_DEP_1) | instskip(SKIP_2) | instid1(VALU_DEP_3)
	v_sub_nc_u32_e32 v4, v4, v5
	v_mul_lo_u32 v5, v6, s41
	v_mul_lo_u32 v6, v6, s42
	;; [unrolled: 1-line block ×3, first 2 shown]
	s_waitcnt lgkmcnt(0)
	v_mul_lo_u32 v9, v4, s36
	v_mul_lo_u32 v4, v4, s37
	s_delay_alu instid0(VALU_DEP_3) | instskip(NEXT) | instid1(VALU_DEP_3)
	v_add3_u32 v0, v7, v0, v8
	v_add3_u32 v2, v5, v2, v9
	s_delay_alu instid0(VALU_DEP_3)
	v_add3_u32 v1, v6, v1, v4
	s_cbranch_scc0 .LBB133_142
; %bb.143:
	s_set_inst_prefetch_distance 0x2
	s_bitcmp1_b32 s28, 0
	s_cselect_b32 s34, -1, 0
	s_delay_alu instid0(SALU_CYCLE_1)
	s_and_b32 vcc_lo, exec_lo, s34
	s_cbranch_vccnz .LBB133_158
; %bb.144:
	s_clause 0x3
	s_load_b64 s[34:35], s[20:21], 0x18
	s_load_b32 s38, s[20:21], 0x20
	s_load_b64 s[36:37], s[20:21], 0xd8
	s_load_b32 s20, s[20:21], 0xe0
	s_waitcnt lgkmcnt(0)
	v_mul_hi_u32 v4, s35, v3
	s_delay_alu instid0(VALU_DEP_1) | instskip(NEXT) | instid1(VALU_DEP_1)
	v_add_nc_u32_e32 v4, v3, v4
	v_lshrrev_b32_e32 v4, s38, v4
	s_delay_alu instid0(VALU_DEP_1) | instskip(NEXT) | instid1(VALU_DEP_1)
	v_mul_lo_u32 v4, v4, s34
	v_sub_nc_u32_e32 v7, v3, v4
	s_delay_alu instid0(VALU_DEP_1) | instskip(NEXT) | instid1(VALU_DEP_1)
	v_mad_u64_u32 v[3:4], null, v7, s36, v[0:1]
	v_mad_u64_u32 v[4:5], null, v7, s37, v[2:3]
	;; [unrolled: 1-line block ×3, first 2 shown]
	v_mov_b32_e32 v0, v3
	s_delay_alu instid0(VALU_DEP_2)
	v_dual_mov_b32 v2, v4 :: v_dual_mov_b32 v1, v5
	s_branch .LBB133_158
.LBB133_145:
	s_mov_b32 s33, -1
                                        ; implicit-def: $vgpr0
                                        ; implicit-def: $vgpr2
                                        ; implicit-def: $vgpr1
.LBB133_146:
	s_delay_alu instid0(SALU_CYCLE_1)
	s_and_not1_b32 vcc_lo, exec_lo, s33
	s_cbranch_vccnz .LBB133_149
; %bb.147:
	s_waitcnt lgkmcnt(0)
	v_mul_hi_u32 v0, s13, v18
	s_and_not1_b32 vcc_lo, exec_lo, s27
	s_delay_alu instid0(VALU_DEP_1) | instskip(NEXT) | instid1(VALU_DEP_1)
	v_add_nc_u32_e32 v0, v18, v0
	v_lshrrev_b32_e32 v3, s14, v0
	s_delay_alu instid0(VALU_DEP_1) | instskip(NEXT) | instid1(VALU_DEP_1)
	v_mul_lo_u32 v0, v3, s12
	v_sub_nc_u32_e32 v1, v18, v0
	s_delay_alu instid0(VALU_DEP_1)
	v_mul_lo_u32 v0, v1, s8
	v_mul_lo_u32 v2, v1, s9
	;; [unrolled: 1-line block ×3, first 2 shown]
	s_cbranch_vccnz .LBB133_149
; %bb.148:
	v_mul_hi_u32 v4, s18, v3
	s_delay_alu instid0(VALU_DEP_1) | instskip(NEXT) | instid1(VALU_DEP_1)
	v_add_nc_u32_e32 v4, v3, v4
	v_lshrrev_b32_e32 v4, s19, v4
	s_delay_alu instid0(VALU_DEP_1) | instskip(NEXT) | instid1(VALU_DEP_1)
	v_mul_lo_u32 v4, v4, s15
	v_sub_nc_u32_e32 v7, v3, v4
	s_delay_alu instid0(VALU_DEP_1) | instskip(NEXT) | instid1(VALU_DEP_1)
	v_mad_u64_u32 v[3:4], null, v7, s11, v[0:1]
	v_mad_u64_u32 v[4:5], null, v7, s16, v[2:3]
	;; [unrolled: 1-line block ×3, first 2 shown]
	v_mov_b32_e32 v0, v3
	s_delay_alu instid0(VALU_DEP_2)
	v_dual_mov_b32 v2, v4 :: v_dual_mov_b32 v1, v5
.LBB133_149:
	s_waitcnt lgkmcnt(0)
	global_load_u8 v1, v1, s[2:3]
	global_load_u16 v2, v2, s[6:7]
	v_add_nc_u32_e32 v18, 0x80, v18
	s_waitcnt vmcnt(1)
	v_cmp_ne_u16_e32 vcc_lo, 0, v1
	s_waitcnt vmcnt(0)
	v_cvt_f32_f16_e32 v2, v2
	v_cndmask_b32_e64 v1, 0, 1.0, vcc_lo
	s_delay_alu instid0(VALU_DEP_1) | instskip(NEXT) | instid1(VALU_DEP_1)
	v_mul_f32_e32 v1, v2, v1
	v_fma_mixlo_f16 v1, s26, v1, 0
	global_store_b16 v0, v1, s[4:5]
	s_or_b32 exec_lo, exec_lo, s31
	s_delay_alu instid0(SALU_CYCLE_1)
	s_mov_b32 s31, exec_lo
	v_cmpx_gt_i32_e64 s29, v18
	s_cbranch_execnz .LBB133_139
.LBB133_150:
	s_or_b32 exec_lo, exec_lo, s31
	s_delay_alu instid0(SALU_CYCLE_1)
	s_mov_b32 s31, exec_lo
	v_cmpx_gt_i32_e64 s29, v18
	s_cbranch_execz .LBB133_162
.LBB133_151:
	s_and_not1_b32 vcc_lo, exec_lo, s24
	s_cbranch_vccnz .LBB133_165
; %bb.152:
	v_dual_mov_b32 v0, 0 :: v_dual_mov_b32 v1, 0
	v_mov_b32_e32 v2, 0
	s_and_not1_b32 vcc_lo, exec_lo, s30
	s_mov_b32 s33, 0
	s_cbranch_vccnz .LBB133_166
; %bb.153:
	s_add_i32 s20, s28, 1
	v_dual_mov_b32 v1, 0 :: v_dual_mov_b32 v2, 0
	v_dual_mov_b32 v0, 0 :: v_dual_mov_b32 v3, v18
	s_and_b32 s34, s20, 30
	s_add_u32 s20, s0, 0xffffffec
	s_addc_u32 s21, s1, -1
	s_set_inst_prefetch_distance 0x1
	.p2align	6
.LBB133_154:                            ; =>This Inner Loop Header: Depth=1
	s_clause 0x2
	s_load_b128 s[36:39], s[20:21], 0x18
	s_load_b64 s[44:45], s[20:21], 0x28
	s_load_b128 s[40:43], s[20:21], 0xd8
	s_waitcnt lgkmcnt(0)
	v_mul_hi_u32 v4, s37, v3
	s_delay_alu instid0(VALU_DEP_1) | instskip(NEXT) | instid1(VALU_DEP_1)
	v_add_nc_u32_e32 v4, v3, v4
	v_lshrrev_b32_e32 v4, s38, v4
	s_delay_alu instid0(VALU_DEP_1)
	v_mul_hi_u32 v5, s44, v4
	v_mul_lo_u32 v6, v4, s36
	s_load_b64 s[36:37], s[20:21], 0xe8
	s_add_u32 s20, s20, 24
	s_addc_u32 s21, s21, 0
	s_add_i32 s34, s34, -2
	s_delay_alu instid0(SALU_CYCLE_1) | instskip(NEXT) | instid1(VALU_DEP_2)
	s_cmp_eq_u32 s34, 0
	v_add_nc_u32_e32 v5, v4, v5
	s_delay_alu instid0(VALU_DEP_2) | instskip(NEXT) | instid1(VALU_DEP_2)
	v_sub_nc_u32_e32 v6, v3, v6
	v_lshrrev_b32_e32 v3, s45, v5
	s_delay_alu instid0(VALU_DEP_2) | instskip(NEXT) | instid1(VALU_DEP_2)
	v_mul_lo_u32 v7, v6, s40
	v_mul_lo_u32 v5, v3, s39
	s_delay_alu instid0(VALU_DEP_1) | instskip(SKIP_2) | instid1(VALU_DEP_3)
	v_sub_nc_u32_e32 v4, v4, v5
	v_mul_lo_u32 v5, v6, s41
	v_mul_lo_u32 v6, v6, s42
	;; [unrolled: 1-line block ×3, first 2 shown]
	s_waitcnt lgkmcnt(0)
	v_mul_lo_u32 v9, v4, s36
	v_mul_lo_u32 v4, v4, s37
	s_delay_alu instid0(VALU_DEP_3) | instskip(NEXT) | instid1(VALU_DEP_3)
	v_add3_u32 v0, v7, v0, v8
	v_add3_u32 v2, v5, v2, v9
	s_delay_alu instid0(VALU_DEP_3)
	v_add3_u32 v1, v6, v1, v4
	s_cbranch_scc0 .LBB133_154
; %bb.155:
	s_set_inst_prefetch_distance 0x2
	s_bitcmp1_b32 s28, 0
	s_cselect_b32 s34, -1, 0
	s_delay_alu instid0(SALU_CYCLE_1)
	s_and_b32 vcc_lo, exec_lo, s34
	s_cbranch_vccnz .LBB133_166
; %bb.156:
	s_clause 0x3
	s_load_b64 s[34:35], s[20:21], 0x18
	s_load_b32 s38, s[20:21], 0x20
	s_load_b64 s[36:37], s[20:21], 0xd8
	s_load_b32 s20, s[20:21], 0xe0
	s_waitcnt lgkmcnt(0)
	v_mul_hi_u32 v4, s35, v3
	s_delay_alu instid0(VALU_DEP_1) | instskip(NEXT) | instid1(VALU_DEP_1)
	v_add_nc_u32_e32 v4, v3, v4
	v_lshrrev_b32_e32 v4, s38, v4
	s_delay_alu instid0(VALU_DEP_1) | instskip(NEXT) | instid1(VALU_DEP_1)
	v_mul_lo_u32 v4, v4, s34
	v_sub_nc_u32_e32 v7, v3, v4
	s_delay_alu instid0(VALU_DEP_1) | instskip(NEXT) | instid1(VALU_DEP_1)
	v_mad_u64_u32 v[3:4], null, v7, s36, v[0:1]
	v_mad_u64_u32 v[4:5], null, v7, s37, v[2:3]
	;; [unrolled: 1-line block ×3, first 2 shown]
	v_mov_b32_e32 v0, v3
	s_delay_alu instid0(VALU_DEP_2)
	v_dual_mov_b32 v2, v4 :: v_dual_mov_b32 v1, v5
	s_branch .LBB133_166
.LBB133_157:
	s_mov_b32 s33, -1
                                        ; implicit-def: $vgpr0
                                        ; implicit-def: $vgpr2
                                        ; implicit-def: $vgpr1
.LBB133_158:
	s_delay_alu instid0(SALU_CYCLE_1)
	s_and_not1_b32 vcc_lo, exec_lo, s33
	s_cbranch_vccnz .LBB133_161
; %bb.159:
	s_waitcnt lgkmcnt(0)
	v_mul_hi_u32 v0, s13, v18
	s_and_not1_b32 vcc_lo, exec_lo, s27
	s_delay_alu instid0(VALU_DEP_1) | instskip(NEXT) | instid1(VALU_DEP_1)
	v_add_nc_u32_e32 v0, v18, v0
	v_lshrrev_b32_e32 v3, s14, v0
	s_delay_alu instid0(VALU_DEP_1) | instskip(NEXT) | instid1(VALU_DEP_1)
	v_mul_lo_u32 v0, v3, s12
	v_sub_nc_u32_e32 v1, v18, v0
	s_delay_alu instid0(VALU_DEP_1)
	v_mul_lo_u32 v0, v1, s8
	v_mul_lo_u32 v2, v1, s9
	;; [unrolled: 1-line block ×3, first 2 shown]
	s_cbranch_vccnz .LBB133_161
; %bb.160:
	v_mul_hi_u32 v4, s18, v3
	s_delay_alu instid0(VALU_DEP_1) | instskip(NEXT) | instid1(VALU_DEP_1)
	v_add_nc_u32_e32 v4, v3, v4
	v_lshrrev_b32_e32 v4, s19, v4
	s_delay_alu instid0(VALU_DEP_1) | instskip(NEXT) | instid1(VALU_DEP_1)
	v_mul_lo_u32 v4, v4, s15
	v_sub_nc_u32_e32 v7, v3, v4
	s_delay_alu instid0(VALU_DEP_1) | instskip(NEXT) | instid1(VALU_DEP_1)
	v_mad_u64_u32 v[3:4], null, v7, s11, v[0:1]
	v_mad_u64_u32 v[4:5], null, v7, s16, v[2:3]
	;; [unrolled: 1-line block ×3, first 2 shown]
	v_mov_b32_e32 v0, v3
	s_delay_alu instid0(VALU_DEP_2)
	v_dual_mov_b32 v2, v4 :: v_dual_mov_b32 v1, v5
.LBB133_161:
	s_waitcnt lgkmcnt(0)
	global_load_u8 v1, v1, s[2:3]
	global_load_u16 v2, v2, s[6:7]
	v_add_nc_u32_e32 v18, 0x80, v18
	s_waitcnt vmcnt(1)
	v_cmp_ne_u16_e32 vcc_lo, 0, v1
	s_waitcnt vmcnt(0)
	v_cvt_f32_f16_e32 v2, v2
	v_cndmask_b32_e64 v1, 0, 1.0, vcc_lo
	s_delay_alu instid0(VALU_DEP_1) | instskip(NEXT) | instid1(VALU_DEP_1)
	v_mul_f32_e32 v1, v2, v1
	v_fma_mixlo_f16 v1, s26, v1, 0
	global_store_b16 v0, v1, s[4:5]
	s_or_b32 exec_lo, exec_lo, s31
	s_delay_alu instid0(SALU_CYCLE_1)
	s_mov_b32 s31, exec_lo
	v_cmpx_gt_i32_e64 s29, v18
	s_cbranch_execnz .LBB133_151
.LBB133_162:
	s_or_b32 exec_lo, exec_lo, s31
	v_cmp_gt_i32_e32 vcc_lo, s29, v18
	s_and_saveexec_b32 s29, vcc_lo
	s_cbranch_execnz .LBB133_170
.LBB133_163:
	s_or_b32 exec_lo, exec_lo, s29
                                        ; implicit-def: $vgpr24
                                        ; implicit-def: $vgpr18
	s_waitcnt lgkmcnt(0)
	s_and_not1_saveexec_b32 s2, s25
	s_cbranch_execnz .LBB133_9
.LBB133_164:
	s_nop 0
	s_sendmsg sendmsg(MSG_DEALLOC_VGPRS)
	s_endpgm
.LBB133_165:
	s_mov_b32 s33, -1
                                        ; implicit-def: $vgpr0
                                        ; implicit-def: $vgpr2
                                        ; implicit-def: $vgpr1
.LBB133_166:
	s_delay_alu instid0(SALU_CYCLE_1)
	s_and_not1_b32 vcc_lo, exec_lo, s33
	s_cbranch_vccnz .LBB133_169
; %bb.167:
	s_waitcnt lgkmcnt(0)
	v_mul_hi_u32 v0, s13, v18
	s_and_not1_b32 vcc_lo, exec_lo, s27
	s_delay_alu instid0(VALU_DEP_1) | instskip(NEXT) | instid1(VALU_DEP_1)
	v_add_nc_u32_e32 v0, v18, v0
	v_lshrrev_b32_e32 v3, s14, v0
	s_delay_alu instid0(VALU_DEP_1) | instskip(NEXT) | instid1(VALU_DEP_1)
	v_mul_lo_u32 v0, v3, s12
	v_sub_nc_u32_e32 v1, v18, v0
	s_delay_alu instid0(VALU_DEP_1)
	v_mul_lo_u32 v0, v1, s8
	v_mul_lo_u32 v2, v1, s9
	;; [unrolled: 1-line block ×3, first 2 shown]
	s_cbranch_vccnz .LBB133_169
; %bb.168:
	v_mul_hi_u32 v4, s18, v3
	s_delay_alu instid0(VALU_DEP_1) | instskip(NEXT) | instid1(VALU_DEP_1)
	v_add_nc_u32_e32 v4, v3, v4
	v_lshrrev_b32_e32 v4, s19, v4
	s_delay_alu instid0(VALU_DEP_1) | instskip(NEXT) | instid1(VALU_DEP_1)
	v_mul_lo_u32 v4, v4, s15
	v_sub_nc_u32_e32 v7, v3, v4
	s_delay_alu instid0(VALU_DEP_1) | instskip(NEXT) | instid1(VALU_DEP_1)
	v_mad_u64_u32 v[3:4], null, v7, s11, v[0:1]
	v_mad_u64_u32 v[4:5], null, v7, s16, v[2:3]
	;; [unrolled: 1-line block ×3, first 2 shown]
	v_mov_b32_e32 v0, v3
	s_delay_alu instid0(VALU_DEP_2)
	v_dual_mov_b32 v2, v4 :: v_dual_mov_b32 v1, v5
.LBB133_169:
	s_waitcnt lgkmcnt(0)
	global_load_u8 v1, v1, s[2:3]
	global_load_u16 v2, v2, s[6:7]
	v_add_nc_u32_e32 v18, 0x80, v18
	s_waitcnt vmcnt(1)
	v_cmp_ne_u16_e32 vcc_lo, 0, v1
	s_waitcnt vmcnt(0)
	v_cvt_f32_f16_e32 v2, v2
	v_cndmask_b32_e64 v1, 0, 1.0, vcc_lo
	s_delay_alu instid0(VALU_DEP_1) | instskip(NEXT) | instid1(VALU_DEP_1)
	v_mul_f32_e32 v1, v2, v1
	v_fma_mixlo_f16 v1, s26, v1, 0
	global_store_b16 v0, v1, s[4:5]
	s_or_b32 exec_lo, exec_lo, s31
	v_cmp_gt_i32_e32 vcc_lo, s29, v18
	s_and_saveexec_b32 s29, vcc_lo
	s_cbranch_execz .LBB133_163
.LBB133_170:
	s_and_not1_b32 vcc_lo, exec_lo, s24
	s_cbranch_vccnz .LBB133_176
; %bb.171:
	v_dual_mov_b32 v0, 0 :: v_dual_mov_b32 v1, 0
	v_mov_b32_e32 v2, 0
	s_and_not1_b32 vcc_lo, exec_lo, s30
	s_mov_b32 s30, 0
	s_cbranch_vccnz .LBB133_177
; %bb.172:
	s_add_i32 s20, s28, 1
	v_dual_mov_b32 v1, 0 :: v_dual_mov_b32 v2, 0
	v_dual_mov_b32 v0, 0 :: v_dual_mov_b32 v3, v18
	s_and_b32 s31, s20, 30
	s_add_u32 s20, s0, 0xffffffec
	s_addc_u32 s21, s1, -1
	s_set_inst_prefetch_distance 0x1
	.p2align	6
.LBB133_173:                            ; =>This Inner Loop Header: Depth=1
	s_clause 0x2
	s_load_b128 s[36:39], s[20:21], 0x18
	s_load_b64 s[34:35], s[20:21], 0x28
	s_load_b128 s[40:43], s[20:21], 0xd8
	s_waitcnt lgkmcnt(0)
	v_mul_hi_u32 v4, s37, v3
	s_delay_alu instid0(VALU_DEP_1) | instskip(NEXT) | instid1(VALU_DEP_1)
	v_add_nc_u32_e32 v4, v3, v4
	v_lshrrev_b32_e32 v4, s38, v4
	s_delay_alu instid0(VALU_DEP_1)
	v_mul_hi_u32 v5, s34, v4
	v_mul_lo_u32 v6, v4, s36
	s_load_b64 s[36:37], s[20:21], 0xe8
	s_add_u32 s20, s20, 24
	s_addc_u32 s21, s21, 0
	s_add_i32 s31, s31, -2
	s_delay_alu instid0(SALU_CYCLE_1) | instskip(NEXT) | instid1(VALU_DEP_2)
	s_cmp_eq_u32 s31, 0
	v_add_nc_u32_e32 v5, v4, v5
	s_delay_alu instid0(VALU_DEP_2) | instskip(NEXT) | instid1(VALU_DEP_2)
	v_sub_nc_u32_e32 v6, v3, v6
	v_lshrrev_b32_e32 v3, s35, v5
	s_delay_alu instid0(VALU_DEP_2) | instskip(NEXT) | instid1(VALU_DEP_2)
	v_mul_lo_u32 v7, v6, s40
	v_mul_lo_u32 v5, v3, s39
	s_delay_alu instid0(VALU_DEP_1) | instskip(SKIP_2) | instid1(VALU_DEP_3)
	v_sub_nc_u32_e32 v4, v4, v5
	v_mul_lo_u32 v5, v6, s41
	v_mul_lo_u32 v6, v6, s42
	v_mul_lo_u32 v8, v4, s43
	s_waitcnt lgkmcnt(0)
	v_mul_lo_u32 v9, v4, s36
	v_mul_lo_u32 v4, v4, s37
	s_delay_alu instid0(VALU_DEP_3) | instskip(NEXT) | instid1(VALU_DEP_3)
	v_add3_u32 v0, v7, v0, v8
	v_add3_u32 v2, v5, v2, v9
	s_delay_alu instid0(VALU_DEP_3)
	v_add3_u32 v1, v6, v1, v4
	s_cbranch_scc0 .LBB133_173
; %bb.174:
	s_set_inst_prefetch_distance 0x2
	s_bitcmp1_b32 s28, 0
	s_cselect_b32 s28, -1, 0
	s_delay_alu instid0(SALU_CYCLE_1)
	s_and_b32 vcc_lo, exec_lo, s28
	s_cbranch_vccnz .LBB133_177
; %bb.175:
	s_clause 0x3
	s_load_b64 s[34:35], s[20:21], 0x18
	s_load_b32 s28, s[20:21], 0x20
	s_load_b64 s[36:37], s[20:21], 0xd8
	s_load_b32 s20, s[20:21], 0xe0
	s_waitcnt lgkmcnt(0)
	v_mul_hi_u32 v4, s35, v3
	s_delay_alu instid0(VALU_DEP_1) | instskip(NEXT) | instid1(VALU_DEP_1)
	v_add_nc_u32_e32 v4, v3, v4
	v_lshrrev_b32_e32 v4, s28, v4
	s_delay_alu instid0(VALU_DEP_1) | instskip(NEXT) | instid1(VALU_DEP_1)
	v_mul_lo_u32 v4, v4, s34
	v_sub_nc_u32_e32 v7, v3, v4
	s_delay_alu instid0(VALU_DEP_1) | instskip(NEXT) | instid1(VALU_DEP_1)
	v_mad_u64_u32 v[3:4], null, v7, s36, v[0:1]
	v_mad_u64_u32 v[4:5], null, v7, s37, v[2:3]
	;; [unrolled: 1-line block ×3, first 2 shown]
	v_mov_b32_e32 v0, v3
	s_delay_alu instid0(VALU_DEP_2)
	v_dual_mov_b32 v2, v4 :: v_dual_mov_b32 v1, v5
	s_branch .LBB133_177
.LBB133_176:
	s_mov_b32 s30, -1
                                        ; implicit-def: $vgpr0
                                        ; implicit-def: $vgpr2
                                        ; implicit-def: $vgpr1
.LBB133_177:
	s_delay_alu instid0(SALU_CYCLE_1)
	s_and_not1_b32 vcc_lo, exec_lo, s30
	s_cbranch_vccnz .LBB133_180
; %bb.178:
	s_waitcnt lgkmcnt(0)
	v_mul_hi_u32 v0, s13, v18
	s_and_not1_b32 vcc_lo, exec_lo, s27
	s_delay_alu instid0(VALU_DEP_1) | instskip(NEXT) | instid1(VALU_DEP_1)
	v_add_nc_u32_e32 v0, v18, v0
	v_lshrrev_b32_e32 v3, s14, v0
	s_delay_alu instid0(VALU_DEP_1) | instskip(NEXT) | instid1(VALU_DEP_1)
	v_mul_lo_u32 v0, v3, s12
	v_sub_nc_u32_e32 v1, v18, v0
	s_delay_alu instid0(VALU_DEP_1)
	v_mul_lo_u32 v0, v1, s8
	v_mul_lo_u32 v2, v1, s9
	;; [unrolled: 1-line block ×3, first 2 shown]
	s_cbranch_vccnz .LBB133_180
; %bb.179:
	v_mul_hi_u32 v4, s18, v3
	s_delay_alu instid0(VALU_DEP_1) | instskip(NEXT) | instid1(VALU_DEP_1)
	v_add_nc_u32_e32 v4, v3, v4
	v_lshrrev_b32_e32 v4, s19, v4
	s_delay_alu instid0(VALU_DEP_1) | instskip(NEXT) | instid1(VALU_DEP_1)
	v_mul_lo_u32 v4, v4, s15
	v_sub_nc_u32_e32 v7, v3, v4
	s_delay_alu instid0(VALU_DEP_1) | instskip(NEXT) | instid1(VALU_DEP_1)
	v_mad_u64_u32 v[3:4], null, v7, s11, v[0:1]
	v_mad_u64_u32 v[4:5], null, v7, s16, v[2:3]
	;; [unrolled: 1-line block ×3, first 2 shown]
	v_mov_b32_e32 v0, v3
	s_delay_alu instid0(VALU_DEP_2)
	v_dual_mov_b32 v2, v4 :: v_dual_mov_b32 v1, v5
.LBB133_180:
	s_waitcnt lgkmcnt(0)
	global_load_u8 v1, v1, s[2:3]
	global_load_u16 v2, v2, s[6:7]
	s_waitcnt vmcnt(1)
	v_cmp_ne_u16_e32 vcc_lo, 0, v1
	s_waitcnt vmcnt(0)
	v_cvt_f32_f16_e32 v2, v2
	v_cndmask_b32_e64 v1, 0, 1.0, vcc_lo
	s_delay_alu instid0(VALU_DEP_1) | instskip(NEXT) | instid1(VALU_DEP_1)
	v_mul_f32_e32 v1, v2, v1
	v_fma_mixlo_f16 v1, s26, v1, 0
	global_store_b16 v0, v1, s[4:5]
	s_or_b32 exec_lo, exec_lo, s29
                                        ; implicit-def: $vgpr24
                                        ; implicit-def: $vgpr18
	s_and_not1_saveexec_b32 s2, s25
	s_cbranch_execz .LBB133_164
	s_branch .LBB133_9
	.section	.rodata,"a",@progbits
	.p2align	6, 0x0
	.amdhsa_kernel _ZN2at6native32elementwise_kernel_manual_unrollILi128ELi8EZNS0_22gpu_kernel_impl_nocastIZNS0_12_GLOBAL__N_119masked_scale_kernelIbN3c104HalfEfEEvRNS_6TensorERKS7_SA_T1_EUlS6_bE_EEvRNS_18TensorIteratorBaseERKT_EUlibE_EEviSB_
		.amdhsa_group_segment_fixed_size 0
		.amdhsa_private_segment_fixed_size 0
		.amdhsa_kernarg_size 432
		.amdhsa_user_sgpr_count 15
		.amdhsa_user_sgpr_dispatch_ptr 0
		.amdhsa_user_sgpr_queue_ptr 0
		.amdhsa_user_sgpr_kernarg_segment_ptr 1
		.amdhsa_user_sgpr_dispatch_id 0
		.amdhsa_user_sgpr_private_segment_size 0
		.amdhsa_wavefront_size32 1
		.amdhsa_uses_dynamic_stack 0
		.amdhsa_enable_private_segment 0
		.amdhsa_system_sgpr_workgroup_id_x 1
		.amdhsa_system_sgpr_workgroup_id_y 0
		.amdhsa_system_sgpr_workgroup_id_z 0
		.amdhsa_system_sgpr_workgroup_info 0
		.amdhsa_system_vgpr_workitem_id 0
		.amdhsa_next_free_vgpr 32
		.amdhsa_next_free_sgpr 46
		.amdhsa_reserve_vcc 1
		.amdhsa_float_round_mode_32 0
		.amdhsa_float_round_mode_16_64 0
		.amdhsa_float_denorm_mode_32 3
		.amdhsa_float_denorm_mode_16_64 3
		.amdhsa_dx10_clamp 1
		.amdhsa_ieee_mode 1
		.amdhsa_fp16_overflow 0
		.amdhsa_workgroup_processor_mode 1
		.amdhsa_memory_ordered 1
		.amdhsa_forward_progress 0
		.amdhsa_shared_vgpr_count 0
		.amdhsa_exception_fp_ieee_invalid_op 0
		.amdhsa_exception_fp_denorm_src 0
		.amdhsa_exception_fp_ieee_div_zero 0
		.amdhsa_exception_fp_ieee_overflow 0
		.amdhsa_exception_fp_ieee_underflow 0
		.amdhsa_exception_fp_ieee_inexact 0
		.amdhsa_exception_int_div_zero 0
	.end_amdhsa_kernel
	.section	.text._ZN2at6native32elementwise_kernel_manual_unrollILi128ELi8EZNS0_22gpu_kernel_impl_nocastIZNS0_12_GLOBAL__N_119masked_scale_kernelIbN3c104HalfEfEEvRNS_6TensorERKS7_SA_T1_EUlS6_bE_EEvRNS_18TensorIteratorBaseERKT_EUlibE_EEviSB_,"axG",@progbits,_ZN2at6native32elementwise_kernel_manual_unrollILi128ELi8EZNS0_22gpu_kernel_impl_nocastIZNS0_12_GLOBAL__N_119masked_scale_kernelIbN3c104HalfEfEEvRNS_6TensorERKS7_SA_T1_EUlS6_bE_EEvRNS_18TensorIteratorBaseERKT_EUlibE_EEviSB_,comdat
.Lfunc_end133:
	.size	_ZN2at6native32elementwise_kernel_manual_unrollILi128ELi8EZNS0_22gpu_kernel_impl_nocastIZNS0_12_GLOBAL__N_119masked_scale_kernelIbN3c104HalfEfEEvRNS_6TensorERKS7_SA_T1_EUlS6_bE_EEvRNS_18TensorIteratorBaseERKT_EUlibE_EEviSB_, .Lfunc_end133-_ZN2at6native32elementwise_kernel_manual_unrollILi128ELi8EZNS0_22gpu_kernel_impl_nocastIZNS0_12_GLOBAL__N_119masked_scale_kernelIbN3c104HalfEfEEvRNS_6TensorERKS7_SA_T1_EUlS6_bE_EEvRNS_18TensorIteratorBaseERKT_EUlibE_EEviSB_
                                        ; -- End function
	.section	.AMDGPU.csdata,"",@progbits
; Kernel info:
; codeLenInByte = 11968
; NumSgprs: 48
; NumVgprs: 32
; ScratchSize: 0
; MemoryBound: 0
; FloatMode: 240
; IeeeMode: 1
; LDSByteSize: 0 bytes/workgroup (compile time only)
; SGPRBlocks: 5
; VGPRBlocks: 3
; NumSGPRsForWavesPerEU: 48
; NumVGPRsForWavesPerEU: 32
; Occupancy: 16
; WaveLimiterHint : 1
; COMPUTE_PGM_RSRC2:SCRATCH_EN: 0
; COMPUTE_PGM_RSRC2:USER_SGPR: 15
; COMPUTE_PGM_RSRC2:TRAP_HANDLER: 0
; COMPUTE_PGM_RSRC2:TGID_X_EN: 1
; COMPUTE_PGM_RSRC2:TGID_Y_EN: 0
; COMPUTE_PGM_RSRC2:TGID_Z_EN: 0
; COMPUTE_PGM_RSRC2:TIDIG_COMP_CNT: 0
	.section	.text._ZN2at6native32elementwise_kernel_manual_unrollILi128ELi4EZNS0_15gpu_kernel_implIZNS0_12_GLOBAL__N_119masked_scale_kernelIbN3c104HalfEfEEvRNS_6TensorERKS7_SA_T1_EUlS6_bE_EEvRNS_18TensorIteratorBaseERKT_EUlibE_EEviSB_,"axG",@progbits,_ZN2at6native32elementwise_kernel_manual_unrollILi128ELi4EZNS0_15gpu_kernel_implIZNS0_12_GLOBAL__N_119masked_scale_kernelIbN3c104HalfEfEEvRNS_6TensorERKS7_SA_T1_EUlS6_bE_EEvRNS_18TensorIteratorBaseERKT_EUlibE_EEviSB_,comdat
	.globl	_ZN2at6native32elementwise_kernel_manual_unrollILi128ELi4EZNS0_15gpu_kernel_implIZNS0_12_GLOBAL__N_119masked_scale_kernelIbN3c104HalfEfEEvRNS_6TensorERKS7_SA_T1_EUlS6_bE_EEvRNS_18TensorIteratorBaseERKT_EUlibE_EEviSB_ ; -- Begin function _ZN2at6native32elementwise_kernel_manual_unrollILi128ELi4EZNS0_15gpu_kernel_implIZNS0_12_GLOBAL__N_119masked_scale_kernelIbN3c104HalfEfEEvRNS_6TensorERKS7_SA_T1_EUlS6_bE_EEvRNS_18TensorIteratorBaseERKT_EUlibE_EEviSB_
	.p2align	8
	.type	_ZN2at6native32elementwise_kernel_manual_unrollILi128ELi4EZNS0_15gpu_kernel_implIZNS0_12_GLOBAL__N_119masked_scale_kernelIbN3c104HalfEfEEvRNS_6TensorERKS7_SA_T1_EUlS6_bE_EEvRNS_18TensorIteratorBaseERKT_EUlibE_EEviSB_,@function
_ZN2at6native32elementwise_kernel_manual_unrollILi128ELi4EZNS0_15gpu_kernel_implIZNS0_12_GLOBAL__N_119masked_scale_kernelIbN3c104HalfEfEEvRNS_6TensorERKS7_SA_T1_EUlS6_bE_EEvRNS_18TensorIteratorBaseERKT_EUlibE_EEviSB_: ; @_ZN2at6native32elementwise_kernel_manual_unrollILi128ELi4EZNS0_15gpu_kernel_implIZNS0_12_GLOBAL__N_119masked_scale_kernelIbN3c104HalfEfEEvRNS_6TensorERKS7_SA_T1_EUlS6_bE_EEvRNS_18TensorIteratorBaseERKT_EUlibE_EEviSB_
; %bb.0:
	s_clause 0x4
	s_load_b32 s12, s[0:1], 0x30
	s_load_b32 s17, s[0:1], 0x0
	s_load_b128 s[4:7], s[0:1], 0x8
	s_load_b64 s[2:3], s[0:1], 0x18
	s_load_b128 s[8:11], s[0:1], 0x20
	v_lshl_or_b32 v2, s15, 9, v0
	s_mov_b32 s13, 0
	s_mov_b32 s16, 0
	s_mov_b32 s0, exec_lo
	s_delay_alu instid0(VALU_DEP_1) | instskip(SKIP_3) | instid1(VALU_DEP_1)
	v_or_b32_e32 v0, 0x180, v2
	s_waitcnt lgkmcnt(0)
	s_lshr_b32 s14, s12, 8
	s_lshr_b32 s1, s12, 16
	v_cmpx_le_i32_e64 s17, v0
	s_xor_b32 s15, exec_lo, s0
	s_cbranch_execz .LBB134_1544
; %bb.1:
	s_mov_b32 s23, -1
	s_mov_b32 s21, 0
	s_mov_b32 s19, 0
	;; [unrolled: 1-line block ×3, first 2 shown]
	s_mov_b32 s20, exec_lo
	v_cmpx_gt_i32_e64 s17, v2
	s_cbranch_execz .LBB134_380
; %bb.2:
	v_mul_lo_u32 v0, v2, s9
	v_and_b32_e64 v4, 0xff, s14
	s_delay_alu instid0(VALU_DEP_1) | instskip(NEXT) | instid1(VALU_DEP_3)
	v_cmp_gt_i16_e32 vcc_lo, 11, v4
	v_ashrrev_i32_e32 v1, 31, v0
	v_add_co_u32 v0, s0, s6, v0
	s_delay_alu instid0(VALU_DEP_1)
	v_add_co_ci_u32_e64 v1, s0, s7, v1, s0
	s_cbranch_vccnz .LBB134_9
; %bb.3:
	v_cmp_lt_i16_e32 vcc_lo, 25, v4
	s_cbranch_vccz .LBB134_18
; %bb.4:
	v_cmp_lt_i16_e32 vcc_lo, 28, v4
	s_cbranch_vccz .LBB134_28
	;; [unrolled: 3-line block ×4, first 2 shown]
; %bb.7:
	v_cmp_eq_u16_e32 vcc_lo, 46, v4
	s_cbranch_vccz .LBB134_37
; %bb.8:
	global_load_b32 v3, v[0:1], off
	s_mov_b32 s0, -1
	s_waitcnt vmcnt(0)
	v_lshlrev_b32_e32 v3, 16, v3
	s_delay_alu instid0(VALU_DEP_1)
	v_cvt_f16_f32_e32 v3, v3
	s_branch .LBB134_39
.LBB134_9:
	s_mov_b32 s0, 0
                                        ; implicit-def: $vgpr3
	s_cbranch_execnz .LBB134_105
.LBB134_10:
	s_and_not1_b32 vcc_lo, exec_lo, s0
	s_cbranch_vccnz .LBB134_152
.LBB134_11:
	v_mul_lo_u32 v0, v2, s10
	v_and_b32_e64 v4, 0xff, s1
	s_delay_alu instid0(VALU_DEP_1) | instskip(NEXT) | instid1(VALU_DEP_3)
	v_cmp_gt_i16_e32 vcc_lo, 11, v4
	v_ashrrev_i32_e32 v1, 31, v0
	v_add_co_u32 v0, s0, s2, v0
	s_delay_alu instid0(VALU_DEP_1)
	v_add_co_ci_u32_e64 v1, s0, s3, v1, s0
	s_cbranch_vccnz .LBB134_19
; %bb.12:
	v_cmp_lt_i16_e32 vcc_lo, 25, v4
	s_cbranch_vccz .LBB134_29
; %bb.13:
	v_cmp_lt_i16_e32 vcc_lo, 28, v4
	s_cbranch_vccz .LBB134_32
	;; [unrolled: 3-line block ×4, first 2 shown]
; %bb.16:
	v_cmp_eq_u16_e32 vcc_lo, 46, v4
	s_mov_b32 s22, 0
	s_cbranch_vccz .LBB134_153
; %bb.17:
	global_load_b32 v5, v[0:1], off
	s_mov_b32 s18, 0
	s_mov_b32 s0, -1
	s_waitcnt vmcnt(0)
	v_and_b32_e32 v5, 0x7fff7fff, v5
	s_delay_alu instid0(VALU_DEP_1)
	v_cmp_ne_u32_e32 vcc_lo, 0, v5
	s_and_b32 s16, vcc_lo, exec_lo
	s_branch .LBB134_155
.LBB134_18:
	s_mov_b32 s0, 0
                                        ; implicit-def: $vgpr3
	s_cbranch_execnz .LBB134_70
	s_branch .LBB134_104
.LBB134_19:
	s_mov_b32 s18, 0
	s_mov_b32 s0, 0
                                        ; implicit-def: $sgpr16
	s_cbranch_execnz .LBB134_218
.LBB134_20:
	s_and_not1_b32 vcc_lo, exec_lo, s0
	s_cbranch_vccnz .LBB134_266
.LBB134_21:
	v_mul_lo_u32 v5, v2, s8
	v_cndmask_b32_e64 v0, 0, 1.0, s16
	s_waitcnt vmcnt(0)
	v_cvt_f32_f16_e32 v1, v3
	v_and_b32_e64 v4, 0xff, s12
	s_delay_alu instid0(VALU_DEP_2) | instskip(SKIP_1) | instid1(VALU_DEP_3)
	v_mul_f32_e32 v0, v1, v0
	v_ashrrev_i32_e32 v1, 31, v5
	v_cmp_gt_i16_e32 vcc_lo, 11, v4
	s_delay_alu instid0(VALU_DEP_3) | instskip(SKIP_1) | instid1(VALU_DEP_1)
	v_fma_mixlo_f16 v3, s11, v0, 0
	v_add_co_u32 v0, s0, s4, v5
	v_add_co_ci_u32_e64 v1, s0, s5, v1, s0
	s_cbranch_vccnz .LBB134_30
; %bb.22:
	v_cmp_lt_i16_e32 vcc_lo, 25, v4
	s_cbranch_vccz .LBB134_33
; %bb.23:
	v_cmp_lt_i16_e32 vcc_lo, 28, v4
	s_cbranch_vccz .LBB134_36
	;; [unrolled: 3-line block ×4, first 2 shown]
; %bb.26:
	v_cmp_eq_u16_e32 vcc_lo, 46, v4
	s_mov_b32 s18, 0
	s_mov_b32 s0, -1
	s_mov_b32 s16, 0
	s_cbranch_vccz .LBB134_268
; %bb.27:
	v_cvt_f32_f16_e32 v5, v3
	v_cmp_o_f16_e32 vcc_lo, v3, v3
	s_mov_b32 s16, -1
	s_mov_b32 s0, 0
	s_delay_alu instid0(VALU_DEP_2) | instskip(NEXT) | instid1(VALU_DEP_1)
	v_bfe_u32 v6, v5, 16, 1
	v_add3_u32 v5, v5, v6, 0x7fff
	s_delay_alu instid0(VALU_DEP_1) | instskip(NEXT) | instid1(VALU_DEP_1)
	v_lshrrev_b32_e32 v5, 16, v5
	v_cndmask_b32_e32 v5, 0x7fc0, v5, vcc_lo
	global_store_b32 v[0:1], v5, off
	s_branch .LBB134_268
.LBB134_28:
	s_mov_b32 s16, -1
	s_mov_b32 s0, 0
                                        ; implicit-def: $vgpr3
	s_branch .LBB134_51
.LBB134_29:
	s_mov_b32 s22, -1
	s_mov_b32 s18, 0
	s_mov_b32 s0, 0
                                        ; implicit-def: $sgpr16
	s_branch .LBB134_182
.LBB134_30:
	s_mov_b32 s18, -1
	s_mov_b32 s0, 0
	s_mov_b32 s16, 0
	s_branch .LBB134_337
.LBB134_31:
	s_mov_b32 s16, -1
	s_mov_b32 s0, 0
                                        ; implicit-def: $vgpr3
	s_branch .LBB134_46
.LBB134_32:
	s_mov_b32 s22, -1
	s_mov_b32 s18, 0
	s_mov_b32 s0, 0
                                        ; implicit-def: $sgpr16
	s_branch .LBB134_163
.LBB134_33:
	s_mov_b32 s18, -1
	s_mov_b32 s0, 0
	s_mov_b32 s16, 0
	s_branch .LBB134_295
.LBB134_34:
	s_mov_b32 s16, -1
	s_branch .LBB134_38
.LBB134_35:
	s_mov_b32 s22, -1
	s_mov_b32 s18, 0
	s_mov_b32 s0, 0
                                        ; implicit-def: $sgpr16
	s_branch .LBB134_158
.LBB134_36:
	s_mov_b32 s18, -1
	s_mov_b32 s0, 0
	s_mov_b32 s16, 0
	s_branch .LBB134_278
.LBB134_37:
	s_mov_b32 s19, -1
.LBB134_38:
	s_mov_b32 s0, 0
                                        ; implicit-def: $vgpr3
.LBB134_39:
	s_and_b32 vcc_lo, exec_lo, s16
	s_cbranch_vccz .LBB134_45
; %bb.40:
	v_cmp_eq_u16_e32 vcc_lo, 44, v4
	s_cbranch_vccz .LBB134_44
; %bb.41:
	global_load_u8 v3, v[0:1], off
	s_mov_b32 s19, 0
	s_mov_b32 s0, -1
	s_waitcnt vmcnt(0)
	v_lshlrev_b32_e32 v5, 23, v3
	v_cmp_ne_u32_e32 vcc_lo, 0xff, v3
	s_delay_alu instid0(VALU_DEP_2) | instskip(NEXT) | instid1(VALU_DEP_1)
	v_cvt_f16_f32_e32 v5, v5
	v_cndmask_b32_e32 v5, 0x7e00, v5, vcc_lo
	v_cmp_ne_u32_e32 vcc_lo, 0, v3
	s_delay_alu instid0(VALU_DEP_2)
	v_cndmask_b32_e32 v3, 0, v5, vcc_lo
	s_branch .LBB134_45
.LBB134_42:
	s_mov_b32 s22, -1
	s_mov_b32 s18, 0
	s_branch .LBB134_154
.LBB134_43:
	s_mov_b32 s18, -1
	s_mov_b32 s0, 0
	s_mov_b32 s16, 0
	s_branch .LBB134_274
.LBB134_44:
	s_mov_b32 s19, -1
                                        ; implicit-def: $vgpr3
.LBB134_45:
	s_mov_b32 s16, 0
.LBB134_46:
	s_delay_alu instid0(SALU_CYCLE_1)
	s_and_b32 vcc_lo, exec_lo, s16
	s_cbranch_vccz .LBB134_50
; %bb.47:
	v_cmp_eq_u16_e32 vcc_lo, 29, v4
	s_cbranch_vccz .LBB134_49
; %bb.48:
	global_load_b64 v[5:6], v[0:1], off
	s_mov_b32 s0, -1
	s_mov_b32 s19, 0
	s_mov_b32 s16, 0
	s_waitcnt vmcnt(0)
	v_clz_i32_u32_e32 v3, v6
	s_delay_alu instid0(VALU_DEP_1) | instskip(NEXT) | instid1(VALU_DEP_1)
	v_min_u32_e32 v3, 32, v3
	v_lshlrev_b64 v[5:6], v3, v[5:6]
	v_sub_nc_u32_e32 v3, 32, v3
	s_delay_alu instid0(VALU_DEP_2) | instskip(NEXT) | instid1(VALU_DEP_1)
	v_min_u32_e32 v5, 1, v5
	v_or_b32_e32 v5, v6, v5
	s_delay_alu instid0(VALU_DEP_1) | instskip(NEXT) | instid1(VALU_DEP_1)
	v_cvt_f32_u32_e32 v5, v5
	v_ldexp_f32 v3, v5, v3
	s_delay_alu instid0(VALU_DEP_1)
	v_cvt_f16_f32_e32 v3, v3
	s_branch .LBB134_51
.LBB134_49:
	s_mov_b32 s19, -1
                                        ; implicit-def: $vgpr3
.LBB134_50:
	s_mov_b32 s16, 0
.LBB134_51:
	s_delay_alu instid0(SALU_CYCLE_1)
	s_and_b32 vcc_lo, exec_lo, s16
	s_cbranch_vccz .LBB134_69
; %bb.52:
	v_cmp_gt_i16_e32 vcc_lo, 27, v4
	s_cbranch_vccnz .LBB134_55
; %bb.53:
	v_cmp_lt_i16_e32 vcc_lo, 27, v4
	s_cbranch_vccz .LBB134_56
; %bb.54:
	global_load_b32 v3, v[0:1], off
	s_mov_b32 s0, 0
	s_waitcnt vmcnt(0)
	v_cvt_f32_u32_e32 v3, v3
	s_delay_alu instid0(VALU_DEP_1)
	v_cvt_f16_f32_e32 v3, v3
	s_branch .LBB134_57
.LBB134_55:
	s_mov_b32 s0, -1
                                        ; implicit-def: $vgpr3
	s_branch .LBB134_60
.LBB134_56:
	s_mov_b32 s0, -1
                                        ; implicit-def: $vgpr3
.LBB134_57:
	s_delay_alu instid0(SALU_CYCLE_1)
	s_and_not1_b32 vcc_lo, exec_lo, s0
	s_cbranch_vccnz .LBB134_59
; %bb.58:
	global_load_u16 v3, v[0:1], off
	s_waitcnt vmcnt(0)
	v_cvt_f16_u16_e32 v3, v3
.LBB134_59:
	s_mov_b32 s0, 0
.LBB134_60:
	s_delay_alu instid0(SALU_CYCLE_1)
	s_and_not1_b32 vcc_lo, exec_lo, s0
	s_cbranch_vccnz .LBB134_68
; %bb.61:
	global_load_u8 v5, v[0:1], off
	s_mov_b32 s0, 0
	s_mov_b32 s18, exec_lo
                                        ; implicit-def: $sgpr16
	s_waitcnt vmcnt(0)
	v_cmpx_lt_i16_e32 0x7f, v5
	s_xor_b32 s18, exec_lo, s18
	s_cbranch_execz .LBB134_81
; %bb.62:
	s_mov_b32 s0, -1
	s_mov_b32 s22, exec_lo
                                        ; implicit-def: $sgpr16
	v_cmpx_eq_u16_e32 0x80, v5
; %bb.63:
	s_movk_i32 s16, 0x7e00
	s_xor_b32 s0, exec_lo, -1
; %bb.64:
	s_or_b32 exec_lo, exec_lo, s22
	s_delay_alu instid0(SALU_CYCLE_1)
	s_and_b32 s0, s0, exec_lo
	s_or_saveexec_b32 s18, s18
	v_mov_b32_e32 v3, s16
	s_xor_b32 exec_lo, exec_lo, s18
	s_cbranch_execnz .LBB134_82
.LBB134_65:
	s_or_b32 exec_lo, exec_lo, s18
	s_and_saveexec_b32 s16, s0
	s_cbranch_execz .LBB134_67
.LBB134_66:
	v_and_b32_e32 v3, 0xffff, v5
	v_lshlrev_b32_e32 v5, 24, v5
	s_delay_alu instid0(VALU_DEP_2) | instskip(NEXT) | instid1(VALU_DEP_2)
	v_and_b32_e32 v6, 7, v3
	v_and_b32_e32 v5, 0x80000000, v5
	s_delay_alu instid0(VALU_DEP_2) | instskip(NEXT) | instid1(VALU_DEP_1)
	v_clz_i32_u32_e32 v7, v6
	v_min_u32_e32 v7, 32, v7
	s_delay_alu instid0(VALU_DEP_1) | instskip(SKIP_1) | instid1(VALU_DEP_2)
	v_subrev_nc_u32_e32 v8, 28, v7
	v_sub_nc_u32_e32 v7, 29, v7
	v_lshlrev_b32_e32 v8, v8, v3
	v_bfe_u32 v3, v3, 3, 4
	s_delay_alu instid0(VALU_DEP_1) | instskip(NEXT) | instid1(VALU_DEP_3)
	v_cmp_eq_u32_e32 vcc_lo, 0, v3
	v_dual_cndmask_b32 v3, v3, v7 :: v_dual_and_b32 v8, 7, v8
	s_delay_alu instid0(VALU_DEP_1) | instskip(NEXT) | instid1(VALU_DEP_2)
	v_cndmask_b32_e32 v6, v6, v8, vcc_lo
	v_lshl_add_u32 v3, v3, 23, 0x3b800000
	s_delay_alu instid0(VALU_DEP_2) | instskip(NEXT) | instid1(VALU_DEP_1)
	v_lshlrev_b32_e32 v6, 20, v6
	v_or3_b32 v3, v5, v3, v6
	s_delay_alu instid0(VALU_DEP_1)
	v_cvt_f16_f32_e32 v3, v3
.LBB134_67:
	s_or_b32 exec_lo, exec_lo, s16
.LBB134_68:
	s_mov_b32 s0, -1
.LBB134_69:
	s_branch .LBB134_104
.LBB134_70:
	v_cmp_lt_i16_e32 vcc_lo, 22, v4
	s_cbranch_vccz .LBB134_80
; %bb.71:
	v_cmp_gt_i16_e32 vcc_lo, 24, v4
	s_cbranch_vccnz .LBB134_83
; %bb.72:
	v_cmp_lt_i16_e32 vcc_lo, 24, v4
	s_cbranch_vccz .LBB134_84
; %bb.73:
	global_load_u8 v5, v[0:1], off
	s_mov_b32 s0, 0
	s_mov_b32 s18, exec_lo
                                        ; implicit-def: $sgpr16
	s_waitcnt vmcnt(0)
	v_cmpx_lt_i16_e32 0x7f, v5
	s_xor_b32 s18, exec_lo, s18
	s_cbranch_execz .LBB134_96
; %bb.74:
	s_mov_b32 s0, -1
	s_mov_b32 s22, exec_lo
                                        ; implicit-def: $sgpr16
	v_cmpx_eq_u16_e32 0x80, v5
; %bb.75:
	s_movk_i32 s16, 0x7e00
	s_xor_b32 s0, exec_lo, -1
; %bb.76:
	s_or_b32 exec_lo, exec_lo, s22
	s_delay_alu instid0(SALU_CYCLE_1)
	s_and_b32 s0, s0, exec_lo
	s_or_saveexec_b32 s18, s18
	v_mov_b32_e32 v3, s16
	s_xor_b32 exec_lo, exec_lo, s18
	s_cbranch_execnz .LBB134_97
.LBB134_77:
	s_or_b32 exec_lo, exec_lo, s18
	s_and_saveexec_b32 s16, s0
	s_cbranch_execz .LBB134_79
.LBB134_78:
	v_and_b32_e32 v3, 0xffff, v5
	v_lshlrev_b32_e32 v5, 24, v5
	s_delay_alu instid0(VALU_DEP_2) | instskip(NEXT) | instid1(VALU_DEP_2)
	v_and_b32_e32 v6, 3, v3
	v_and_b32_e32 v5, 0x80000000, v5
	s_delay_alu instid0(VALU_DEP_2) | instskip(NEXT) | instid1(VALU_DEP_1)
	v_clz_i32_u32_e32 v7, v6
	v_min_u32_e32 v7, 32, v7
	s_delay_alu instid0(VALU_DEP_1) | instskip(SKIP_1) | instid1(VALU_DEP_2)
	v_subrev_nc_u32_e32 v8, 29, v7
	v_sub_nc_u32_e32 v7, 30, v7
	v_lshlrev_b32_e32 v8, v8, v3
	v_bfe_u32 v3, v3, 2, 5
	s_delay_alu instid0(VALU_DEP_1) | instskip(NEXT) | instid1(VALU_DEP_3)
	v_cmp_eq_u32_e32 vcc_lo, 0, v3
	v_dual_cndmask_b32 v3, v3, v7 :: v_dual_and_b32 v8, 3, v8
	s_delay_alu instid0(VALU_DEP_1) | instskip(NEXT) | instid1(VALU_DEP_2)
	v_cndmask_b32_e32 v6, v6, v8, vcc_lo
	v_lshl_add_u32 v3, v3, 23, 0x37800000
	s_delay_alu instid0(VALU_DEP_2) | instskip(NEXT) | instid1(VALU_DEP_1)
	v_lshlrev_b32_e32 v6, 21, v6
	v_or3_b32 v3, v5, v3, v6
	s_delay_alu instid0(VALU_DEP_1)
	v_cvt_f16_f32_e32 v3, v3
.LBB134_79:
	s_or_b32 exec_lo, exec_lo, s16
	s_mov_b32 s0, 0
	s_branch .LBB134_85
.LBB134_80:
	s_mov_b32 s16, -1
                                        ; implicit-def: $vgpr3
	s_branch .LBB134_91
.LBB134_81:
	s_or_saveexec_b32 s18, s18
	v_mov_b32_e32 v3, s16
	s_xor_b32 exec_lo, exec_lo, s18
	s_cbranch_execz .LBB134_65
.LBB134_82:
	v_cmp_ne_u16_e32 vcc_lo, 0, v5
	v_mov_b32_e32 v3, v5
	s_and_not1_b32 s0, s0, exec_lo
	s_and_b32 s16, vcc_lo, exec_lo
	s_delay_alu instid0(SALU_CYCLE_1)
	s_or_b32 s0, s0, s16
	s_or_b32 exec_lo, exec_lo, s18
	s_and_saveexec_b32 s16, s0
	s_cbranch_execnz .LBB134_66
	s_branch .LBB134_67
.LBB134_83:
	s_mov_b32 s0, -1
                                        ; implicit-def: $vgpr3
	s_branch .LBB134_88
.LBB134_84:
	s_mov_b32 s0, -1
                                        ; implicit-def: $vgpr3
.LBB134_85:
	s_delay_alu instid0(SALU_CYCLE_1)
	s_and_b32 vcc_lo, exec_lo, s0
	s_cbranch_vccz .LBB134_87
; %bb.86:
	global_load_u8 v3, v[0:1], off
	s_waitcnt vmcnt(0)
	v_lshlrev_b32_e32 v3, 24, v3
	s_delay_alu instid0(VALU_DEP_1) | instskip(NEXT) | instid1(VALU_DEP_1)
	v_and_b32_e32 v5, 0x7f000000, v3
	v_clz_i32_u32_e32 v6, v5
	v_cmp_ne_u32_e32 vcc_lo, 0, v5
	v_add_nc_u32_e32 v8, 0x1000000, v5
	s_delay_alu instid0(VALU_DEP_3) | instskip(NEXT) | instid1(VALU_DEP_1)
	v_min_u32_e32 v6, 32, v6
	v_sub_nc_u32_e64 v6, v6, 4 clamp
	s_delay_alu instid0(VALU_DEP_1) | instskip(SKIP_1) | instid1(VALU_DEP_2)
	v_lshlrev_b32_e32 v7, v6, v5
	v_lshlrev_b32_e32 v6, 23, v6
	v_lshrrev_b32_e32 v7, 4, v7
	s_delay_alu instid0(VALU_DEP_1) | instskip(SKIP_1) | instid1(VALU_DEP_2)
	v_sub_nc_u32_e32 v6, v7, v6
	v_ashrrev_i32_e32 v7, 8, v8
	v_add_nc_u32_e32 v6, 0x3c000000, v6
	s_delay_alu instid0(VALU_DEP_1) | instskip(NEXT) | instid1(VALU_DEP_1)
	v_and_or_b32 v6, 0x7f800000, v7, v6
	v_cndmask_b32_e32 v5, 0, v6, vcc_lo
	s_delay_alu instid0(VALU_DEP_1) | instskip(NEXT) | instid1(VALU_DEP_1)
	v_and_or_b32 v3, 0x80000000, v3, v5
	v_cvt_f16_f32_e32 v3, v3
.LBB134_87:
	s_mov_b32 s0, 0
.LBB134_88:
	s_delay_alu instid0(SALU_CYCLE_1)
	s_and_not1_b32 vcc_lo, exec_lo, s0
	s_cbranch_vccnz .LBB134_90
; %bb.89:
	global_load_u8 v3, v[0:1], off
	s_waitcnt vmcnt(0)
	v_lshlrev_b32_e32 v5, 25, v3
	v_lshlrev_b16 v3, 8, v3
	s_delay_alu instid0(VALU_DEP_2) | instskip(NEXT) | instid1(VALU_DEP_2)
	v_lshrrev_b32_e32 v6, 4, v5
	v_and_or_b32 v7, 0x7f00, v3, 0.5
	v_bfe_i32 v3, v3, 0, 16
	s_delay_alu instid0(VALU_DEP_3) | instskip(NEXT) | instid1(VALU_DEP_1)
	v_or_b32_e32 v6, 0x70000000, v6
	v_dual_add_f32 v7, -0.5, v7 :: v_dual_mul_f32 v6, 0x7800000, v6
	v_cmp_gt_u32_e32 vcc_lo, 0x8000000, v5
	s_delay_alu instid0(VALU_DEP_2) | instskip(NEXT) | instid1(VALU_DEP_1)
	v_cndmask_b32_e32 v5, v6, v7, vcc_lo
	v_and_or_b32 v3, 0x80000000, v3, v5
	s_delay_alu instid0(VALU_DEP_1)
	v_cvt_f16_f32_e32 v3, v3
.LBB134_90:
	s_mov_b32 s16, 0
	s_mov_b32 s0, -1
.LBB134_91:
	s_and_not1_b32 vcc_lo, exec_lo, s16
	s_cbranch_vccnz .LBB134_104
; %bb.92:
	v_cmp_lt_i16_e32 vcc_lo, 14, v4
	s_cbranch_vccz .LBB134_95
; %bb.93:
	v_cmp_eq_u16_e32 vcc_lo, 15, v4
	s_cbranch_vccz .LBB134_98
; %bb.94:
	global_load_u16 v3, v[0:1], off
	s_mov_b32 s0, -1
	s_mov_b32 s19, 0
	s_waitcnt vmcnt(0)
	v_lshlrev_b32_e32 v3, 16, v3
	s_delay_alu instid0(VALU_DEP_1)
	v_cvt_f16_f32_e32 v3, v3
	s_branch .LBB134_99
.LBB134_95:
	s_mov_b32 s16, -1
                                        ; implicit-def: $vgpr3
	s_branch .LBB134_100
.LBB134_96:
	s_or_saveexec_b32 s18, s18
	v_mov_b32_e32 v3, s16
	s_xor_b32 exec_lo, exec_lo, s18
	s_cbranch_execz .LBB134_77
.LBB134_97:
	v_cmp_ne_u16_e32 vcc_lo, 0, v5
	v_mov_b32_e32 v3, v5
	s_and_not1_b32 s0, s0, exec_lo
	s_and_b32 s16, vcc_lo, exec_lo
	s_delay_alu instid0(SALU_CYCLE_1)
	s_or_b32 s0, s0, s16
	s_or_b32 exec_lo, exec_lo, s18
	s_and_saveexec_b32 s16, s0
	s_cbranch_execnz .LBB134_78
	s_branch .LBB134_79
.LBB134_98:
	s_mov_b32 s19, -1
                                        ; implicit-def: $vgpr3
.LBB134_99:
	s_mov_b32 s16, 0
.LBB134_100:
	s_delay_alu instid0(SALU_CYCLE_1)
	s_and_b32 vcc_lo, exec_lo, s16
	s_cbranch_vccz .LBB134_104
; %bb.101:
	v_cmp_eq_u16_e32 vcc_lo, 11, v4
	s_cbranch_vccz .LBB134_103
; %bb.102:
	global_load_u8 v3, v[0:1], off
	s_mov_b32 s19, 0
	s_mov_b32 s0, -1
	s_waitcnt vmcnt(0)
	v_cmp_ne_u16_e32 vcc_lo, 0, v3
	v_cndmask_b32_e64 v3, 0, 0x3c00, vcc_lo
	s_branch .LBB134_104
.LBB134_103:
	s_mov_b32 s19, -1
                                        ; implicit-def: $vgpr3
.LBB134_104:
	s_branch .LBB134_10
.LBB134_105:
	v_cmp_gt_i16_e32 vcc_lo, 5, v4
	s_cbranch_vccnz .LBB134_110
; %bb.106:
	v_cmp_gt_i16_e32 vcc_lo, 8, v4
	s_cbranch_vccnz .LBB134_111
; %bb.107:
	;; [unrolled: 3-line block ×3, first 2 shown]
	v_cmp_lt_i16_e32 vcc_lo, 9, v4
	s_cbranch_vccz .LBB134_113
; %bb.109:
	global_load_b64 v[5:6], v[0:1], off
	s_mov_b32 s0, 0
	s_waitcnt vmcnt(0)
	v_cvt_f32_f64_e32 v3, v[5:6]
	s_delay_alu instid0(VALU_DEP_1)
	v_cvt_f16_f32_e32 v3, v3
	s_branch .LBB134_114
.LBB134_110:
                                        ; implicit-def: $vgpr3
	s_branch .LBB134_132
.LBB134_111:
	s_mov_b32 s0, -1
                                        ; implicit-def: $vgpr3
	s_branch .LBB134_120
.LBB134_112:
	s_mov_b32 s0, -1
                                        ; implicit-def: $vgpr3
	s_branch .LBB134_117
.LBB134_113:
	s_mov_b32 s0, -1
                                        ; implicit-def: $vgpr3
.LBB134_114:
	s_delay_alu instid0(SALU_CYCLE_1)
	s_and_not1_b32 vcc_lo, exec_lo, s0
	s_cbranch_vccnz .LBB134_116
; %bb.115:
	global_load_b32 v3, v[0:1], off
	s_waitcnt vmcnt(0)
	v_cvt_f16_f32_e32 v3, v3
.LBB134_116:
	s_mov_b32 s0, 0
.LBB134_117:
	s_delay_alu instid0(SALU_CYCLE_1)
	s_and_not1_b32 vcc_lo, exec_lo, s0
	s_cbranch_vccnz .LBB134_119
; %bb.118:
	global_load_b32 v3, v[0:1], off
.LBB134_119:
	s_mov_b32 s0, 0
.LBB134_120:
	s_delay_alu instid0(SALU_CYCLE_1)
	s_and_not1_b32 vcc_lo, exec_lo, s0
	s_cbranch_vccnz .LBB134_131
; %bb.121:
	v_cmp_gt_i16_e32 vcc_lo, 6, v4
	s_cbranch_vccnz .LBB134_124
; %bb.122:
	v_cmp_lt_i16_e32 vcc_lo, 6, v4
	s_cbranch_vccz .LBB134_125
; %bb.123:
	global_load_b64 v[5:6], v[0:1], off
	s_mov_b32 s0, 0
	s_waitcnt vmcnt(0)
	v_cvt_f32_f64_e32 v3, v[5:6]
	s_delay_alu instid0(VALU_DEP_1)
	v_cvt_f16_f32_e32 v3, v3
	s_branch .LBB134_126
.LBB134_124:
	s_mov_b32 s0, -1
                                        ; implicit-def: $vgpr3
	s_branch .LBB134_129
.LBB134_125:
	s_mov_b32 s0, -1
                                        ; implicit-def: $vgpr3
.LBB134_126:
	s_delay_alu instid0(SALU_CYCLE_1)
	s_and_not1_b32 vcc_lo, exec_lo, s0
	s_cbranch_vccnz .LBB134_128
; %bb.127:
	global_load_b32 v3, v[0:1], off
	s_waitcnt vmcnt(0)
	v_cvt_f16_f32_e32 v3, v3
.LBB134_128:
	s_mov_b32 s0, 0
.LBB134_129:
	s_delay_alu instid0(SALU_CYCLE_1)
	s_and_not1_b32 vcc_lo, exec_lo, s0
	s_cbranch_vccnz .LBB134_131
; %bb.130:
	global_load_u16 v3, v[0:1], off
.LBB134_131:
	s_cbranch_execnz .LBB134_151
.LBB134_132:
	v_cmp_gt_i16_e32 vcc_lo, 2, v4
	s_cbranch_vccnz .LBB134_136
; %bb.133:
	v_cmp_gt_i16_e32 vcc_lo, 3, v4
	s_cbranch_vccnz .LBB134_137
; %bb.134:
	v_cmp_lt_i16_e32 vcc_lo, 3, v4
	s_cbranch_vccz .LBB134_138
; %bb.135:
	global_load_b64 v[5:6], v[0:1], off
	s_mov_b32 s0, 0
	s_waitcnt vmcnt(0)
	v_xor_b32_e32 v3, v5, v6
	v_cls_i32_e32 v7, v6
	s_delay_alu instid0(VALU_DEP_2) | instskip(NEXT) | instid1(VALU_DEP_2)
	v_ashrrev_i32_e32 v3, 31, v3
	v_add_nc_u32_e32 v7, -1, v7
	s_delay_alu instid0(VALU_DEP_2) | instskip(NEXT) | instid1(VALU_DEP_1)
	v_add_nc_u32_e32 v3, 32, v3
	v_min_u32_e32 v3, v7, v3
	s_delay_alu instid0(VALU_DEP_1) | instskip(SKIP_1) | instid1(VALU_DEP_2)
	v_lshlrev_b64 v[5:6], v3, v[5:6]
	v_sub_nc_u32_e32 v3, 32, v3
	v_min_u32_e32 v5, 1, v5
	s_delay_alu instid0(VALU_DEP_1) | instskip(NEXT) | instid1(VALU_DEP_1)
	v_or_b32_e32 v5, v6, v5
	v_cvt_f32_i32_e32 v5, v5
	s_delay_alu instid0(VALU_DEP_1) | instskip(NEXT) | instid1(VALU_DEP_1)
	v_ldexp_f32 v3, v5, v3
	v_cvt_f16_f32_e32 v3, v3
	s_branch .LBB134_139
.LBB134_136:
	s_mov_b32 s0, -1
                                        ; implicit-def: $vgpr3
	s_branch .LBB134_145
.LBB134_137:
	s_mov_b32 s0, -1
                                        ; implicit-def: $vgpr3
	s_branch .LBB134_142
.LBB134_138:
	s_mov_b32 s0, -1
                                        ; implicit-def: $vgpr3
.LBB134_139:
	s_delay_alu instid0(SALU_CYCLE_1)
	s_and_not1_b32 vcc_lo, exec_lo, s0
	s_cbranch_vccnz .LBB134_141
; %bb.140:
	global_load_b32 v3, v[0:1], off
	s_waitcnt vmcnt(0)
	v_cvt_f32_i32_e32 v3, v3
	s_delay_alu instid0(VALU_DEP_1)
	v_cvt_f16_f32_e32 v3, v3
.LBB134_141:
	s_mov_b32 s0, 0
.LBB134_142:
	s_delay_alu instid0(SALU_CYCLE_1)
	s_and_not1_b32 vcc_lo, exec_lo, s0
	s_cbranch_vccnz .LBB134_144
; %bb.143:
	global_load_u16 v3, v[0:1], off
	s_waitcnt vmcnt(0)
	v_cvt_f16_i16_e32 v3, v3
.LBB134_144:
	s_mov_b32 s0, 0
.LBB134_145:
	s_delay_alu instid0(SALU_CYCLE_1)
	s_and_not1_b32 vcc_lo, exec_lo, s0
	s_cbranch_vccnz .LBB134_151
; %bb.146:
	v_cmp_lt_i16_e32 vcc_lo, 0, v4
	s_mov_b32 s0, 0
	s_cbranch_vccz .LBB134_148
; %bb.147:
	global_load_i8 v3, v[0:1], off
	s_waitcnt vmcnt(0)
	v_cvt_f16_i16_e32 v3, v3
	s_branch .LBB134_149
.LBB134_148:
	s_mov_b32 s0, -1
                                        ; implicit-def: $vgpr3
.LBB134_149:
	s_delay_alu instid0(SALU_CYCLE_1)
	s_and_not1_b32 vcc_lo, exec_lo, s0
	s_cbranch_vccnz .LBB134_151
; %bb.150:
	global_load_u8 v0, v[0:1], off
	s_waitcnt vmcnt(0)
	v_cvt_f16_u16_e32 v3, v0
.LBB134_151:
	s_branch .LBB134_11
.LBB134_152:
	s_mov_b32 s0, 0
	s_mov_b32 s18, 0
	s_branch .LBB134_378
.LBB134_153:
	s_mov_b32 s18, -1
.LBB134_154:
	s_mov_b32 s0, 0
                                        ; implicit-def: $sgpr16
.LBB134_155:
	s_and_b32 vcc_lo, exec_lo, s22
	s_cbranch_vccz .LBB134_157
; %bb.156:
	v_cmp_eq_u16_e64 s0, 44, v4
	s_mov_b32 s18, -1
	s_or_b32 s16, s16, exec_lo
.LBB134_157:
	s_mov_b32 s22, 0
.LBB134_158:
	s_delay_alu instid0(SALU_CYCLE_1)
	s_and_b32 vcc_lo, exec_lo, s22
	s_cbranch_vccz .LBB134_162
; %bb.159:
	v_cmp_eq_u16_e32 vcc_lo, 29, v4
	s_cbranch_vccz .LBB134_161
; %bb.160:
	global_load_b64 v[5:6], v[0:1], off
	s_mov_b32 s0, -1
	s_mov_b32 s18, 0
	s_mov_b32 s22, 0
	s_waitcnt vmcnt(0)
	v_cmp_ne_u64_e32 vcc_lo, 0, v[5:6]
	s_and_b32 s16, vcc_lo, exec_lo
	s_branch .LBB134_163
.LBB134_161:
	s_mov_b32 s18, -1
                                        ; implicit-def: $sgpr16
.LBB134_162:
	s_mov_b32 s22, 0
.LBB134_163:
	s_delay_alu instid0(SALU_CYCLE_1)
	s_and_b32 vcc_lo, exec_lo, s22
	s_cbranch_vccz .LBB134_181
; %bb.164:
	v_cmp_gt_i16_e32 vcc_lo, 27, v4
	s_cbranch_vccnz .LBB134_167
; %bb.165:
	v_cmp_lt_i16_e32 vcc_lo, 27, v4
	s_cbranch_vccz .LBB134_168
; %bb.166:
	global_load_b32 v5, v[0:1], off
	s_mov_b32 s0, 0
	s_waitcnt vmcnt(0)
	v_cmp_ne_u32_e32 vcc_lo, 0, v5
	s_and_b32 s16, vcc_lo, exec_lo
	s_branch .LBB134_169
.LBB134_167:
	s_mov_b32 s0, -1
                                        ; implicit-def: $sgpr16
	s_branch .LBB134_172
.LBB134_168:
	s_mov_b32 s0, -1
                                        ; implicit-def: $sgpr16
.LBB134_169:
	s_delay_alu instid0(SALU_CYCLE_1)
	s_and_not1_b32 vcc_lo, exec_lo, s0
	s_cbranch_vccnz .LBB134_171
; %bb.170:
	global_load_u16 v5, v[0:1], off
	s_and_not1_b32 s0, s16, exec_lo
	s_waitcnt vmcnt(0)
	v_cmp_ne_u16_e32 vcc_lo, 0, v5
	s_and_b32 s16, vcc_lo, exec_lo
	s_delay_alu instid0(SALU_CYCLE_1)
	s_or_b32 s16, s0, s16
.LBB134_171:
	s_mov_b32 s0, 0
.LBB134_172:
	s_delay_alu instid0(SALU_CYCLE_1)
	s_and_not1_b32 vcc_lo, exec_lo, s0
	s_cbranch_vccnz .LBB134_180
; %bb.173:
	global_load_u8 v5, v[0:1], off
	s_mov_b32 s0, 0
	s_mov_b32 s22, exec_lo
                                        ; implicit-def: $sgpr16
	s_waitcnt vmcnt(0)
	v_cmpx_lt_i16_e32 0x7f, v5
	s_xor_b32 s22, exec_lo, s22
	s_cbranch_execz .LBB134_194
; %bb.174:
	s_mov_b32 s0, -1
	s_mov_b32 s23, exec_lo
                                        ; implicit-def: $sgpr16
	v_cmpx_eq_u16_e32 0x80, v5
; %bb.175:
	s_mov_b32 s16, -1
	s_xor_b32 s0, exec_lo, -1
; %bb.176:
	s_or_b32 exec_lo, exec_lo, s23
	s_delay_alu instid0(SALU_CYCLE_1)
	s_and_b32 s0, s0, exec_lo
	s_and_not1_saveexec_b32 s22, s22
	s_cbranch_execnz .LBB134_195
.LBB134_177:
	s_or_b32 exec_lo, exec_lo, s22
	s_and_saveexec_b32 s22, s0
	s_cbranch_execz .LBB134_179
.LBB134_178:
	v_and_b32_e32 v5, 0xffff, v5
	s_and_not1_b32 s0, s16, exec_lo
	s_delay_alu instid0(VALU_DEP_1) | instskip(NEXT) | instid1(VALU_DEP_1)
	v_and_b32_e32 v6, 7, v5
	v_clz_i32_u32_e32 v7, v6
	s_delay_alu instid0(VALU_DEP_1) | instskip(NEXT) | instid1(VALU_DEP_1)
	v_min_u32_e32 v7, 32, v7
	v_subrev_nc_u32_e32 v8, 28, v7
	v_sub_nc_u32_e32 v7, 29, v7
	s_delay_alu instid0(VALU_DEP_2) | instskip(SKIP_1) | instid1(VALU_DEP_2)
	v_lshlrev_b32_e32 v8, v8, v5
	v_bfe_u32 v5, v5, 3, 4
	v_and_b32_e32 v8, 7, v8
	s_delay_alu instid0(VALU_DEP_2) | instskip(NEXT) | instid1(VALU_DEP_2)
	v_cmp_eq_u32_e32 vcc_lo, 0, v5
	v_dual_cndmask_b32 v5, v5, v7 :: v_dual_cndmask_b32 v6, v6, v8
	s_delay_alu instid0(VALU_DEP_1) | instskip(NEXT) | instid1(VALU_DEP_2)
	v_lshl_add_u32 v5, v5, 23, 0x3b800000
	v_lshlrev_b32_e32 v6, 20, v6
	s_delay_alu instid0(VALU_DEP_1) | instskip(NEXT) | instid1(VALU_DEP_1)
	v_and_or_b32 v5, 0x7f800000, v5, v6
	v_cmp_ne_u32_e32 vcc_lo, 0, v5
	s_and_b32 s16, vcc_lo, exec_lo
	s_delay_alu instid0(SALU_CYCLE_1)
	s_or_b32 s16, s0, s16
.LBB134_179:
	s_or_b32 exec_lo, exec_lo, s22
.LBB134_180:
	s_mov_b32 s0, -1
.LBB134_181:
	s_mov_b32 s22, 0
.LBB134_182:
	s_delay_alu instid0(SALU_CYCLE_1)
	s_and_b32 vcc_lo, exec_lo, s22
	s_cbranch_vccz .LBB134_217
; %bb.183:
	v_cmp_lt_i16_e32 vcc_lo, 22, v4
	s_cbranch_vccz .LBB134_193
; %bb.184:
	v_cmp_gt_i16_e32 vcc_lo, 24, v4
	s_cbranch_vccnz .LBB134_196
; %bb.185:
	v_cmp_lt_i16_e32 vcc_lo, 24, v4
	s_cbranch_vccz .LBB134_197
; %bb.186:
	global_load_u8 v5, v[0:1], off
	s_mov_b32 s0, 0
	s_mov_b32 s22, exec_lo
                                        ; implicit-def: $sgpr16
	s_waitcnt vmcnt(0)
	v_cmpx_lt_i16_e32 0x7f, v5
	s_xor_b32 s22, exec_lo, s22
	s_cbranch_execz .LBB134_209
; %bb.187:
	s_mov_b32 s0, -1
	s_mov_b32 s23, exec_lo
                                        ; implicit-def: $sgpr16
	v_cmpx_eq_u16_e32 0x80, v5
; %bb.188:
	s_mov_b32 s16, -1
	s_xor_b32 s0, exec_lo, -1
; %bb.189:
	s_or_b32 exec_lo, exec_lo, s23
	s_delay_alu instid0(SALU_CYCLE_1)
	s_and_b32 s0, s0, exec_lo
	s_and_not1_saveexec_b32 s22, s22
	s_cbranch_execnz .LBB134_210
.LBB134_190:
	s_or_b32 exec_lo, exec_lo, s22
	s_and_saveexec_b32 s22, s0
	s_cbranch_execz .LBB134_192
.LBB134_191:
	v_and_b32_e32 v5, 0xffff, v5
	s_and_not1_b32 s0, s16, exec_lo
	s_delay_alu instid0(VALU_DEP_1) | instskip(NEXT) | instid1(VALU_DEP_1)
	v_and_b32_e32 v6, 3, v5
	v_clz_i32_u32_e32 v7, v6
	s_delay_alu instid0(VALU_DEP_1) | instskip(NEXT) | instid1(VALU_DEP_1)
	v_min_u32_e32 v7, 32, v7
	v_subrev_nc_u32_e32 v8, 29, v7
	v_sub_nc_u32_e32 v7, 30, v7
	s_delay_alu instid0(VALU_DEP_2) | instskip(SKIP_1) | instid1(VALU_DEP_2)
	v_lshlrev_b32_e32 v8, v8, v5
	v_bfe_u32 v5, v5, 2, 5
	v_and_b32_e32 v8, 3, v8
	s_delay_alu instid0(VALU_DEP_2) | instskip(NEXT) | instid1(VALU_DEP_2)
	v_cmp_eq_u32_e32 vcc_lo, 0, v5
	v_dual_cndmask_b32 v5, v5, v7 :: v_dual_cndmask_b32 v6, v6, v8
	s_delay_alu instid0(VALU_DEP_1) | instskip(NEXT) | instid1(VALU_DEP_2)
	v_lshl_add_u32 v5, v5, 23, 0x37800000
	v_lshlrev_b32_e32 v6, 21, v6
	s_delay_alu instid0(VALU_DEP_1) | instskip(NEXT) | instid1(VALU_DEP_1)
	v_and_or_b32 v5, 0x7f800000, v5, v6
	v_cmp_ne_u32_e32 vcc_lo, 0, v5
	s_and_b32 s16, vcc_lo, exec_lo
	s_delay_alu instid0(SALU_CYCLE_1)
	s_or_b32 s16, s0, s16
.LBB134_192:
	s_or_b32 exec_lo, exec_lo, s22
	s_mov_b32 s0, 0
	s_branch .LBB134_198
.LBB134_193:
	s_mov_b32 s22, -1
                                        ; implicit-def: $sgpr16
	s_branch .LBB134_204
.LBB134_194:
	s_and_not1_saveexec_b32 s22, s22
	s_cbranch_execz .LBB134_177
.LBB134_195:
	v_cmp_ne_u16_e32 vcc_lo, 0, v5
	s_and_not1_b32 s0, s0, exec_lo
	s_and_not1_b32 s16, s16, exec_lo
	s_and_b32 s23, vcc_lo, exec_lo
	s_delay_alu instid0(SALU_CYCLE_1)
	s_or_b32 s0, s0, s23
	s_or_b32 exec_lo, exec_lo, s22
	s_and_saveexec_b32 s22, s0
	s_cbranch_execnz .LBB134_178
	s_branch .LBB134_179
.LBB134_196:
	s_mov_b32 s0, -1
                                        ; implicit-def: $sgpr16
	s_branch .LBB134_201
.LBB134_197:
	s_mov_b32 s0, -1
                                        ; implicit-def: $sgpr16
.LBB134_198:
	s_delay_alu instid0(SALU_CYCLE_1)
	s_and_b32 vcc_lo, exec_lo, s0
	s_cbranch_vccz .LBB134_200
; %bb.199:
	global_load_u8 v5, v[0:1], off
	s_and_not1_b32 s16, s16, exec_lo
	s_waitcnt vmcnt(0)
	v_lshlrev_b32_e32 v5, 24, v5
	s_delay_alu instid0(VALU_DEP_1) | instskip(NEXT) | instid1(VALU_DEP_1)
	v_and_b32_e32 v5, 0x7f000000, v5
	v_clz_i32_u32_e32 v6, v5
	v_add_nc_u32_e32 v8, 0x1000000, v5
	v_cmp_ne_u32_e32 vcc_lo, 0, v5
	s_delay_alu instid0(VALU_DEP_3) | instskip(NEXT) | instid1(VALU_DEP_3)
	v_min_u32_e32 v6, 32, v6
	v_ashrrev_i32_e32 v8, 8, v8
	s_delay_alu instid0(VALU_DEP_2) | instskip(NEXT) | instid1(VALU_DEP_1)
	v_sub_nc_u32_e64 v6, v6, 4 clamp
	v_lshlrev_b32_e32 v7, v6, v5
	v_lshlrev_b32_e32 v6, 23, v6
	s_delay_alu instid0(VALU_DEP_2) | instskip(NEXT) | instid1(VALU_DEP_1)
	v_lshrrev_b32_e32 v7, 4, v7
	v_sub_nc_u32_e32 v6, v7, v6
	v_and_b32_e32 v7, 0x7f800000, v8
	s_delay_alu instid0(VALU_DEP_2) | instskip(NEXT) | instid1(VALU_DEP_1)
	v_add_nc_u32_e32 v6, 0x3c000000, v6
	v_and_or_b32 v6, 0x7ff00000, v6, v7
	s_delay_alu instid0(VALU_DEP_1) | instskip(NEXT) | instid1(VALU_DEP_1)
	v_cmp_ne_u32_e64 s0, 0, v6
	s_and_b32 s0, vcc_lo, s0
	s_delay_alu instid0(SALU_CYCLE_1) | instskip(NEXT) | instid1(SALU_CYCLE_1)
	s_and_b32 s0, s0, exec_lo
	s_or_b32 s16, s16, s0
.LBB134_200:
	s_mov_b32 s0, 0
.LBB134_201:
	s_delay_alu instid0(SALU_CYCLE_1)
	s_and_not1_b32 vcc_lo, exec_lo, s0
	s_cbranch_vccnz .LBB134_203
; %bb.202:
	global_load_u8 v5, v[0:1], off
	s_and_not1_b32 s0, s16, exec_lo
	s_waitcnt vmcnt(0)
	v_lshlrev_b32_e32 v6, 25, v5
	v_lshlrev_b32_e32 v5, 8, v5
	s_delay_alu instid0(VALU_DEP_2) | instskip(NEXT) | instid1(VALU_DEP_2)
	v_lshrrev_b32_e32 v7, 4, v6
	v_and_or_b32 v5, 0x7f00, v5, 0.5
	s_delay_alu instid0(VALU_DEP_2) | instskip(NEXT) | instid1(VALU_DEP_2)
	v_or_b32_e32 v7, 0x70000000, v7
	v_add_f32_e32 v5, -0.5, v5
	s_delay_alu instid0(VALU_DEP_2) | instskip(SKIP_1) | instid1(VALU_DEP_2)
	v_mul_f32_e32 v7, 0x7800000, v7
	v_cmp_gt_u32_e32 vcc_lo, 0x8000000, v6
	v_cndmask_b32_e32 v5, v7, v5, vcc_lo
	s_delay_alu instid0(VALU_DEP_1) | instskip(SKIP_1) | instid1(SALU_CYCLE_1)
	v_cmp_neq_f32_e32 vcc_lo, 0, v5
	s_and_b32 s16, vcc_lo, exec_lo
	s_or_b32 s16, s0, s16
.LBB134_203:
	s_mov_b32 s22, 0
	s_mov_b32 s0, -1
.LBB134_204:
	s_and_not1_b32 vcc_lo, exec_lo, s22
	s_cbranch_vccnz .LBB134_217
; %bb.205:
	v_cmp_lt_i16_e32 vcc_lo, 14, v4
	s_cbranch_vccz .LBB134_208
; %bb.206:
	v_cmp_eq_u16_e32 vcc_lo, 15, v4
	s_cbranch_vccz .LBB134_211
; %bb.207:
	global_load_u16 v5, v[0:1], off
	s_mov_b32 s18, 0
	s_mov_b32 s0, -1
	s_waitcnt vmcnt(0)
	v_and_b32_e32 v5, 0x7fff, v5
	s_delay_alu instid0(VALU_DEP_1)
	v_cmp_ne_u16_e32 vcc_lo, 0, v5
	s_and_b32 s16, vcc_lo, exec_lo
	s_branch .LBB134_212
.LBB134_208:
	s_mov_b32 s22, -1
                                        ; implicit-def: $sgpr16
	s_branch .LBB134_213
.LBB134_209:
	s_and_not1_saveexec_b32 s22, s22
	s_cbranch_execz .LBB134_190
.LBB134_210:
	v_cmp_ne_u16_e32 vcc_lo, 0, v5
	s_and_not1_b32 s0, s0, exec_lo
	s_and_not1_b32 s16, s16, exec_lo
	s_and_b32 s23, vcc_lo, exec_lo
	s_delay_alu instid0(SALU_CYCLE_1)
	s_or_b32 s0, s0, s23
	s_or_b32 exec_lo, exec_lo, s22
	s_and_saveexec_b32 s22, s0
	s_cbranch_execnz .LBB134_191
	s_branch .LBB134_192
.LBB134_211:
	s_mov_b32 s18, -1
                                        ; implicit-def: $sgpr16
.LBB134_212:
	s_mov_b32 s22, 0
.LBB134_213:
	s_delay_alu instid0(SALU_CYCLE_1)
	s_and_b32 vcc_lo, exec_lo, s22
	s_cbranch_vccz .LBB134_217
; %bb.214:
	v_cmp_eq_u16_e32 vcc_lo, 11, v4
	s_cbranch_vccz .LBB134_216
; %bb.215:
	global_load_u8 v5, v[0:1], off
	s_mov_b32 s18, 0
	s_mov_b32 s0, -1
	s_waitcnt vmcnt(0)
	v_cmp_ne_u16_e32 vcc_lo, 0, v5
	s_and_b32 s16, vcc_lo, exec_lo
	s_branch .LBB134_217
.LBB134_216:
	s_mov_b32 s18, -1
                                        ; implicit-def: $sgpr16
.LBB134_217:
	s_branch .LBB134_20
.LBB134_218:
	v_cmp_gt_i16_e32 vcc_lo, 5, v4
	s_cbranch_vccnz .LBB134_223
; %bb.219:
	v_cmp_gt_i16_e32 vcc_lo, 8, v4
	s_cbranch_vccnz .LBB134_224
; %bb.220:
	v_cmp_gt_i16_e32 vcc_lo, 9, v4
	s_cbranch_vccnz .LBB134_225
; %bb.221:
	v_cmp_lt_i16_e32 vcc_lo, 9, v4
	s_cbranch_vccz .LBB134_226
; %bb.222:
	global_load_b128 v[5:8], v[0:1], off
	s_waitcnt vmcnt(0)
	v_cmp_neq_f64_e32 vcc_lo, 0, v[5:6]
	v_cmp_neq_f64_e64 s0, 0, v[7:8]
	s_delay_alu instid0(VALU_DEP_1)
	s_or_b32 s16, vcc_lo, s0
	s_mov_b32 s0, 0
	s_and_b32 s16, s16, exec_lo
	s_branch .LBB134_227
.LBB134_223:
	s_mov_b32 s0, -1
                                        ; implicit-def: $sgpr16
	s_branch .LBB134_245
.LBB134_224:
	s_mov_b32 s0, -1
                                        ; implicit-def: $sgpr16
	s_branch .LBB134_233
.LBB134_225:
	s_mov_b32 s0, -1
                                        ; implicit-def: $sgpr16
	s_branch .LBB134_230
.LBB134_226:
	s_mov_b32 s0, -1
                                        ; implicit-def: $sgpr16
.LBB134_227:
	s_delay_alu instid0(SALU_CYCLE_1)
	s_and_not1_b32 vcc_lo, exec_lo, s0
	s_cbranch_vccnz .LBB134_229
; %bb.228:
	global_load_b64 v[5:6], v[0:1], off
	s_and_not1_b32 s0, s16, exec_lo
	s_waitcnt vmcnt(0)
	v_or_b32_e32 v5, v5, v6
	s_delay_alu instid0(VALU_DEP_1) | instskip(NEXT) | instid1(VALU_DEP_1)
	v_and_b32_e32 v5, 0x7fffffff, v5
	v_cmp_ne_u32_e32 vcc_lo, 0, v5
	s_and_b32 s16, vcc_lo, exec_lo
	s_delay_alu instid0(SALU_CYCLE_1)
	s_or_b32 s16, s0, s16
.LBB134_229:
	s_mov_b32 s0, 0
.LBB134_230:
	s_delay_alu instid0(SALU_CYCLE_1)
	s_and_not1_b32 vcc_lo, exec_lo, s0
	s_cbranch_vccnz .LBB134_232
; %bb.231:
	global_load_b32 v5, v[0:1], off
	s_and_not1_b32 s0, s16, exec_lo
	s_waitcnt vmcnt(0)
	v_and_b32_e32 v5, 0x7fff7fff, v5
	s_delay_alu instid0(VALU_DEP_1) | instskip(SKIP_1) | instid1(SALU_CYCLE_1)
	v_cmp_ne_u32_e32 vcc_lo, 0, v5
	s_and_b32 s16, vcc_lo, exec_lo
	s_or_b32 s16, s0, s16
.LBB134_232:
	s_mov_b32 s0, 0
.LBB134_233:
	s_delay_alu instid0(SALU_CYCLE_1)
	s_and_not1_b32 vcc_lo, exec_lo, s0
	s_cbranch_vccnz .LBB134_244
; %bb.234:
	v_cmp_gt_i16_e32 vcc_lo, 6, v4
	s_cbranch_vccnz .LBB134_237
; %bb.235:
	v_cmp_lt_i16_e32 vcc_lo, 6, v4
	s_cbranch_vccz .LBB134_238
; %bb.236:
	global_load_b64 v[5:6], v[0:1], off
	s_mov_b32 s0, 0
	s_waitcnt vmcnt(0)
	v_cmp_neq_f64_e32 vcc_lo, 0, v[5:6]
	s_and_b32 s16, vcc_lo, exec_lo
	s_branch .LBB134_239
.LBB134_237:
	s_mov_b32 s0, -1
                                        ; implicit-def: $sgpr16
	s_branch .LBB134_242
.LBB134_238:
	s_mov_b32 s0, -1
                                        ; implicit-def: $sgpr16
.LBB134_239:
	s_delay_alu instid0(SALU_CYCLE_1)
	s_and_not1_b32 vcc_lo, exec_lo, s0
	s_cbranch_vccnz .LBB134_241
; %bb.240:
	global_load_b32 v5, v[0:1], off
	s_and_not1_b32 s0, s16, exec_lo
	s_waitcnt vmcnt(0)
	v_cmp_neq_f32_e32 vcc_lo, 0, v5
	s_and_b32 s16, vcc_lo, exec_lo
	s_delay_alu instid0(SALU_CYCLE_1)
	s_or_b32 s16, s0, s16
.LBB134_241:
	s_mov_b32 s0, 0
.LBB134_242:
	s_delay_alu instid0(SALU_CYCLE_1)
	s_and_not1_b32 vcc_lo, exec_lo, s0
	s_cbranch_vccnz .LBB134_244
; %bb.243:
	global_load_u16 v5, v[0:1], off
	s_and_not1_b32 s0, s16, exec_lo
	s_waitcnt vmcnt(0)
	v_and_b32_e32 v5, 0x7fff, v5
	s_delay_alu instid0(VALU_DEP_1) | instskip(SKIP_1) | instid1(SALU_CYCLE_1)
	v_cmp_ne_u16_e32 vcc_lo, 0, v5
	s_and_b32 s16, vcc_lo, exec_lo
	s_or_b32 s16, s0, s16
.LBB134_244:
	s_mov_b32 s0, 0
.LBB134_245:
	s_delay_alu instid0(SALU_CYCLE_1)
	s_and_not1_b32 vcc_lo, exec_lo, s0
	s_cbranch_vccnz .LBB134_265
; %bb.246:
	v_cmp_gt_i16_e32 vcc_lo, 2, v4
	s_cbranch_vccnz .LBB134_250
; %bb.247:
	v_cmp_gt_i16_e32 vcc_lo, 3, v4
	s_cbranch_vccnz .LBB134_251
; %bb.248:
	v_cmp_lt_i16_e32 vcc_lo, 3, v4
	s_cbranch_vccz .LBB134_252
; %bb.249:
	global_load_b64 v[5:6], v[0:1], off
	s_mov_b32 s0, 0
	s_waitcnt vmcnt(0)
	v_cmp_ne_u64_e32 vcc_lo, 0, v[5:6]
	s_and_b32 s16, vcc_lo, exec_lo
	s_branch .LBB134_253
.LBB134_250:
	s_mov_b32 s0, -1
                                        ; implicit-def: $sgpr16
	s_branch .LBB134_259
.LBB134_251:
	s_mov_b32 s0, -1
                                        ; implicit-def: $sgpr16
	s_branch .LBB134_256
.LBB134_252:
	s_mov_b32 s0, -1
                                        ; implicit-def: $sgpr16
.LBB134_253:
	s_delay_alu instid0(SALU_CYCLE_1)
	s_and_not1_b32 vcc_lo, exec_lo, s0
	s_cbranch_vccnz .LBB134_255
; %bb.254:
	global_load_b32 v5, v[0:1], off
	s_and_not1_b32 s0, s16, exec_lo
	s_waitcnt vmcnt(0)
	v_cmp_ne_u32_e32 vcc_lo, 0, v5
	s_and_b32 s16, vcc_lo, exec_lo
	s_delay_alu instid0(SALU_CYCLE_1)
	s_or_b32 s16, s0, s16
.LBB134_255:
	s_mov_b32 s0, 0
.LBB134_256:
	s_delay_alu instid0(SALU_CYCLE_1)
	s_and_not1_b32 vcc_lo, exec_lo, s0
	s_cbranch_vccnz .LBB134_258
; %bb.257:
	global_load_u16 v5, v[0:1], off
	s_and_not1_b32 s0, s16, exec_lo
	s_waitcnt vmcnt(0)
	v_cmp_ne_u16_e32 vcc_lo, 0, v5
	s_and_b32 s16, vcc_lo, exec_lo
	s_delay_alu instid0(SALU_CYCLE_1)
	s_or_b32 s16, s0, s16
.LBB134_258:
	s_mov_b32 s0, 0
.LBB134_259:
	s_delay_alu instid0(SALU_CYCLE_1)
	s_and_not1_b32 vcc_lo, exec_lo, s0
	s_cbranch_vccnz .LBB134_265
; %bb.260:
	v_cmp_lt_i16_e32 vcc_lo, 0, v4
	s_mov_b32 s0, 0
	s_cbranch_vccz .LBB134_262
; %bb.261:
	global_load_u8 v4, v[0:1], off
	s_waitcnt vmcnt(0)
	v_cmp_ne_u16_e32 vcc_lo, 0, v4
	s_and_b32 s16, vcc_lo, exec_lo
	s_branch .LBB134_263
.LBB134_262:
	s_mov_b32 s0, -1
                                        ; implicit-def: $sgpr16
.LBB134_263:
	s_delay_alu instid0(SALU_CYCLE_1)
	s_and_not1_b32 vcc_lo, exec_lo, s0
	s_cbranch_vccnz .LBB134_265
; %bb.264:
	global_load_u8 v0, v[0:1], off
	s_and_not1_b32 s0, s16, exec_lo
	s_waitcnt vmcnt(0)
	v_cmp_ne_u16_e32 vcc_lo, 0, v0
	s_and_b32 s16, vcc_lo, exec_lo
	s_delay_alu instid0(SALU_CYCLE_1)
	s_or_b32 s16, s0, s16
.LBB134_265:
	s_branch .LBB134_21
.LBB134_266:
	s_mov_b32 s0, 0
	s_branch .LBB134_378
.LBB134_267:
	s_mov_b32 s18, -1
	s_mov_b32 s0, 0
	s_mov_b32 s16, 0
.LBB134_268:
	s_and_b32 vcc_lo, exec_lo, s18
	s_cbranch_vccz .LBB134_273
; %bb.269:
	v_cmp_eq_u16_e32 vcc_lo, 44, v4
	s_mov_b32 s0, -1
	s_cbranch_vccz .LBB134_273
; %bb.270:
	v_cvt_f32_f16_e32 v5, v3
	v_mov_b32_e32 v6, 0xff
	s_mov_b32 s16, exec_lo
	s_delay_alu instid0(VALU_DEP_2) | instskip(NEXT) | instid1(VALU_DEP_1)
	v_bfe_u32 v7, v5, 23, 8
	v_cmpx_ne_u32_e32 0xff, v7
; %bb.271:
	v_and_b32_e32 v6, 0x400000, v5
	v_and_or_b32 v7, 0x3fffff, v5, v7
	v_lshrrev_b32_e32 v5, 23, v5
	s_delay_alu instid0(VALU_DEP_3) | instskip(NEXT) | instid1(VALU_DEP_3)
	v_cmp_ne_u32_e32 vcc_lo, 0, v6
	v_cmp_ne_u32_e64 s0, 0, v7
	s_delay_alu instid0(VALU_DEP_1) | instskip(NEXT) | instid1(SALU_CYCLE_1)
	s_and_b32 s0, vcc_lo, s0
	v_cndmask_b32_e64 v6, 0, 1, s0
	s_delay_alu instid0(VALU_DEP_1)
	v_add_nc_u32_e32 v6, v5, v6
; %bb.272:
	s_or_b32 exec_lo, exec_lo, s16
	s_mov_b32 s16, -1
	s_mov_b32 s0, 0
	global_store_b8 v[0:1], v6, off
.LBB134_273:
	s_mov_b32 s18, 0
.LBB134_274:
	s_delay_alu instid0(SALU_CYCLE_1)
	s_and_b32 vcc_lo, exec_lo, s18
	s_cbranch_vccz .LBB134_277
; %bb.275:
	v_cmp_eq_u16_e32 vcc_lo, 29, v4
	s_mov_b32 s0, -1
	s_cbranch_vccz .LBB134_277
; %bb.276:
	v_cvt_f32_f16_e32 v5, v3
	v_mov_b32_e32 v6, 0
	s_mov_b32 s0, 0
	s_mov_b32 s16, -1
	s_mov_b32 s18, 0
	v_cvt_u32_f32_e32 v5, v5
	global_store_b64 v[0:1], v[5:6], off
	s_branch .LBB134_278
.LBB134_277:
	s_mov_b32 s18, 0
.LBB134_278:
	s_delay_alu instid0(SALU_CYCLE_1)
	s_and_b32 vcc_lo, exec_lo, s18
	s_cbranch_vccz .LBB134_294
; %bb.279:
	v_cmp_gt_i16_e32 vcc_lo, 27, v4
	s_mov_b32 s16, -1
	s_cbranch_vccnz .LBB134_285
; %bb.280:
	v_cmp_lt_i16_e32 vcc_lo, 27, v4
	s_cbranch_vccz .LBB134_282
; %bb.281:
	v_cvt_f32_f16_e32 v5, v3
	s_mov_b32 s16, 0
	s_delay_alu instid0(VALU_DEP_1)
	v_cvt_u32_f32_e32 v5, v5
	global_store_b32 v[0:1], v5, off
.LBB134_282:
	s_and_not1_b32 vcc_lo, exec_lo, s16
	s_cbranch_vccnz .LBB134_284
; %bb.283:
	v_cvt_u16_f16_e32 v5, v3
	global_store_b16 v[0:1], v5, off
.LBB134_284:
	s_mov_b32 s16, 0
.LBB134_285:
	s_delay_alu instid0(SALU_CYCLE_1)
	s_and_not1_b32 vcc_lo, exec_lo, s16
	s_cbranch_vccnz .LBB134_293
; %bb.286:
	v_cvt_f32_f16_e32 v5, v3
	v_mov_b32_e32 v7, 0x80
	s_mov_b32 s16, exec_lo
	s_delay_alu instid0(VALU_DEP_2) | instskip(NEXT) | instid1(VALU_DEP_1)
	v_and_b32_e32 v6, 0x7fffffff, v5
	v_cmpx_gt_u32_e32 0x43800000, v6
	s_cbranch_execz .LBB134_292
; %bb.287:
	v_cmp_lt_u32_e32 vcc_lo, 0x3bffffff, v6
	s_mov_b32 s18, 0
                                        ; implicit-def: $vgpr6
	s_and_saveexec_b32 s22, vcc_lo
	s_delay_alu instid0(SALU_CYCLE_1)
	s_xor_b32 s22, exec_lo, s22
	s_cbranch_execz .LBB134_406
; %bb.288:
	v_bfe_u32 v6, v5, 20, 1
	s_mov_b32 s18, exec_lo
	s_delay_alu instid0(VALU_DEP_1) | instskip(NEXT) | instid1(VALU_DEP_1)
	v_add3_u32 v6, v5, v6, 0x487ffff
	v_lshrrev_b32_e32 v6, 20, v6
	s_or_saveexec_b32 s22, s22
                                        ; implicit-def: $sgpr23
	s_delay_alu instid0(SALU_CYCLE_1)
	s_xor_b32 exec_lo, exec_lo, s22
	s_cbranch_execnz .LBB134_407
.LBB134_289:
	s_or_b32 exec_lo, exec_lo, s22
	v_mov_b32_e32 v7, s23
	s_and_saveexec_b32 s22, s18
.LBB134_290:
	v_lshrrev_b32_e32 v5, 24, v5
	s_delay_alu instid0(VALU_DEP_1)
	v_and_or_b32 v7, 0x80, v5, v6
.LBB134_291:
	s_or_b32 exec_lo, exec_lo, s22
.LBB134_292:
	s_delay_alu instid0(SALU_CYCLE_1)
	s_or_b32 exec_lo, exec_lo, s16
	global_store_b8 v[0:1], v7, off
.LBB134_293:
	s_mov_b32 s16, -1
.LBB134_294:
	s_mov_b32 s18, 0
.LBB134_295:
	s_delay_alu instid0(SALU_CYCLE_1)
	s_and_b32 vcc_lo, exec_lo, s18
	s_cbranch_vccz .LBB134_336
; %bb.296:
	v_cmp_lt_i16_e32 vcc_lo, 22, v4
	s_mov_b32 s18, -1
	s_cbranch_vccz .LBB134_328
; %bb.297:
	v_cmp_gt_i16_e32 vcc_lo, 24, v4
	s_mov_b32 s16, -1
	s_cbranch_vccnz .LBB134_317
; %bb.298:
	v_cmp_lt_i16_e32 vcc_lo, 24, v4
	s_cbranch_vccz .LBB134_306
; %bb.299:
	v_cvt_f32_f16_e32 v5, v3
	v_mov_b32_e32 v7, 0x80
	s_mov_b32 s16, exec_lo
	s_delay_alu instid0(VALU_DEP_2) | instskip(NEXT) | instid1(VALU_DEP_1)
	v_and_b32_e32 v6, 0x7fffffff, v5
	v_cmpx_gt_u32_e32 0x47800000, v6
	s_cbranch_execz .LBB134_305
; %bb.300:
	v_cmp_lt_u32_e32 vcc_lo, 0x37ffffff, v6
	s_mov_b32 s18, 0
                                        ; implicit-def: $vgpr6
	s_and_saveexec_b32 s22, vcc_lo
	s_delay_alu instid0(SALU_CYCLE_1)
	s_xor_b32 s22, exec_lo, s22
	s_cbranch_execz .LBB134_525
; %bb.301:
	v_bfe_u32 v6, v5, 21, 1
	s_mov_b32 s18, exec_lo
	s_delay_alu instid0(VALU_DEP_1) | instskip(NEXT) | instid1(VALU_DEP_1)
	v_add3_u32 v6, v5, v6, 0x88fffff
	v_lshrrev_b32_e32 v6, 21, v6
	s_or_saveexec_b32 s22, s22
                                        ; implicit-def: $sgpr23
	s_delay_alu instid0(SALU_CYCLE_1)
	s_xor_b32 exec_lo, exec_lo, s22
	s_cbranch_execnz .LBB134_526
.LBB134_302:
	s_or_b32 exec_lo, exec_lo, s22
	v_mov_b32_e32 v7, s23
	s_and_saveexec_b32 s22, s18
.LBB134_303:
	v_lshrrev_b32_e32 v5, 24, v5
	s_delay_alu instid0(VALU_DEP_1)
	v_and_or_b32 v7, 0x80, v5, v6
.LBB134_304:
	s_or_b32 exec_lo, exec_lo, s22
.LBB134_305:
	s_delay_alu instid0(SALU_CYCLE_1)
	s_or_b32 exec_lo, exec_lo, s16
	s_mov_b32 s16, 0
	global_store_b8 v[0:1], v7, off
.LBB134_306:
	s_and_b32 vcc_lo, exec_lo, s16
	s_cbranch_vccz .LBB134_316
; %bb.307:
	v_cvt_f32_f16_e32 v5, v3
	s_mov_b32 s16, exec_lo
                                        ; implicit-def: $vgpr6
	s_delay_alu instid0(VALU_DEP_1) | instskip(NEXT) | instid1(VALU_DEP_1)
	v_and_b32_e32 v7, 0x7fffffff, v5
	v_cmpx_gt_u32_e32 0x43f00000, v7
	s_xor_b32 s16, exec_lo, s16
	s_cbranch_execz .LBB134_313
; %bb.308:
	s_mov_b32 s18, exec_lo
                                        ; implicit-def: $vgpr6
	v_cmpx_lt_u32_e32 0x3c7fffff, v7
	s_xor_b32 s18, exec_lo, s18
; %bb.309:
	v_bfe_u32 v6, v5, 20, 1
	s_delay_alu instid0(VALU_DEP_1) | instskip(NEXT) | instid1(VALU_DEP_1)
	v_add3_u32 v6, v5, v6, 0x407ffff
	v_and_b32_e32 v7, 0xff00000, v6
	v_lshrrev_b32_e32 v6, 20, v6
	s_delay_alu instid0(VALU_DEP_2) | instskip(NEXT) | instid1(VALU_DEP_2)
	v_cmp_ne_u32_e32 vcc_lo, 0x7f00000, v7
	v_cndmask_b32_e32 v6, 0x7e, v6, vcc_lo
; %bb.310:
	s_and_not1_saveexec_b32 s18, s18
; %bb.311:
	v_add_f32_e64 v6, 0x46800000, |v5|
; %bb.312:
	s_or_b32 exec_lo, exec_lo, s18
                                        ; implicit-def: $vgpr7
.LBB134_313:
	s_and_not1_saveexec_b32 s16, s16
; %bb.314:
	v_mov_b32_e32 v6, 0x7f
	v_cmp_lt_u32_e32 vcc_lo, 0x7f800000, v7
	s_delay_alu instid0(VALU_DEP_2)
	v_cndmask_b32_e32 v6, 0x7e, v6, vcc_lo
; %bb.315:
	s_or_b32 exec_lo, exec_lo, s16
	v_lshrrev_b32_e32 v5, 24, v5
	s_delay_alu instid0(VALU_DEP_1)
	v_and_or_b32 v5, 0x80, v5, v6
	global_store_b8 v[0:1], v5, off
.LBB134_316:
	s_mov_b32 s16, 0
.LBB134_317:
	s_delay_alu instid0(SALU_CYCLE_1)
	s_and_not1_b32 vcc_lo, exec_lo, s16
	s_cbranch_vccnz .LBB134_327
; %bb.318:
	v_cvt_f32_f16_e32 v5, v3
	s_mov_b32 s16, exec_lo
                                        ; implicit-def: $vgpr6
	s_delay_alu instid0(VALU_DEP_1) | instskip(NEXT) | instid1(VALU_DEP_1)
	v_and_b32_e32 v7, 0x7fffffff, v5
	v_cmpx_gt_u32_e32 0x47800000, v7
	s_xor_b32 s16, exec_lo, s16
	s_cbranch_execz .LBB134_324
; %bb.319:
	s_mov_b32 s18, exec_lo
                                        ; implicit-def: $vgpr6
	v_cmpx_lt_u32_e32 0x387fffff, v7
	s_xor_b32 s18, exec_lo, s18
; %bb.320:
	v_bfe_u32 v6, v5, 21, 1
	s_delay_alu instid0(VALU_DEP_1) | instskip(NEXT) | instid1(VALU_DEP_1)
	v_add3_u32 v6, v5, v6, 0x80fffff
	v_lshrrev_b32_e32 v6, 21, v6
; %bb.321:
	s_and_not1_saveexec_b32 s18, s18
; %bb.322:
	v_add_f32_e64 v6, 0x43000000, |v5|
; %bb.323:
	s_or_b32 exec_lo, exec_lo, s18
                                        ; implicit-def: $vgpr7
.LBB134_324:
	s_and_not1_saveexec_b32 s16, s16
; %bb.325:
	v_mov_b32_e32 v6, 0x7f
	v_cmp_lt_u32_e32 vcc_lo, 0x7f800000, v7
	s_delay_alu instid0(VALU_DEP_2)
	v_cndmask_b32_e32 v6, 0x7c, v6, vcc_lo
; %bb.326:
	s_or_b32 exec_lo, exec_lo, s16
	v_lshrrev_b32_e32 v5, 24, v5
	s_delay_alu instid0(VALU_DEP_1)
	v_and_or_b32 v5, 0x80, v5, v6
	global_store_b8 v[0:1], v5, off
.LBB134_327:
	s_mov_b32 s18, 0
	s_mov_b32 s16, -1
.LBB134_328:
	s_and_not1_b32 vcc_lo, exec_lo, s18
	s_cbranch_vccnz .LBB134_336
; %bb.329:
	v_cmp_lt_i16_e32 vcc_lo, 14, v4
	s_mov_b32 s18, -1
	s_cbranch_vccz .LBB134_333
; %bb.330:
	v_cmp_eq_u16_e32 vcc_lo, 15, v4
	s_mov_b32 s0, -1
	s_cbranch_vccz .LBB134_332
; %bb.331:
	v_cvt_f32_f16_e32 v5, v3
	v_cmp_o_f16_e32 vcc_lo, v3, v3
	s_mov_b32 s16, -1
	s_mov_b32 s0, 0
	s_delay_alu instid0(VALU_DEP_2) | instskip(NEXT) | instid1(VALU_DEP_1)
	v_bfe_u32 v6, v5, 16, 1
	v_add3_u32 v5, v5, v6, 0x7fff
	s_delay_alu instid0(VALU_DEP_1) | instskip(NEXT) | instid1(VALU_DEP_1)
	v_lshrrev_b32_e32 v5, 16, v5
	v_cndmask_b32_e32 v5, 0x7fc0, v5, vcc_lo
	global_store_b16 v[0:1], v5, off
.LBB134_332:
	s_mov_b32 s18, 0
.LBB134_333:
	s_delay_alu instid0(SALU_CYCLE_1)
	s_and_b32 vcc_lo, exec_lo, s18
	s_cbranch_vccz .LBB134_336
; %bb.334:
	v_cmp_eq_u16_e32 vcc_lo, 11, v4
	s_mov_b32 s0, -1
	s_cbranch_vccz .LBB134_336
; %bb.335:
	v_cmp_neq_f16_e32 vcc_lo, 0, v3
	s_mov_b32 s0, 0
	s_mov_b32 s16, -1
	v_cndmask_b32_e64 v5, 0, 1, vcc_lo
	global_store_b8 v[0:1], v5, off
.LBB134_336:
	s_mov_b32 s18, 0
.LBB134_337:
	s_delay_alu instid0(SALU_CYCLE_1)
	s_and_b32 vcc_lo, exec_lo, s18
	s_cbranch_vccz .LBB134_376
; %bb.338:
	v_cmp_gt_i16_e32 vcc_lo, 5, v4
	s_mov_b32 s16, -1
	s_cbranch_vccnz .LBB134_359
; %bb.339:
	v_cmp_gt_i16_e32 vcc_lo, 8, v4
	s_cbranch_vccnz .LBB134_349
; %bb.340:
	v_cmp_gt_i16_e32 vcc_lo, 9, v4
	s_cbranch_vccnz .LBB134_346
; %bb.341:
	v_cmp_lt_i16_e32 vcc_lo, 9, v4
	s_cbranch_vccz .LBB134_343
; %bb.342:
	v_cvt_f32_f16_e32 v5, v3
	v_mov_b32_e32 v7, 0
	s_mov_b32 s16, 0
	s_delay_alu instid0(VALU_DEP_2) | instskip(NEXT) | instid1(VALU_DEP_2)
	v_cvt_f64_f32_e32 v[5:6], v5
	v_mov_b32_e32 v8, v7
	global_store_b128 v[0:1], v[5:8], off
.LBB134_343:
	s_and_not1_b32 vcc_lo, exec_lo, s16
	s_cbranch_vccnz .LBB134_345
; %bb.344:
	v_cvt_f32_f16_e32 v5, v3
	v_mov_b32_e32 v6, 0
	global_store_b64 v[0:1], v[5:6], off
.LBB134_345:
	s_mov_b32 s16, 0
.LBB134_346:
	s_delay_alu instid0(SALU_CYCLE_1)
	s_and_not1_b32 vcc_lo, exec_lo, s16
	s_cbranch_vccnz .LBB134_348
; %bb.347:
	v_and_b32_e32 v5, 0xffff, v3
	global_store_b32 v[0:1], v5, off
.LBB134_348:
	s_mov_b32 s16, 0
.LBB134_349:
	s_delay_alu instid0(SALU_CYCLE_1)
	s_and_not1_b32 vcc_lo, exec_lo, s16
	s_cbranch_vccnz .LBB134_358
; %bb.350:
	v_cmp_gt_i16_e32 vcc_lo, 6, v4
	s_mov_b32 s16, -1
	s_cbranch_vccnz .LBB134_356
; %bb.351:
	v_cmp_lt_i16_e32 vcc_lo, 6, v4
	s_cbranch_vccz .LBB134_353
; %bb.352:
	v_cvt_f32_f16_e32 v5, v3
	s_mov_b32 s16, 0
	s_delay_alu instid0(VALU_DEP_1)
	v_cvt_f64_f32_e32 v[5:6], v5
	global_store_b64 v[0:1], v[5:6], off
.LBB134_353:
	s_and_not1_b32 vcc_lo, exec_lo, s16
	s_cbranch_vccnz .LBB134_355
; %bb.354:
	v_cvt_f32_f16_e32 v5, v3
	global_store_b32 v[0:1], v5, off
.LBB134_355:
	s_mov_b32 s16, 0
.LBB134_356:
	s_delay_alu instid0(SALU_CYCLE_1)
	s_and_not1_b32 vcc_lo, exec_lo, s16
	s_cbranch_vccnz .LBB134_358
; %bb.357:
	global_store_b16 v[0:1], v3, off
.LBB134_358:
	s_mov_b32 s16, 0
.LBB134_359:
	s_delay_alu instid0(SALU_CYCLE_1)
	s_and_not1_b32 vcc_lo, exec_lo, s16
	s_cbranch_vccnz .LBB134_375
; %bb.360:
	v_cmp_gt_i16_e32 vcc_lo, 2, v4
	s_mov_b32 s16, -1
	s_cbranch_vccnz .LBB134_370
; %bb.361:
	v_cmp_gt_i16_e32 vcc_lo, 3, v4
	s_cbranch_vccnz .LBB134_367
; %bb.362:
	v_cmp_lt_i16_e32 vcc_lo, 3, v4
	s_cbranch_vccz .LBB134_364
; %bb.363:
	v_cvt_f32_f16_e32 v5, v3
	s_mov_b32 s16, 0
	s_delay_alu instid0(VALU_DEP_1) | instskip(NEXT) | instid1(VALU_DEP_1)
	v_cvt_i32_f32_e32 v5, v5
	v_ashrrev_i32_e32 v6, 31, v5
	global_store_b64 v[0:1], v[5:6], off
.LBB134_364:
	s_and_not1_b32 vcc_lo, exec_lo, s16
	s_cbranch_vccnz .LBB134_366
; %bb.365:
	v_cvt_f32_f16_e32 v5, v3
	s_delay_alu instid0(VALU_DEP_1)
	v_cvt_i32_f32_e32 v5, v5
	global_store_b32 v[0:1], v5, off
.LBB134_366:
	s_mov_b32 s16, 0
.LBB134_367:
	s_delay_alu instid0(SALU_CYCLE_1)
	s_and_not1_b32 vcc_lo, exec_lo, s16
	s_cbranch_vccnz .LBB134_369
; %bb.368:
	v_cvt_i16_f16_e32 v5, v3
	global_store_b16 v[0:1], v5, off
.LBB134_369:
	s_mov_b32 s16, 0
.LBB134_370:
	s_delay_alu instid0(SALU_CYCLE_1)
	s_and_not1_b32 vcc_lo, exec_lo, s16
	s_cbranch_vccnz .LBB134_375
; %bb.371:
	v_cmp_lt_i16_e32 vcc_lo, 0, v4
	s_mov_b32 s16, -1
	s_cbranch_vccz .LBB134_373
; %bb.372:
	v_cvt_i16_f16_e32 v4, v3
	s_mov_b32 s16, 0
	global_store_b8 v[0:1], v4, off
.LBB134_373:
	s_and_not1_b32 vcc_lo, exec_lo, s16
	s_cbranch_vccnz .LBB134_375
; %bb.374:
	v_cvt_f32_f16_e32 v3, v3
	s_delay_alu instid0(VALU_DEP_1)
	v_cvt_i32_f32_e32 v3, v3
	global_store_b8 v[0:1], v3, off
.LBB134_375:
	s_mov_b32 s16, -1
.LBB134_376:
	s_delay_alu instid0(SALU_CYCLE_1)
	s_and_not1_b32 vcc_lo, exec_lo, s16
	s_mov_b32 s18, 0
	s_cbranch_vccnz .LBB134_378
; %bb.377:
	v_add_nc_u32_e32 v2, 0x80, v2
	s_mov_b32 s22, -1
	s_branch .LBB134_379
.LBB134_378:
	s_mov_b32 s22, 0
                                        ; implicit-def: $vgpr2
.LBB134_379:
	s_and_b32 s16, s0, exec_lo
	s_and_b32 s18, s18, exec_lo
	;; [unrolled: 1-line block ×3, first 2 shown]
	s_or_not1_b32 s23, s22, exec_lo
.LBB134_380:
	s_or_b32 exec_lo, exec_lo, s20
	s_mov_b32 s22, 0
	s_mov_b32 s0, 0
                                        ; implicit-def: $vgpr4
                                        ; implicit-def: $vgpr0_vgpr1
                                        ; implicit-def: $vgpr3
	s_and_saveexec_b32 s20, s23
	s_cbranch_execz .LBB134_1242
; %bb.381:
	s_mov_b32 s26, -1
	s_mov_b32 s21, s19
	s_mov_b32 s23, s18
	;; [unrolled: 1-line block ×3, first 2 shown]
	s_mov_b32 s24, exec_lo
	v_cmpx_gt_i32_e64 s17, v2
	s_cbranch_execz .LBB134_768
; %bb.382:
	v_mul_lo_u32 v0, v2, s9
	v_and_b32_e64 v4, 0xff, s14
	s_delay_alu instid0(VALU_DEP_1) | instskip(NEXT) | instid1(VALU_DEP_3)
	v_cmp_gt_i16_e32 vcc_lo, 11, v4
	v_ashrrev_i32_e32 v1, 31, v0
	v_add_co_u32 v0, s0, s6, v0
	s_delay_alu instid0(VALU_DEP_1)
	v_add_co_ci_u32_e64 v1, s0, s7, v1, s0
	s_cbranch_vccnz .LBB134_389
; %bb.383:
	v_cmp_lt_i16_e32 vcc_lo, 25, v4
	s_cbranch_vccz .LBB134_398
; %bb.384:
	v_cmp_lt_i16_e32 vcc_lo, 28, v4
	s_cbranch_vccz .LBB134_400
	;; [unrolled: 3-line block ×4, first 2 shown]
; %bb.387:
	v_cmp_eq_u16_e32 vcc_lo, 46, v4
	s_mov_b32 s22, 0
	s_cbranch_vccz .LBB134_408
; %bb.388:
	global_load_b32 v3, v[0:1], off
	s_mov_b32 s0, -1
	s_mov_b32 s21, 0
	s_waitcnt vmcnt(0)
	v_lshlrev_b32_e32 v3, 16, v3
	s_delay_alu instid0(VALU_DEP_1)
	v_cvt_f16_f32_e32 v3, v3
	s_branch .LBB134_410
.LBB134_389:
	s_mov_b32 s0, 0
	s_mov_b32 s21, s19
                                        ; implicit-def: $vgpr3
	s_cbranch_execnz .LBB134_476
.LBB134_390:
	s_and_not1_b32 vcc_lo, exec_lo, s0
	s_cbranch_vccnz .LBB134_524
.LBB134_391:
	v_mul_lo_u32 v0, v2, s10
	v_and_b32_e64 v4, 0xff, s1
	s_delay_alu instid0(VALU_DEP_1) | instskip(NEXT) | instid1(VALU_DEP_3)
	v_cmp_gt_i16_e32 vcc_lo, 11, v4
	v_ashrrev_i32_e32 v1, 31, v0
	v_add_co_u32 v0, s0, s2, v0
	s_delay_alu instid0(VALU_DEP_1)
	v_add_co_ci_u32_e64 v1, s0, s3, v1, s0
	s_cbranch_vccnz .LBB134_399
; %bb.392:
	v_cmp_lt_i16_e32 vcc_lo, 25, v4
	s_cbranch_vccz .LBB134_401
; %bb.393:
	v_cmp_lt_i16_e32 vcc_lo, 28, v4
	s_cbranch_vccz .LBB134_403
	;; [unrolled: 3-line block ×4, first 2 shown]
; %bb.396:
	v_cmp_eq_u16_e32 vcc_lo, 46, v4
	s_mov_b32 s25, 0
	s_cbranch_vccz .LBB134_527
; %bb.397:
	global_load_b32 v5, v[0:1], off
	s_mov_b32 s23, 0
	s_mov_b32 s0, -1
	s_waitcnt vmcnt(0)
	v_and_b32_e32 v5, 0x7fff7fff, v5
	s_delay_alu instid0(VALU_DEP_1)
	v_cmp_ne_u32_e32 vcc_lo, 0, v5
	s_and_b32 s22, vcc_lo, exec_lo
	s_branch .LBB134_529
.LBB134_398:
	s_mov_b32 s22, -1
	s_mov_b32 s0, 0
	s_mov_b32 s21, s19
                                        ; implicit-def: $vgpr3
	s_branch .LBB134_440
.LBB134_399:
	s_mov_b32 s25, -1
	s_mov_b32 s0, 0
	s_mov_b32 s23, s18
                                        ; implicit-def: $sgpr22
	s_branch .LBB134_592
.LBB134_400:
	s_mov_b32 s22, -1
	s_mov_b32 s0, 0
	s_mov_b32 s21, s19
                                        ; implicit-def: $vgpr3
	s_branch .LBB134_421
.LBB134_401:
	s_mov_b32 s25, -1
	s_mov_b32 s0, 0
	s_mov_b32 s23, s18
                                        ; implicit-def: $sgpr22
	s_branch .LBB134_556
.LBB134_402:
	s_mov_b32 s22, -1
	s_mov_b32 s0, 0
	s_mov_b32 s21, s19
                                        ; implicit-def: $vgpr3
	s_branch .LBB134_416
.LBB134_403:
	s_mov_b32 s25, -1
	s_mov_b32 s0, 0
	s_mov_b32 s23, s18
                                        ; implicit-def: $sgpr22
	s_branch .LBB134_537
.LBB134_404:
	s_mov_b32 s22, -1
	s_mov_b32 s0, 0
	s_mov_b32 s21, s19
	s_branch .LBB134_409
.LBB134_405:
	s_mov_b32 s25, -1
	s_mov_b32 s0, 0
	s_mov_b32 s23, s18
                                        ; implicit-def: $sgpr22
	s_branch .LBB134_532
.LBB134_406:
	s_or_saveexec_b32 s22, s22
                                        ; implicit-def: $sgpr23
	s_delay_alu instid0(SALU_CYCLE_1)
	s_xor_b32 exec_lo, exec_lo, s22
	s_cbranch_execz .LBB134_289
.LBB134_407:
	v_add_f32_e64 v6, 0x46000000, |v5|
	s_and_not1_b32 s18, s18, exec_lo
	s_mov_b32 s23, 0
	s_delay_alu instid0(VALU_DEP_1) | instskip(NEXT) | instid1(VALU_DEP_1)
	v_and_b32_e32 v6, 0xff, v6
	v_cmp_ne_u32_e32 vcc_lo, 0, v6
	s_and_b32 s24, vcc_lo, exec_lo
	s_delay_alu instid0(SALU_CYCLE_1)
	s_or_b32 s18, s18, s24
	s_or_b32 exec_lo, exec_lo, s22
	v_mov_b32_e32 v7, s23
	s_and_saveexec_b32 s22, s18
	s_cbranch_execnz .LBB134_290
	s_branch .LBB134_291
.LBB134_408:
	s_mov_b32 s21, -1
	s_mov_b32 s0, 0
.LBB134_409:
                                        ; implicit-def: $vgpr3
.LBB134_410:
	s_and_b32 vcc_lo, exec_lo, s22
	s_cbranch_vccz .LBB134_415
; %bb.411:
	v_cmp_eq_u16_e32 vcc_lo, 44, v4
	s_cbranch_vccz .LBB134_414
; %bb.412:
	global_load_u8 v3, v[0:1], off
	s_mov_b32 s21, 0
	s_mov_b32 s0, -1
	s_waitcnt vmcnt(0)
	v_lshlrev_b32_e32 v5, 23, v3
	v_cmp_ne_u32_e32 vcc_lo, 0xff, v3
	s_delay_alu instid0(VALU_DEP_2) | instskip(NEXT) | instid1(VALU_DEP_1)
	v_cvt_f16_f32_e32 v5, v5
	v_cndmask_b32_e32 v5, 0x7e00, v5, vcc_lo
	v_cmp_ne_u32_e32 vcc_lo, 0, v3
	s_delay_alu instid0(VALU_DEP_2)
	v_cndmask_b32_e32 v3, 0, v5, vcc_lo
	s_branch .LBB134_415
.LBB134_413:
	s_mov_b32 s25, -1
	s_mov_b32 s0, 0
	s_mov_b32 s23, s18
	s_branch .LBB134_528
.LBB134_414:
	s_mov_b32 s21, -1
                                        ; implicit-def: $vgpr3
.LBB134_415:
	s_mov_b32 s22, 0
.LBB134_416:
	s_delay_alu instid0(SALU_CYCLE_1)
	s_and_b32 vcc_lo, exec_lo, s22
	s_cbranch_vccz .LBB134_420
; %bb.417:
	v_cmp_eq_u16_e32 vcc_lo, 29, v4
	s_cbranch_vccz .LBB134_419
; %bb.418:
	global_load_b64 v[5:6], v[0:1], off
	s_mov_b32 s0, -1
	s_mov_b32 s21, 0
	s_mov_b32 s22, 0
	s_waitcnt vmcnt(0)
	v_clz_i32_u32_e32 v3, v6
	s_delay_alu instid0(VALU_DEP_1) | instskip(NEXT) | instid1(VALU_DEP_1)
	v_min_u32_e32 v3, 32, v3
	v_lshlrev_b64 v[5:6], v3, v[5:6]
	v_sub_nc_u32_e32 v3, 32, v3
	s_delay_alu instid0(VALU_DEP_2) | instskip(NEXT) | instid1(VALU_DEP_1)
	v_min_u32_e32 v5, 1, v5
	v_or_b32_e32 v5, v6, v5
	s_delay_alu instid0(VALU_DEP_1) | instskip(NEXT) | instid1(VALU_DEP_1)
	v_cvt_f32_u32_e32 v5, v5
	v_ldexp_f32 v3, v5, v3
	s_delay_alu instid0(VALU_DEP_1)
	v_cvt_f16_f32_e32 v3, v3
	s_branch .LBB134_421
.LBB134_419:
	s_mov_b32 s21, -1
                                        ; implicit-def: $vgpr3
.LBB134_420:
	s_mov_b32 s22, 0
.LBB134_421:
	s_delay_alu instid0(SALU_CYCLE_1)
	s_and_b32 vcc_lo, exec_lo, s22
	s_cbranch_vccz .LBB134_439
; %bb.422:
	v_cmp_gt_i16_e32 vcc_lo, 27, v4
	s_cbranch_vccnz .LBB134_425
; %bb.423:
	v_cmp_lt_i16_e32 vcc_lo, 27, v4
	s_cbranch_vccz .LBB134_426
; %bb.424:
	global_load_b32 v3, v[0:1], off
	s_mov_b32 s0, 0
	s_waitcnt vmcnt(0)
	v_cvt_f32_u32_e32 v3, v3
	s_delay_alu instid0(VALU_DEP_1)
	v_cvt_f16_f32_e32 v3, v3
	s_branch .LBB134_427
.LBB134_425:
	s_mov_b32 s0, -1
                                        ; implicit-def: $vgpr3
	s_branch .LBB134_430
.LBB134_426:
	s_mov_b32 s0, -1
                                        ; implicit-def: $vgpr3
.LBB134_427:
	s_delay_alu instid0(SALU_CYCLE_1)
	s_and_not1_b32 vcc_lo, exec_lo, s0
	s_cbranch_vccnz .LBB134_429
; %bb.428:
	global_load_u16 v3, v[0:1], off
	s_waitcnt vmcnt(0)
	v_cvt_f16_u16_e32 v3, v3
.LBB134_429:
	s_mov_b32 s0, 0
.LBB134_430:
	s_delay_alu instid0(SALU_CYCLE_1)
	s_and_not1_b32 vcc_lo, exec_lo, s0
	s_cbranch_vccnz .LBB134_438
; %bb.431:
	global_load_u8 v5, v[0:1], off
	s_mov_b32 s0, 0
	s_mov_b32 s23, exec_lo
                                        ; implicit-def: $sgpr22
	s_waitcnt vmcnt(0)
	v_cmpx_lt_i16_e32 0x7f, v5
	s_xor_b32 s23, exec_lo, s23
	s_cbranch_execz .LBB134_452
; %bb.432:
	s_mov_b32 s0, -1
	s_mov_b32 s25, exec_lo
                                        ; implicit-def: $sgpr22
	v_cmpx_eq_u16_e32 0x80, v5
; %bb.433:
	s_movk_i32 s22, 0x7e00
	s_xor_b32 s0, exec_lo, -1
; %bb.434:
	s_or_b32 exec_lo, exec_lo, s25
	s_delay_alu instid0(SALU_CYCLE_1)
	s_and_b32 s0, s0, exec_lo
	s_or_saveexec_b32 s23, s23
	v_mov_b32_e32 v3, s22
	s_xor_b32 exec_lo, exec_lo, s23
	s_cbranch_execnz .LBB134_453
.LBB134_435:
	s_or_b32 exec_lo, exec_lo, s23
	s_and_saveexec_b32 s22, s0
	s_cbranch_execz .LBB134_437
.LBB134_436:
	v_and_b32_e32 v3, 0xffff, v5
	v_lshlrev_b32_e32 v5, 24, v5
	s_delay_alu instid0(VALU_DEP_2) | instskip(NEXT) | instid1(VALU_DEP_2)
	v_and_b32_e32 v6, 7, v3
	v_and_b32_e32 v5, 0x80000000, v5
	s_delay_alu instid0(VALU_DEP_2) | instskip(NEXT) | instid1(VALU_DEP_1)
	v_clz_i32_u32_e32 v7, v6
	v_min_u32_e32 v7, 32, v7
	s_delay_alu instid0(VALU_DEP_1) | instskip(SKIP_1) | instid1(VALU_DEP_2)
	v_subrev_nc_u32_e32 v8, 28, v7
	v_sub_nc_u32_e32 v7, 29, v7
	v_lshlrev_b32_e32 v8, v8, v3
	v_bfe_u32 v3, v3, 3, 4
	s_delay_alu instid0(VALU_DEP_1) | instskip(NEXT) | instid1(VALU_DEP_3)
	v_cmp_eq_u32_e32 vcc_lo, 0, v3
	v_dual_cndmask_b32 v3, v3, v7 :: v_dual_and_b32 v8, 7, v8
	s_delay_alu instid0(VALU_DEP_1) | instskip(NEXT) | instid1(VALU_DEP_2)
	v_cndmask_b32_e32 v6, v6, v8, vcc_lo
	v_lshl_add_u32 v3, v3, 23, 0x3b800000
	s_delay_alu instid0(VALU_DEP_2) | instskip(NEXT) | instid1(VALU_DEP_1)
	v_lshlrev_b32_e32 v6, 20, v6
	v_or3_b32 v3, v5, v3, v6
	s_delay_alu instid0(VALU_DEP_1)
	v_cvt_f16_f32_e32 v3, v3
.LBB134_437:
	s_or_b32 exec_lo, exec_lo, s22
.LBB134_438:
	s_mov_b32 s0, -1
.LBB134_439:
	s_mov_b32 s22, 0
.LBB134_440:
	s_delay_alu instid0(SALU_CYCLE_1)
	s_and_b32 vcc_lo, exec_lo, s22
	s_cbranch_vccz .LBB134_475
; %bb.441:
	v_cmp_lt_i16_e32 vcc_lo, 22, v4
	s_cbranch_vccz .LBB134_451
; %bb.442:
	v_cmp_gt_i16_e32 vcc_lo, 24, v4
	s_cbranch_vccnz .LBB134_454
; %bb.443:
	v_cmp_lt_i16_e32 vcc_lo, 24, v4
	s_cbranch_vccz .LBB134_455
; %bb.444:
	global_load_u8 v5, v[0:1], off
	s_mov_b32 s0, 0
	s_mov_b32 s23, exec_lo
                                        ; implicit-def: $sgpr22
	s_waitcnt vmcnt(0)
	v_cmpx_lt_i16_e32 0x7f, v5
	s_xor_b32 s23, exec_lo, s23
	s_cbranch_execz .LBB134_467
; %bb.445:
	s_mov_b32 s0, -1
	s_mov_b32 s25, exec_lo
                                        ; implicit-def: $sgpr22
	v_cmpx_eq_u16_e32 0x80, v5
; %bb.446:
	s_movk_i32 s22, 0x7e00
	s_xor_b32 s0, exec_lo, -1
; %bb.447:
	s_or_b32 exec_lo, exec_lo, s25
	s_delay_alu instid0(SALU_CYCLE_1)
	s_and_b32 s0, s0, exec_lo
	s_or_saveexec_b32 s23, s23
	v_mov_b32_e32 v3, s22
	s_xor_b32 exec_lo, exec_lo, s23
	s_cbranch_execnz .LBB134_468
.LBB134_448:
	s_or_b32 exec_lo, exec_lo, s23
	s_and_saveexec_b32 s22, s0
	s_cbranch_execz .LBB134_450
.LBB134_449:
	v_and_b32_e32 v3, 0xffff, v5
	v_lshlrev_b32_e32 v5, 24, v5
	s_delay_alu instid0(VALU_DEP_2) | instskip(NEXT) | instid1(VALU_DEP_2)
	v_and_b32_e32 v6, 3, v3
	v_and_b32_e32 v5, 0x80000000, v5
	s_delay_alu instid0(VALU_DEP_2) | instskip(NEXT) | instid1(VALU_DEP_1)
	v_clz_i32_u32_e32 v7, v6
	v_min_u32_e32 v7, 32, v7
	s_delay_alu instid0(VALU_DEP_1) | instskip(SKIP_1) | instid1(VALU_DEP_2)
	v_subrev_nc_u32_e32 v8, 29, v7
	v_sub_nc_u32_e32 v7, 30, v7
	v_lshlrev_b32_e32 v8, v8, v3
	v_bfe_u32 v3, v3, 2, 5
	s_delay_alu instid0(VALU_DEP_1) | instskip(NEXT) | instid1(VALU_DEP_3)
	v_cmp_eq_u32_e32 vcc_lo, 0, v3
	v_dual_cndmask_b32 v3, v3, v7 :: v_dual_and_b32 v8, 3, v8
	s_delay_alu instid0(VALU_DEP_1) | instskip(NEXT) | instid1(VALU_DEP_2)
	v_cndmask_b32_e32 v6, v6, v8, vcc_lo
	v_lshl_add_u32 v3, v3, 23, 0x37800000
	s_delay_alu instid0(VALU_DEP_2) | instskip(NEXT) | instid1(VALU_DEP_1)
	v_lshlrev_b32_e32 v6, 21, v6
	v_or3_b32 v3, v5, v3, v6
	s_delay_alu instid0(VALU_DEP_1)
	v_cvt_f16_f32_e32 v3, v3
.LBB134_450:
	s_or_b32 exec_lo, exec_lo, s22
	s_mov_b32 s0, 0
	s_branch .LBB134_456
.LBB134_451:
	s_mov_b32 s22, -1
                                        ; implicit-def: $vgpr3
	s_branch .LBB134_462
.LBB134_452:
	s_or_saveexec_b32 s23, s23
	v_mov_b32_e32 v3, s22
	s_xor_b32 exec_lo, exec_lo, s23
	s_cbranch_execz .LBB134_435
.LBB134_453:
	v_cmp_ne_u16_e32 vcc_lo, 0, v5
	v_mov_b32_e32 v3, v5
	s_and_not1_b32 s0, s0, exec_lo
	s_and_b32 s22, vcc_lo, exec_lo
	s_delay_alu instid0(SALU_CYCLE_1)
	s_or_b32 s0, s0, s22
	s_or_b32 exec_lo, exec_lo, s23
	s_and_saveexec_b32 s22, s0
	s_cbranch_execnz .LBB134_436
	s_branch .LBB134_437
.LBB134_454:
	s_mov_b32 s0, -1
                                        ; implicit-def: $vgpr3
	s_branch .LBB134_459
.LBB134_455:
	s_mov_b32 s0, -1
                                        ; implicit-def: $vgpr3
.LBB134_456:
	s_delay_alu instid0(SALU_CYCLE_1)
	s_and_b32 vcc_lo, exec_lo, s0
	s_cbranch_vccz .LBB134_458
; %bb.457:
	global_load_u8 v3, v[0:1], off
	s_waitcnt vmcnt(0)
	v_lshlrev_b32_e32 v3, 24, v3
	s_delay_alu instid0(VALU_DEP_1) | instskip(NEXT) | instid1(VALU_DEP_1)
	v_and_b32_e32 v5, 0x7f000000, v3
	v_clz_i32_u32_e32 v6, v5
	v_cmp_ne_u32_e32 vcc_lo, 0, v5
	v_add_nc_u32_e32 v8, 0x1000000, v5
	s_delay_alu instid0(VALU_DEP_3) | instskip(NEXT) | instid1(VALU_DEP_1)
	v_min_u32_e32 v6, 32, v6
	v_sub_nc_u32_e64 v6, v6, 4 clamp
	s_delay_alu instid0(VALU_DEP_1) | instskip(SKIP_1) | instid1(VALU_DEP_2)
	v_lshlrev_b32_e32 v7, v6, v5
	v_lshlrev_b32_e32 v6, 23, v6
	v_lshrrev_b32_e32 v7, 4, v7
	s_delay_alu instid0(VALU_DEP_1) | instskip(SKIP_1) | instid1(VALU_DEP_2)
	v_sub_nc_u32_e32 v6, v7, v6
	v_ashrrev_i32_e32 v7, 8, v8
	v_add_nc_u32_e32 v6, 0x3c000000, v6
	s_delay_alu instid0(VALU_DEP_1) | instskip(NEXT) | instid1(VALU_DEP_1)
	v_and_or_b32 v6, 0x7f800000, v7, v6
	v_cndmask_b32_e32 v5, 0, v6, vcc_lo
	s_delay_alu instid0(VALU_DEP_1) | instskip(NEXT) | instid1(VALU_DEP_1)
	v_and_or_b32 v3, 0x80000000, v3, v5
	v_cvt_f16_f32_e32 v3, v3
.LBB134_458:
	s_mov_b32 s0, 0
.LBB134_459:
	s_delay_alu instid0(SALU_CYCLE_1)
	s_and_not1_b32 vcc_lo, exec_lo, s0
	s_cbranch_vccnz .LBB134_461
; %bb.460:
	global_load_u8 v3, v[0:1], off
	s_waitcnt vmcnt(0)
	v_lshlrev_b32_e32 v5, 25, v3
	v_lshlrev_b16 v3, 8, v3
	s_delay_alu instid0(VALU_DEP_2) | instskip(NEXT) | instid1(VALU_DEP_2)
	v_lshrrev_b32_e32 v6, 4, v5
	v_and_or_b32 v7, 0x7f00, v3, 0.5
	v_bfe_i32 v3, v3, 0, 16
	s_delay_alu instid0(VALU_DEP_3) | instskip(NEXT) | instid1(VALU_DEP_1)
	v_or_b32_e32 v6, 0x70000000, v6
	v_dual_add_f32 v7, -0.5, v7 :: v_dual_mul_f32 v6, 0x7800000, v6
	v_cmp_gt_u32_e32 vcc_lo, 0x8000000, v5
	s_delay_alu instid0(VALU_DEP_2) | instskip(NEXT) | instid1(VALU_DEP_1)
	v_cndmask_b32_e32 v5, v6, v7, vcc_lo
	v_and_or_b32 v3, 0x80000000, v3, v5
	s_delay_alu instid0(VALU_DEP_1)
	v_cvt_f16_f32_e32 v3, v3
.LBB134_461:
	s_mov_b32 s22, 0
	s_mov_b32 s0, -1
.LBB134_462:
	s_and_not1_b32 vcc_lo, exec_lo, s22
	s_cbranch_vccnz .LBB134_475
; %bb.463:
	v_cmp_lt_i16_e32 vcc_lo, 14, v4
	s_cbranch_vccz .LBB134_466
; %bb.464:
	v_cmp_eq_u16_e32 vcc_lo, 15, v4
	s_cbranch_vccz .LBB134_469
; %bb.465:
	global_load_u16 v3, v[0:1], off
	s_mov_b32 s0, -1
	s_mov_b32 s21, 0
	s_waitcnt vmcnt(0)
	v_lshlrev_b32_e32 v3, 16, v3
	s_delay_alu instid0(VALU_DEP_1)
	v_cvt_f16_f32_e32 v3, v3
	s_branch .LBB134_470
.LBB134_466:
	s_mov_b32 s22, -1
                                        ; implicit-def: $vgpr3
	s_branch .LBB134_471
.LBB134_467:
	s_or_saveexec_b32 s23, s23
	v_mov_b32_e32 v3, s22
	s_xor_b32 exec_lo, exec_lo, s23
	s_cbranch_execz .LBB134_448
.LBB134_468:
	v_cmp_ne_u16_e32 vcc_lo, 0, v5
	v_mov_b32_e32 v3, v5
	s_and_not1_b32 s0, s0, exec_lo
	s_and_b32 s22, vcc_lo, exec_lo
	s_delay_alu instid0(SALU_CYCLE_1)
	s_or_b32 s0, s0, s22
	s_or_b32 exec_lo, exec_lo, s23
	s_and_saveexec_b32 s22, s0
	s_cbranch_execnz .LBB134_449
	s_branch .LBB134_450
.LBB134_469:
	s_mov_b32 s21, -1
                                        ; implicit-def: $vgpr3
.LBB134_470:
	s_mov_b32 s22, 0
.LBB134_471:
	s_delay_alu instid0(SALU_CYCLE_1)
	s_and_b32 vcc_lo, exec_lo, s22
	s_cbranch_vccz .LBB134_475
; %bb.472:
	v_cmp_eq_u16_e32 vcc_lo, 11, v4
	s_cbranch_vccz .LBB134_474
; %bb.473:
	global_load_u8 v3, v[0:1], off
	s_mov_b32 s21, 0
	s_mov_b32 s0, -1
	s_waitcnt vmcnt(0)
	v_cmp_ne_u16_e32 vcc_lo, 0, v3
	v_cndmask_b32_e64 v3, 0, 0x3c00, vcc_lo
	s_branch .LBB134_475
.LBB134_474:
	s_mov_b32 s21, -1
                                        ; implicit-def: $vgpr3
.LBB134_475:
	s_branch .LBB134_390
.LBB134_476:
	v_cmp_gt_i16_e32 vcc_lo, 5, v4
	s_cbranch_vccnz .LBB134_481
; %bb.477:
	v_cmp_gt_i16_e32 vcc_lo, 8, v4
	s_cbranch_vccnz .LBB134_482
; %bb.478:
	;; [unrolled: 3-line block ×3, first 2 shown]
	v_cmp_lt_i16_e32 vcc_lo, 9, v4
	s_cbranch_vccz .LBB134_484
; %bb.480:
	global_load_b64 v[5:6], v[0:1], off
	s_mov_b32 s0, 0
	s_waitcnt vmcnt(0)
	v_cvt_f32_f64_e32 v3, v[5:6]
	s_delay_alu instid0(VALU_DEP_1)
	v_cvt_f16_f32_e32 v3, v3
	s_branch .LBB134_485
.LBB134_481:
	s_mov_b32 s0, -1
                                        ; implicit-def: $vgpr3
	s_branch .LBB134_503
.LBB134_482:
	s_mov_b32 s0, -1
                                        ; implicit-def: $vgpr3
	s_branch .LBB134_491
.LBB134_483:
	s_mov_b32 s0, -1
                                        ; implicit-def: $vgpr3
	s_branch .LBB134_488
.LBB134_484:
	s_mov_b32 s0, -1
                                        ; implicit-def: $vgpr3
.LBB134_485:
	s_delay_alu instid0(SALU_CYCLE_1)
	s_and_not1_b32 vcc_lo, exec_lo, s0
	s_cbranch_vccnz .LBB134_487
; %bb.486:
	global_load_b32 v3, v[0:1], off
	s_waitcnt vmcnt(0)
	v_cvt_f16_f32_e32 v3, v3
.LBB134_487:
	s_mov_b32 s0, 0
.LBB134_488:
	s_delay_alu instid0(SALU_CYCLE_1)
	s_and_not1_b32 vcc_lo, exec_lo, s0
	s_cbranch_vccnz .LBB134_490
; %bb.489:
	global_load_b32 v3, v[0:1], off
.LBB134_490:
	s_mov_b32 s0, 0
.LBB134_491:
	s_delay_alu instid0(SALU_CYCLE_1)
	s_and_not1_b32 vcc_lo, exec_lo, s0
	s_cbranch_vccnz .LBB134_502
; %bb.492:
	v_cmp_gt_i16_e32 vcc_lo, 6, v4
	s_cbranch_vccnz .LBB134_495
; %bb.493:
	v_cmp_lt_i16_e32 vcc_lo, 6, v4
	s_cbranch_vccz .LBB134_496
; %bb.494:
	global_load_b64 v[5:6], v[0:1], off
	s_mov_b32 s0, 0
	s_waitcnt vmcnt(0)
	v_cvt_f32_f64_e32 v3, v[5:6]
	s_delay_alu instid0(VALU_DEP_1)
	v_cvt_f16_f32_e32 v3, v3
	s_branch .LBB134_497
.LBB134_495:
	s_mov_b32 s0, -1
                                        ; implicit-def: $vgpr3
	s_branch .LBB134_500
.LBB134_496:
	s_mov_b32 s0, -1
                                        ; implicit-def: $vgpr3
.LBB134_497:
	s_delay_alu instid0(SALU_CYCLE_1)
	s_and_not1_b32 vcc_lo, exec_lo, s0
	s_cbranch_vccnz .LBB134_499
; %bb.498:
	global_load_b32 v3, v[0:1], off
	s_waitcnt vmcnt(0)
	v_cvt_f16_f32_e32 v3, v3
.LBB134_499:
	s_mov_b32 s0, 0
.LBB134_500:
	s_delay_alu instid0(SALU_CYCLE_1)
	s_and_not1_b32 vcc_lo, exec_lo, s0
	s_cbranch_vccnz .LBB134_502
; %bb.501:
	global_load_u16 v3, v[0:1], off
.LBB134_502:
	s_mov_b32 s0, 0
.LBB134_503:
	s_delay_alu instid0(SALU_CYCLE_1)
	s_and_not1_b32 vcc_lo, exec_lo, s0
	s_cbranch_vccnz .LBB134_523
; %bb.504:
	v_cmp_gt_i16_e32 vcc_lo, 2, v4
	s_cbranch_vccnz .LBB134_508
; %bb.505:
	v_cmp_gt_i16_e32 vcc_lo, 3, v4
	s_cbranch_vccnz .LBB134_509
; %bb.506:
	v_cmp_lt_i16_e32 vcc_lo, 3, v4
	s_cbranch_vccz .LBB134_510
; %bb.507:
	global_load_b64 v[5:6], v[0:1], off
	s_mov_b32 s0, 0
	s_waitcnt vmcnt(0)
	v_xor_b32_e32 v3, v5, v6
	v_cls_i32_e32 v7, v6
	s_delay_alu instid0(VALU_DEP_2) | instskip(NEXT) | instid1(VALU_DEP_2)
	v_ashrrev_i32_e32 v3, 31, v3
	v_add_nc_u32_e32 v7, -1, v7
	s_delay_alu instid0(VALU_DEP_2) | instskip(NEXT) | instid1(VALU_DEP_1)
	v_add_nc_u32_e32 v3, 32, v3
	v_min_u32_e32 v3, v7, v3
	s_delay_alu instid0(VALU_DEP_1) | instskip(SKIP_1) | instid1(VALU_DEP_2)
	v_lshlrev_b64 v[5:6], v3, v[5:6]
	v_sub_nc_u32_e32 v3, 32, v3
	v_min_u32_e32 v5, 1, v5
	s_delay_alu instid0(VALU_DEP_1) | instskip(NEXT) | instid1(VALU_DEP_1)
	v_or_b32_e32 v5, v6, v5
	v_cvt_f32_i32_e32 v5, v5
	s_delay_alu instid0(VALU_DEP_1) | instskip(NEXT) | instid1(VALU_DEP_1)
	v_ldexp_f32 v3, v5, v3
	v_cvt_f16_f32_e32 v3, v3
	s_branch .LBB134_511
.LBB134_508:
	s_mov_b32 s0, -1
                                        ; implicit-def: $vgpr3
	s_branch .LBB134_517
.LBB134_509:
	s_mov_b32 s0, -1
                                        ; implicit-def: $vgpr3
	s_branch .LBB134_514
.LBB134_510:
	s_mov_b32 s0, -1
                                        ; implicit-def: $vgpr3
.LBB134_511:
	s_delay_alu instid0(SALU_CYCLE_1)
	s_and_not1_b32 vcc_lo, exec_lo, s0
	s_cbranch_vccnz .LBB134_513
; %bb.512:
	global_load_b32 v3, v[0:1], off
	s_waitcnt vmcnt(0)
	v_cvt_f32_i32_e32 v3, v3
	s_delay_alu instid0(VALU_DEP_1)
	v_cvt_f16_f32_e32 v3, v3
.LBB134_513:
	s_mov_b32 s0, 0
.LBB134_514:
	s_delay_alu instid0(SALU_CYCLE_1)
	s_and_not1_b32 vcc_lo, exec_lo, s0
	s_cbranch_vccnz .LBB134_516
; %bb.515:
	global_load_u16 v3, v[0:1], off
	s_waitcnt vmcnt(0)
	v_cvt_f16_i16_e32 v3, v3
.LBB134_516:
	s_mov_b32 s0, 0
.LBB134_517:
	s_delay_alu instid0(SALU_CYCLE_1)
	s_and_not1_b32 vcc_lo, exec_lo, s0
	s_cbranch_vccnz .LBB134_523
; %bb.518:
	v_cmp_lt_i16_e32 vcc_lo, 0, v4
	s_mov_b32 s0, 0
	s_cbranch_vccz .LBB134_520
; %bb.519:
	global_load_i8 v3, v[0:1], off
	s_waitcnt vmcnt(0)
	v_cvt_f16_i16_e32 v3, v3
	s_branch .LBB134_521
.LBB134_520:
	s_mov_b32 s0, -1
                                        ; implicit-def: $vgpr3
.LBB134_521:
	s_delay_alu instid0(SALU_CYCLE_1)
	s_and_not1_b32 vcc_lo, exec_lo, s0
	s_cbranch_vccnz .LBB134_523
; %bb.522:
	global_load_u8 v0, v[0:1], off
	s_waitcnt vmcnt(0)
	v_cvt_f16_u16_e32 v3, v0
.LBB134_523:
	s_branch .LBB134_391
.LBB134_524:
	s_mov_b32 s25, 0
	s_mov_b32 s0, s16
	;; [unrolled: 1-line block ×3, first 2 shown]
	s_branch .LBB134_766
.LBB134_525:
	s_or_saveexec_b32 s22, s22
                                        ; implicit-def: $sgpr23
	s_delay_alu instid0(SALU_CYCLE_1)
	s_xor_b32 exec_lo, exec_lo, s22
	s_cbranch_execz .LBB134_302
.LBB134_526:
	v_add_f32_e64 v6, 0x42800000, |v5|
	s_and_not1_b32 s18, s18, exec_lo
	s_mov_b32 s23, 0
	s_delay_alu instid0(VALU_DEP_1) | instskip(NEXT) | instid1(VALU_DEP_1)
	v_and_b32_e32 v6, 0xff, v6
	v_cmp_ne_u32_e32 vcc_lo, 0, v6
	s_and_b32 s24, vcc_lo, exec_lo
	s_delay_alu instid0(SALU_CYCLE_1)
	s_or_b32 s18, s18, s24
	s_or_b32 exec_lo, exec_lo, s22
	v_mov_b32_e32 v7, s23
	s_and_saveexec_b32 s22, s18
	s_cbranch_execnz .LBB134_303
	s_branch .LBB134_304
.LBB134_527:
	s_mov_b32 s23, -1
	s_mov_b32 s0, 0
.LBB134_528:
                                        ; implicit-def: $sgpr22
.LBB134_529:
	s_and_b32 vcc_lo, exec_lo, s25
	s_cbranch_vccz .LBB134_531
; %bb.530:
	v_cmp_eq_u16_e64 s0, 44, v4
	s_or_b32 s22, s22, exec_lo
	s_or_b32 s23, s23, exec_lo
.LBB134_531:
	s_mov_b32 s25, 0
.LBB134_532:
	s_delay_alu instid0(SALU_CYCLE_1)
	s_and_b32 vcc_lo, exec_lo, s25
	s_cbranch_vccz .LBB134_536
; %bb.533:
	v_cmp_eq_u16_e32 vcc_lo, 29, v4
	s_cbranch_vccz .LBB134_535
; %bb.534:
	global_load_b64 v[5:6], v[0:1], off
	s_mov_b32 s0, -1
	s_mov_b32 s23, 0
	s_mov_b32 s25, 0
	s_waitcnt vmcnt(0)
	v_cmp_ne_u64_e32 vcc_lo, 0, v[5:6]
	s_and_b32 s22, vcc_lo, exec_lo
	s_branch .LBB134_537
.LBB134_535:
	s_mov_b32 s23, -1
                                        ; implicit-def: $sgpr22
.LBB134_536:
	s_mov_b32 s25, 0
.LBB134_537:
	s_delay_alu instid0(SALU_CYCLE_1)
	s_and_b32 vcc_lo, exec_lo, s25
	s_cbranch_vccz .LBB134_555
; %bb.538:
	v_cmp_gt_i16_e32 vcc_lo, 27, v4
	s_cbranch_vccnz .LBB134_541
; %bb.539:
	v_cmp_lt_i16_e32 vcc_lo, 27, v4
	s_cbranch_vccz .LBB134_542
; %bb.540:
	global_load_b32 v5, v[0:1], off
	s_mov_b32 s0, 0
	s_waitcnt vmcnt(0)
	v_cmp_ne_u32_e32 vcc_lo, 0, v5
	s_and_b32 s22, vcc_lo, exec_lo
	s_branch .LBB134_543
.LBB134_541:
	s_mov_b32 s0, -1
                                        ; implicit-def: $sgpr22
	s_branch .LBB134_546
.LBB134_542:
	s_mov_b32 s0, -1
                                        ; implicit-def: $sgpr22
.LBB134_543:
	s_delay_alu instid0(SALU_CYCLE_1)
	s_and_not1_b32 vcc_lo, exec_lo, s0
	s_cbranch_vccnz .LBB134_545
; %bb.544:
	global_load_u16 v5, v[0:1], off
	s_and_not1_b32 s0, s22, exec_lo
	s_waitcnt vmcnt(0)
	v_cmp_ne_u16_e32 vcc_lo, 0, v5
	s_and_b32 s22, vcc_lo, exec_lo
	s_delay_alu instid0(SALU_CYCLE_1)
	s_or_b32 s22, s0, s22
.LBB134_545:
	s_mov_b32 s0, 0
.LBB134_546:
	s_delay_alu instid0(SALU_CYCLE_1)
	s_and_not1_b32 vcc_lo, exec_lo, s0
	s_cbranch_vccnz .LBB134_554
; %bb.547:
	global_load_u8 v5, v[0:1], off
	s_mov_b32 s0, 0
	s_mov_b32 s25, exec_lo
                                        ; implicit-def: $sgpr22
	s_waitcnt vmcnt(0)
	v_cmpx_lt_i16_e32 0x7f, v5
	s_xor_b32 s25, exec_lo, s25
	s_cbranch_execz .LBB134_568
; %bb.548:
	s_mov_b32 s0, -1
	s_mov_b32 s26, exec_lo
                                        ; implicit-def: $sgpr22
	v_cmpx_eq_u16_e32 0x80, v5
; %bb.549:
	s_mov_b32 s22, -1
	s_xor_b32 s0, exec_lo, -1
; %bb.550:
	s_or_b32 exec_lo, exec_lo, s26
	s_delay_alu instid0(SALU_CYCLE_1)
	s_and_b32 s0, s0, exec_lo
	s_and_not1_saveexec_b32 s25, s25
	s_cbranch_execnz .LBB134_569
.LBB134_551:
	s_or_b32 exec_lo, exec_lo, s25
	s_and_saveexec_b32 s25, s0
	s_cbranch_execz .LBB134_553
.LBB134_552:
	v_and_b32_e32 v5, 0xffff, v5
	s_and_not1_b32 s0, s22, exec_lo
	s_delay_alu instid0(VALU_DEP_1) | instskip(NEXT) | instid1(VALU_DEP_1)
	v_and_b32_e32 v6, 7, v5
	v_clz_i32_u32_e32 v7, v6
	s_delay_alu instid0(VALU_DEP_1) | instskip(NEXT) | instid1(VALU_DEP_1)
	v_min_u32_e32 v7, 32, v7
	v_subrev_nc_u32_e32 v8, 28, v7
	v_sub_nc_u32_e32 v7, 29, v7
	s_delay_alu instid0(VALU_DEP_2) | instskip(SKIP_1) | instid1(VALU_DEP_2)
	v_lshlrev_b32_e32 v8, v8, v5
	v_bfe_u32 v5, v5, 3, 4
	v_and_b32_e32 v8, 7, v8
	s_delay_alu instid0(VALU_DEP_2) | instskip(NEXT) | instid1(VALU_DEP_2)
	v_cmp_eq_u32_e32 vcc_lo, 0, v5
	v_dual_cndmask_b32 v5, v5, v7 :: v_dual_cndmask_b32 v6, v6, v8
	s_delay_alu instid0(VALU_DEP_1) | instskip(NEXT) | instid1(VALU_DEP_2)
	v_lshl_add_u32 v5, v5, 23, 0x3b800000
	v_lshlrev_b32_e32 v6, 20, v6
	s_delay_alu instid0(VALU_DEP_1) | instskip(NEXT) | instid1(VALU_DEP_1)
	v_and_or_b32 v5, 0x7f800000, v5, v6
	v_cmp_ne_u32_e32 vcc_lo, 0, v5
	s_and_b32 s22, vcc_lo, exec_lo
	s_delay_alu instid0(SALU_CYCLE_1)
	s_or_b32 s22, s0, s22
.LBB134_553:
	s_or_b32 exec_lo, exec_lo, s25
.LBB134_554:
	s_mov_b32 s0, -1
.LBB134_555:
	s_mov_b32 s25, 0
.LBB134_556:
	s_delay_alu instid0(SALU_CYCLE_1)
	s_and_b32 vcc_lo, exec_lo, s25
	s_cbranch_vccz .LBB134_591
; %bb.557:
	v_cmp_lt_i16_e32 vcc_lo, 22, v4
	s_cbranch_vccz .LBB134_567
; %bb.558:
	v_cmp_gt_i16_e32 vcc_lo, 24, v4
	s_cbranch_vccnz .LBB134_570
; %bb.559:
	v_cmp_lt_i16_e32 vcc_lo, 24, v4
	s_cbranch_vccz .LBB134_571
; %bb.560:
	global_load_u8 v5, v[0:1], off
	s_mov_b32 s0, 0
	s_mov_b32 s25, exec_lo
                                        ; implicit-def: $sgpr22
	s_waitcnt vmcnt(0)
	v_cmpx_lt_i16_e32 0x7f, v5
	s_xor_b32 s25, exec_lo, s25
	s_cbranch_execz .LBB134_583
; %bb.561:
	s_mov_b32 s0, -1
	s_mov_b32 s26, exec_lo
                                        ; implicit-def: $sgpr22
	v_cmpx_eq_u16_e32 0x80, v5
; %bb.562:
	s_mov_b32 s22, -1
	s_xor_b32 s0, exec_lo, -1
; %bb.563:
	s_or_b32 exec_lo, exec_lo, s26
	s_delay_alu instid0(SALU_CYCLE_1)
	s_and_b32 s0, s0, exec_lo
	s_and_not1_saveexec_b32 s25, s25
	s_cbranch_execnz .LBB134_584
.LBB134_564:
	s_or_b32 exec_lo, exec_lo, s25
	s_and_saveexec_b32 s25, s0
	s_cbranch_execz .LBB134_566
.LBB134_565:
	v_and_b32_e32 v5, 0xffff, v5
	s_and_not1_b32 s0, s22, exec_lo
	s_delay_alu instid0(VALU_DEP_1) | instskip(NEXT) | instid1(VALU_DEP_1)
	v_and_b32_e32 v6, 3, v5
	v_clz_i32_u32_e32 v7, v6
	s_delay_alu instid0(VALU_DEP_1) | instskip(NEXT) | instid1(VALU_DEP_1)
	v_min_u32_e32 v7, 32, v7
	v_subrev_nc_u32_e32 v8, 29, v7
	v_sub_nc_u32_e32 v7, 30, v7
	s_delay_alu instid0(VALU_DEP_2) | instskip(SKIP_1) | instid1(VALU_DEP_2)
	v_lshlrev_b32_e32 v8, v8, v5
	v_bfe_u32 v5, v5, 2, 5
	v_and_b32_e32 v8, 3, v8
	s_delay_alu instid0(VALU_DEP_2) | instskip(NEXT) | instid1(VALU_DEP_2)
	v_cmp_eq_u32_e32 vcc_lo, 0, v5
	v_dual_cndmask_b32 v5, v5, v7 :: v_dual_cndmask_b32 v6, v6, v8
	s_delay_alu instid0(VALU_DEP_1) | instskip(NEXT) | instid1(VALU_DEP_2)
	v_lshl_add_u32 v5, v5, 23, 0x37800000
	v_lshlrev_b32_e32 v6, 21, v6
	s_delay_alu instid0(VALU_DEP_1) | instskip(NEXT) | instid1(VALU_DEP_1)
	v_and_or_b32 v5, 0x7f800000, v5, v6
	v_cmp_ne_u32_e32 vcc_lo, 0, v5
	s_and_b32 s22, vcc_lo, exec_lo
	s_delay_alu instid0(SALU_CYCLE_1)
	s_or_b32 s22, s0, s22
.LBB134_566:
	s_or_b32 exec_lo, exec_lo, s25
	s_mov_b32 s0, 0
	s_branch .LBB134_572
.LBB134_567:
	s_mov_b32 s25, -1
                                        ; implicit-def: $sgpr22
	s_branch .LBB134_578
.LBB134_568:
	s_and_not1_saveexec_b32 s25, s25
	s_cbranch_execz .LBB134_551
.LBB134_569:
	v_cmp_ne_u16_e32 vcc_lo, 0, v5
	s_and_not1_b32 s0, s0, exec_lo
	s_and_not1_b32 s22, s22, exec_lo
	s_and_b32 s26, vcc_lo, exec_lo
	s_delay_alu instid0(SALU_CYCLE_1)
	s_or_b32 s0, s0, s26
	s_or_b32 exec_lo, exec_lo, s25
	s_and_saveexec_b32 s25, s0
	s_cbranch_execnz .LBB134_552
	s_branch .LBB134_553
.LBB134_570:
	s_mov_b32 s0, -1
                                        ; implicit-def: $sgpr22
	s_branch .LBB134_575
.LBB134_571:
	s_mov_b32 s0, -1
                                        ; implicit-def: $sgpr22
.LBB134_572:
	s_delay_alu instid0(SALU_CYCLE_1)
	s_and_b32 vcc_lo, exec_lo, s0
	s_cbranch_vccz .LBB134_574
; %bb.573:
	global_load_u8 v5, v[0:1], off
	s_and_not1_b32 s22, s22, exec_lo
	s_waitcnt vmcnt(0)
	v_lshlrev_b32_e32 v5, 24, v5
	s_delay_alu instid0(VALU_DEP_1) | instskip(NEXT) | instid1(VALU_DEP_1)
	v_and_b32_e32 v5, 0x7f000000, v5
	v_clz_i32_u32_e32 v6, v5
	v_add_nc_u32_e32 v8, 0x1000000, v5
	v_cmp_ne_u32_e32 vcc_lo, 0, v5
	s_delay_alu instid0(VALU_DEP_3) | instskip(NEXT) | instid1(VALU_DEP_3)
	v_min_u32_e32 v6, 32, v6
	v_ashrrev_i32_e32 v8, 8, v8
	s_delay_alu instid0(VALU_DEP_2) | instskip(NEXT) | instid1(VALU_DEP_1)
	v_sub_nc_u32_e64 v6, v6, 4 clamp
	v_lshlrev_b32_e32 v7, v6, v5
	v_lshlrev_b32_e32 v6, 23, v6
	s_delay_alu instid0(VALU_DEP_2) | instskip(NEXT) | instid1(VALU_DEP_1)
	v_lshrrev_b32_e32 v7, 4, v7
	v_sub_nc_u32_e32 v6, v7, v6
	v_and_b32_e32 v7, 0x7f800000, v8
	s_delay_alu instid0(VALU_DEP_2) | instskip(NEXT) | instid1(VALU_DEP_1)
	v_add_nc_u32_e32 v6, 0x3c000000, v6
	v_and_or_b32 v6, 0x7ff00000, v6, v7
	s_delay_alu instid0(VALU_DEP_1) | instskip(NEXT) | instid1(VALU_DEP_1)
	v_cmp_ne_u32_e64 s0, 0, v6
	s_and_b32 s0, vcc_lo, s0
	s_delay_alu instid0(SALU_CYCLE_1) | instskip(NEXT) | instid1(SALU_CYCLE_1)
	s_and_b32 s0, s0, exec_lo
	s_or_b32 s22, s22, s0
.LBB134_574:
	s_mov_b32 s0, 0
.LBB134_575:
	s_delay_alu instid0(SALU_CYCLE_1)
	s_and_not1_b32 vcc_lo, exec_lo, s0
	s_cbranch_vccnz .LBB134_577
; %bb.576:
	global_load_u8 v5, v[0:1], off
	s_and_not1_b32 s0, s22, exec_lo
	s_waitcnt vmcnt(0)
	v_lshlrev_b32_e32 v6, 25, v5
	v_lshlrev_b32_e32 v5, 8, v5
	s_delay_alu instid0(VALU_DEP_2) | instskip(NEXT) | instid1(VALU_DEP_2)
	v_lshrrev_b32_e32 v7, 4, v6
	v_and_or_b32 v5, 0x7f00, v5, 0.5
	s_delay_alu instid0(VALU_DEP_2) | instskip(NEXT) | instid1(VALU_DEP_2)
	v_or_b32_e32 v7, 0x70000000, v7
	v_add_f32_e32 v5, -0.5, v5
	s_delay_alu instid0(VALU_DEP_2) | instskip(SKIP_1) | instid1(VALU_DEP_2)
	v_mul_f32_e32 v7, 0x7800000, v7
	v_cmp_gt_u32_e32 vcc_lo, 0x8000000, v6
	v_cndmask_b32_e32 v5, v7, v5, vcc_lo
	s_delay_alu instid0(VALU_DEP_1) | instskip(SKIP_1) | instid1(SALU_CYCLE_1)
	v_cmp_neq_f32_e32 vcc_lo, 0, v5
	s_and_b32 s22, vcc_lo, exec_lo
	s_or_b32 s22, s0, s22
.LBB134_577:
	s_mov_b32 s25, 0
	s_mov_b32 s0, -1
.LBB134_578:
	s_and_not1_b32 vcc_lo, exec_lo, s25
	s_cbranch_vccnz .LBB134_591
; %bb.579:
	v_cmp_lt_i16_e32 vcc_lo, 14, v4
	s_cbranch_vccz .LBB134_582
; %bb.580:
	v_cmp_eq_u16_e32 vcc_lo, 15, v4
	s_cbranch_vccz .LBB134_585
; %bb.581:
	global_load_u16 v5, v[0:1], off
	s_mov_b32 s23, 0
	s_mov_b32 s0, -1
	s_waitcnt vmcnt(0)
	v_and_b32_e32 v5, 0x7fff, v5
	s_delay_alu instid0(VALU_DEP_1)
	v_cmp_ne_u16_e32 vcc_lo, 0, v5
	s_and_b32 s22, vcc_lo, exec_lo
	s_branch .LBB134_586
.LBB134_582:
	s_mov_b32 s25, -1
                                        ; implicit-def: $sgpr22
	s_branch .LBB134_587
.LBB134_583:
	s_and_not1_saveexec_b32 s25, s25
	s_cbranch_execz .LBB134_564
.LBB134_584:
	v_cmp_ne_u16_e32 vcc_lo, 0, v5
	s_and_not1_b32 s0, s0, exec_lo
	s_and_not1_b32 s22, s22, exec_lo
	s_and_b32 s26, vcc_lo, exec_lo
	s_delay_alu instid0(SALU_CYCLE_1)
	s_or_b32 s0, s0, s26
	s_or_b32 exec_lo, exec_lo, s25
	s_and_saveexec_b32 s25, s0
	s_cbranch_execnz .LBB134_565
	s_branch .LBB134_566
.LBB134_585:
	s_mov_b32 s23, -1
                                        ; implicit-def: $sgpr22
.LBB134_586:
	s_mov_b32 s25, 0
.LBB134_587:
	s_delay_alu instid0(SALU_CYCLE_1)
	s_and_b32 vcc_lo, exec_lo, s25
	s_cbranch_vccz .LBB134_591
; %bb.588:
	v_cmp_eq_u16_e32 vcc_lo, 11, v4
	s_cbranch_vccz .LBB134_590
; %bb.589:
	global_load_u8 v5, v[0:1], off
	s_mov_b32 s23, 0
	s_mov_b32 s0, -1
	s_waitcnt vmcnt(0)
	v_cmp_ne_u16_e32 vcc_lo, 0, v5
	s_and_b32 s22, vcc_lo, exec_lo
	s_branch .LBB134_591
.LBB134_590:
	s_mov_b32 s23, -1
                                        ; implicit-def: $sgpr22
.LBB134_591:
	s_mov_b32 s25, 0
.LBB134_592:
	s_delay_alu instid0(SALU_CYCLE_1)
	s_and_b32 vcc_lo, exec_lo, s25
	s_cbranch_vccz .LBB134_641
; %bb.593:
	v_cmp_gt_i16_e32 vcc_lo, 5, v4
	s_cbranch_vccnz .LBB134_598
; %bb.594:
	v_cmp_gt_i16_e32 vcc_lo, 8, v4
	s_cbranch_vccnz .LBB134_599
	;; [unrolled: 3-line block ×3, first 2 shown]
; %bb.596:
	v_cmp_lt_i16_e32 vcc_lo, 9, v4
	s_cbranch_vccz .LBB134_601
; %bb.597:
	global_load_b128 v[5:8], v[0:1], off
	s_waitcnt vmcnt(0)
	v_cmp_neq_f64_e32 vcc_lo, 0, v[5:6]
	v_cmp_neq_f64_e64 s0, 0, v[7:8]
	s_delay_alu instid0(VALU_DEP_1)
	s_or_b32 s22, vcc_lo, s0
	s_mov_b32 s0, 0
	s_and_b32 s22, s22, exec_lo
	s_branch .LBB134_602
.LBB134_598:
	s_mov_b32 s0, -1
                                        ; implicit-def: $sgpr22
	s_branch .LBB134_620
.LBB134_599:
	s_mov_b32 s0, -1
                                        ; implicit-def: $sgpr22
	s_branch .LBB134_608
.LBB134_600:
	s_mov_b32 s0, -1
                                        ; implicit-def: $sgpr22
	s_branch .LBB134_605
.LBB134_601:
	s_mov_b32 s0, -1
                                        ; implicit-def: $sgpr22
.LBB134_602:
	s_delay_alu instid0(SALU_CYCLE_1)
	s_and_not1_b32 vcc_lo, exec_lo, s0
	s_cbranch_vccnz .LBB134_604
; %bb.603:
	global_load_b64 v[5:6], v[0:1], off
	s_and_not1_b32 s0, s22, exec_lo
	s_waitcnt vmcnt(0)
	v_or_b32_e32 v5, v5, v6
	s_delay_alu instid0(VALU_DEP_1) | instskip(NEXT) | instid1(VALU_DEP_1)
	v_and_b32_e32 v5, 0x7fffffff, v5
	v_cmp_ne_u32_e32 vcc_lo, 0, v5
	s_and_b32 s22, vcc_lo, exec_lo
	s_delay_alu instid0(SALU_CYCLE_1)
	s_or_b32 s22, s0, s22
.LBB134_604:
	s_mov_b32 s0, 0
.LBB134_605:
	s_delay_alu instid0(SALU_CYCLE_1)
	s_and_not1_b32 vcc_lo, exec_lo, s0
	s_cbranch_vccnz .LBB134_607
; %bb.606:
	global_load_b32 v5, v[0:1], off
	s_and_not1_b32 s0, s22, exec_lo
	s_waitcnt vmcnt(0)
	v_and_b32_e32 v5, 0x7fff7fff, v5
	s_delay_alu instid0(VALU_DEP_1) | instskip(SKIP_1) | instid1(SALU_CYCLE_1)
	v_cmp_ne_u32_e32 vcc_lo, 0, v5
	s_and_b32 s22, vcc_lo, exec_lo
	s_or_b32 s22, s0, s22
.LBB134_607:
	s_mov_b32 s0, 0
.LBB134_608:
	s_delay_alu instid0(SALU_CYCLE_1)
	s_and_not1_b32 vcc_lo, exec_lo, s0
	s_cbranch_vccnz .LBB134_619
; %bb.609:
	v_cmp_gt_i16_e32 vcc_lo, 6, v4
	s_cbranch_vccnz .LBB134_612
; %bb.610:
	v_cmp_lt_i16_e32 vcc_lo, 6, v4
	s_cbranch_vccz .LBB134_613
; %bb.611:
	global_load_b64 v[5:6], v[0:1], off
	s_mov_b32 s0, 0
	s_waitcnt vmcnt(0)
	v_cmp_neq_f64_e32 vcc_lo, 0, v[5:6]
	s_and_b32 s22, vcc_lo, exec_lo
	s_branch .LBB134_614
.LBB134_612:
	s_mov_b32 s0, -1
                                        ; implicit-def: $sgpr22
	s_branch .LBB134_617
.LBB134_613:
	s_mov_b32 s0, -1
                                        ; implicit-def: $sgpr22
.LBB134_614:
	s_delay_alu instid0(SALU_CYCLE_1)
	s_and_not1_b32 vcc_lo, exec_lo, s0
	s_cbranch_vccnz .LBB134_616
; %bb.615:
	global_load_b32 v5, v[0:1], off
	s_and_not1_b32 s0, s22, exec_lo
	s_waitcnt vmcnt(0)
	v_cmp_neq_f32_e32 vcc_lo, 0, v5
	s_and_b32 s22, vcc_lo, exec_lo
	s_delay_alu instid0(SALU_CYCLE_1)
	s_or_b32 s22, s0, s22
.LBB134_616:
	s_mov_b32 s0, 0
.LBB134_617:
	s_delay_alu instid0(SALU_CYCLE_1)
	s_and_not1_b32 vcc_lo, exec_lo, s0
	s_cbranch_vccnz .LBB134_619
; %bb.618:
	global_load_u16 v5, v[0:1], off
	s_and_not1_b32 s0, s22, exec_lo
	s_waitcnt vmcnt(0)
	v_and_b32_e32 v5, 0x7fff, v5
	s_delay_alu instid0(VALU_DEP_1) | instskip(SKIP_1) | instid1(SALU_CYCLE_1)
	v_cmp_ne_u16_e32 vcc_lo, 0, v5
	s_and_b32 s22, vcc_lo, exec_lo
	s_or_b32 s22, s0, s22
.LBB134_619:
	s_mov_b32 s0, 0
.LBB134_620:
	s_delay_alu instid0(SALU_CYCLE_1)
	s_and_not1_b32 vcc_lo, exec_lo, s0
	s_cbranch_vccnz .LBB134_640
; %bb.621:
	v_cmp_gt_i16_e32 vcc_lo, 2, v4
	s_cbranch_vccnz .LBB134_625
; %bb.622:
	v_cmp_gt_i16_e32 vcc_lo, 3, v4
	s_cbranch_vccnz .LBB134_626
; %bb.623:
	v_cmp_lt_i16_e32 vcc_lo, 3, v4
	s_cbranch_vccz .LBB134_627
; %bb.624:
	global_load_b64 v[5:6], v[0:1], off
	s_mov_b32 s0, 0
	s_waitcnt vmcnt(0)
	v_cmp_ne_u64_e32 vcc_lo, 0, v[5:6]
	s_and_b32 s22, vcc_lo, exec_lo
	s_branch .LBB134_628
.LBB134_625:
	s_mov_b32 s0, -1
                                        ; implicit-def: $sgpr22
	s_branch .LBB134_634
.LBB134_626:
	s_mov_b32 s0, -1
                                        ; implicit-def: $sgpr22
	s_branch .LBB134_631
.LBB134_627:
	s_mov_b32 s0, -1
                                        ; implicit-def: $sgpr22
.LBB134_628:
	s_delay_alu instid0(SALU_CYCLE_1)
	s_and_not1_b32 vcc_lo, exec_lo, s0
	s_cbranch_vccnz .LBB134_630
; %bb.629:
	global_load_b32 v5, v[0:1], off
	s_and_not1_b32 s0, s22, exec_lo
	s_waitcnt vmcnt(0)
	v_cmp_ne_u32_e32 vcc_lo, 0, v5
	s_and_b32 s22, vcc_lo, exec_lo
	s_delay_alu instid0(SALU_CYCLE_1)
	s_or_b32 s22, s0, s22
.LBB134_630:
	s_mov_b32 s0, 0
.LBB134_631:
	s_delay_alu instid0(SALU_CYCLE_1)
	s_and_not1_b32 vcc_lo, exec_lo, s0
	s_cbranch_vccnz .LBB134_633
; %bb.632:
	global_load_u16 v5, v[0:1], off
	s_and_not1_b32 s0, s22, exec_lo
	s_waitcnt vmcnt(0)
	v_cmp_ne_u16_e32 vcc_lo, 0, v5
	s_and_b32 s22, vcc_lo, exec_lo
	s_delay_alu instid0(SALU_CYCLE_1)
	s_or_b32 s22, s0, s22
.LBB134_633:
	s_mov_b32 s0, 0
.LBB134_634:
	s_delay_alu instid0(SALU_CYCLE_1)
	s_and_not1_b32 vcc_lo, exec_lo, s0
	s_cbranch_vccnz .LBB134_640
; %bb.635:
	v_cmp_lt_i16_e32 vcc_lo, 0, v4
	s_mov_b32 s0, 0
	s_cbranch_vccz .LBB134_637
; %bb.636:
	global_load_u8 v4, v[0:1], off
	s_waitcnt vmcnt(0)
	v_cmp_ne_u16_e32 vcc_lo, 0, v4
	s_and_b32 s22, vcc_lo, exec_lo
	s_branch .LBB134_638
.LBB134_637:
	s_mov_b32 s0, -1
                                        ; implicit-def: $sgpr22
.LBB134_638:
	s_delay_alu instid0(SALU_CYCLE_1)
	s_and_not1_b32 vcc_lo, exec_lo, s0
	s_cbranch_vccnz .LBB134_640
; %bb.639:
	global_load_u8 v0, v[0:1], off
	s_and_not1_b32 s0, s22, exec_lo
	s_waitcnt vmcnt(0)
	v_cmp_ne_u16_e32 vcc_lo, 0, v0
	s_and_b32 s22, vcc_lo, exec_lo
	s_delay_alu instid0(SALU_CYCLE_1)
	s_or_b32 s22, s0, s22
.LBB134_640:
	s_mov_b32 s0, -1
.LBB134_641:
	s_delay_alu instid0(SALU_CYCLE_1)
	s_and_not1_b32 vcc_lo, exec_lo, s0
	s_cbranch_vccnz .LBB134_649
; %bb.642:
	v_mul_lo_u32 v5, v2, s8
	v_cndmask_b32_e64 v0, 0, 1.0, s22
	s_waitcnt vmcnt(0)
	v_cvt_f32_f16_e32 v1, v3
	v_and_b32_e64 v4, 0xff, s12
	s_delay_alu instid0(VALU_DEP_2) | instskip(SKIP_1) | instid1(VALU_DEP_3)
	v_mul_f32_e32 v0, v1, v0
	v_ashrrev_i32_e32 v1, 31, v5
	v_cmp_gt_i16_e32 vcc_lo, 11, v4
	s_delay_alu instid0(VALU_DEP_3) | instskip(SKIP_1) | instid1(VALU_DEP_1)
	v_fma_mixlo_f16 v3, s11, v0, 0
	v_add_co_u32 v0, s0, s4, v5
	v_add_co_ci_u32_e64 v1, s0, s5, v1, s0
	s_cbranch_vccnz .LBB134_650
; %bb.643:
	v_cmp_lt_i16_e32 vcc_lo, 25, v4
	s_cbranch_vccz .LBB134_651
; %bb.644:
	v_cmp_lt_i16_e32 vcc_lo, 28, v4
	s_cbranch_vccz .LBB134_652
	;; [unrolled: 3-line block ×4, first 2 shown]
; %bb.647:
	v_cmp_eq_u16_e32 vcc_lo, 46, v4
	s_mov_b32 s23, 0
	s_mov_b32 s0, -1
	s_mov_b32 s22, 0
	s_cbranch_vccz .LBB134_655
; %bb.648:
	v_cvt_f32_f16_e32 v5, v3
	v_cmp_o_f16_e32 vcc_lo, v3, v3
	s_mov_b32 s22, -1
	s_mov_b32 s0, 0
	s_delay_alu instid0(VALU_DEP_2) | instskip(NEXT) | instid1(VALU_DEP_1)
	v_bfe_u32 v6, v5, 16, 1
	v_add3_u32 v5, v5, v6, 0x7fff
	s_delay_alu instid0(VALU_DEP_1) | instskip(NEXT) | instid1(VALU_DEP_1)
	v_lshrrev_b32_e32 v5, 16, v5
	v_cndmask_b32_e32 v5, 0x7fc0, v5, vcc_lo
	global_store_b32 v[0:1], v5, off
	s_branch .LBB134_655
.LBB134_649:
	s_mov_b32 s25, 0
	s_mov_b32 s0, s16
	s_branch .LBB134_766
.LBB134_650:
	s_mov_b32 s23, -1
	s_mov_b32 s22, 0
	s_mov_b32 s0, s16
	s_branch .LBB134_724
.LBB134_651:
	s_mov_b32 s23, -1
	s_mov_b32 s22, 0
	s_mov_b32 s0, s16
	s_branch .LBB134_682
.LBB134_652:
	s_mov_b32 s23, -1
	s_mov_b32 s22, 0
	s_mov_b32 s0, s16
	s_branch .LBB134_665
.LBB134_653:
	s_mov_b32 s23, -1
	s_mov_b32 s22, 0
	s_mov_b32 s0, s16
	s_branch .LBB134_661
.LBB134_654:
	s_mov_b32 s23, -1
	s_mov_b32 s22, 0
	s_mov_b32 s0, s16
.LBB134_655:
	s_and_b32 vcc_lo, exec_lo, s23
	s_cbranch_vccz .LBB134_660
; %bb.656:
	v_cmp_eq_u16_e32 vcc_lo, 44, v4
	s_mov_b32 s0, -1
	s_cbranch_vccz .LBB134_660
; %bb.657:
	v_cvt_f32_f16_e32 v5, v3
	v_mov_b32_e32 v6, 0xff
	s_mov_b32 s22, exec_lo
	s_delay_alu instid0(VALU_DEP_2) | instskip(NEXT) | instid1(VALU_DEP_1)
	v_bfe_u32 v7, v5, 23, 8
	v_cmpx_ne_u32_e32 0xff, v7
; %bb.658:
	v_and_b32_e32 v6, 0x400000, v5
	v_and_or_b32 v7, 0x3fffff, v5, v7
	v_lshrrev_b32_e32 v5, 23, v5
	s_delay_alu instid0(VALU_DEP_3) | instskip(NEXT) | instid1(VALU_DEP_3)
	v_cmp_ne_u32_e32 vcc_lo, 0, v6
	v_cmp_ne_u32_e64 s0, 0, v7
	s_delay_alu instid0(VALU_DEP_1) | instskip(NEXT) | instid1(SALU_CYCLE_1)
	s_and_b32 s0, vcc_lo, s0
	v_cndmask_b32_e64 v6, 0, 1, s0
	s_delay_alu instid0(VALU_DEP_1)
	v_add_nc_u32_e32 v6, v5, v6
; %bb.659:
	s_or_b32 exec_lo, exec_lo, s22
	s_mov_b32 s22, -1
	s_mov_b32 s0, 0
	global_store_b8 v[0:1], v6, off
.LBB134_660:
	s_mov_b32 s23, 0
.LBB134_661:
	s_delay_alu instid0(SALU_CYCLE_1)
	s_and_b32 vcc_lo, exec_lo, s23
	s_cbranch_vccz .LBB134_664
; %bb.662:
	v_cmp_eq_u16_e32 vcc_lo, 29, v4
	s_mov_b32 s0, -1
	s_cbranch_vccz .LBB134_664
; %bb.663:
	v_cvt_f32_f16_e32 v5, v3
	v_mov_b32_e32 v6, 0
	s_mov_b32 s0, 0
	s_mov_b32 s22, -1
	s_mov_b32 s23, 0
	v_cvt_u32_f32_e32 v5, v5
	global_store_b64 v[0:1], v[5:6], off
	s_branch .LBB134_665
.LBB134_664:
	s_mov_b32 s23, 0
.LBB134_665:
	s_delay_alu instid0(SALU_CYCLE_1)
	s_and_b32 vcc_lo, exec_lo, s23
	s_cbranch_vccz .LBB134_681
; %bb.666:
	v_cmp_gt_i16_e32 vcc_lo, 27, v4
	s_mov_b32 s22, -1
	s_cbranch_vccnz .LBB134_672
; %bb.667:
	v_cmp_lt_i16_e32 vcc_lo, 27, v4
	s_cbranch_vccz .LBB134_669
; %bb.668:
	v_cvt_f32_f16_e32 v5, v3
	s_mov_b32 s22, 0
	s_delay_alu instid0(VALU_DEP_1)
	v_cvt_u32_f32_e32 v5, v5
	global_store_b32 v[0:1], v5, off
.LBB134_669:
	s_and_not1_b32 vcc_lo, exec_lo, s22
	s_cbranch_vccnz .LBB134_671
; %bb.670:
	v_cvt_u16_f16_e32 v5, v3
	global_store_b16 v[0:1], v5, off
.LBB134_671:
	s_mov_b32 s22, 0
.LBB134_672:
	s_delay_alu instid0(SALU_CYCLE_1)
	s_and_not1_b32 vcc_lo, exec_lo, s22
	s_cbranch_vccnz .LBB134_680
; %bb.673:
	v_cvt_f32_f16_e32 v5, v3
	v_mov_b32_e32 v7, 0x80
	s_mov_b32 s22, exec_lo
	s_delay_alu instid0(VALU_DEP_2) | instskip(NEXT) | instid1(VALU_DEP_1)
	v_and_b32_e32 v6, 0x7fffffff, v5
	v_cmpx_gt_u32_e32 0x43800000, v6
	s_cbranch_execz .LBB134_679
; %bb.674:
	v_cmp_lt_u32_e32 vcc_lo, 0x3bffffff, v6
	s_mov_b32 s23, 0
                                        ; implicit-def: $vgpr6
	s_and_saveexec_b32 s25, vcc_lo
	s_delay_alu instid0(SALU_CYCLE_1)
	s_xor_b32 s25, exec_lo, s25
	s_cbranch_execz .LBB134_782
; %bb.675:
	v_bfe_u32 v6, v5, 20, 1
	s_mov_b32 s23, exec_lo
	s_delay_alu instid0(VALU_DEP_1) | instskip(NEXT) | instid1(VALU_DEP_1)
	v_add3_u32 v6, v5, v6, 0x487ffff
	v_lshrrev_b32_e32 v6, 20, v6
	s_or_saveexec_b32 s25, s25
                                        ; implicit-def: $sgpr26
	s_delay_alu instid0(SALU_CYCLE_1)
	s_xor_b32 exec_lo, exec_lo, s25
	s_cbranch_execnz .LBB134_783
.LBB134_676:
	s_or_b32 exec_lo, exec_lo, s25
	v_mov_b32_e32 v7, s26
	s_and_saveexec_b32 s25, s23
.LBB134_677:
	v_lshrrev_b32_e32 v5, 24, v5
	s_delay_alu instid0(VALU_DEP_1)
	v_and_or_b32 v7, 0x80, v5, v6
.LBB134_678:
	s_or_b32 exec_lo, exec_lo, s25
.LBB134_679:
	s_delay_alu instid0(SALU_CYCLE_1)
	s_or_b32 exec_lo, exec_lo, s22
	global_store_b8 v[0:1], v7, off
.LBB134_680:
	s_mov_b32 s22, -1
.LBB134_681:
	s_mov_b32 s23, 0
.LBB134_682:
	s_delay_alu instid0(SALU_CYCLE_1)
	s_and_b32 vcc_lo, exec_lo, s23
	s_cbranch_vccz .LBB134_723
; %bb.683:
	v_cmp_lt_i16_e32 vcc_lo, 22, v4
	s_mov_b32 s23, -1
	s_cbranch_vccz .LBB134_715
; %bb.684:
	v_cmp_gt_i16_e32 vcc_lo, 24, v4
	s_mov_b32 s22, -1
	s_cbranch_vccnz .LBB134_704
; %bb.685:
	v_cmp_lt_i16_e32 vcc_lo, 24, v4
	s_cbranch_vccz .LBB134_693
; %bb.686:
	v_cvt_f32_f16_e32 v5, v3
	v_mov_b32_e32 v7, 0x80
	s_mov_b32 s22, exec_lo
	s_delay_alu instid0(VALU_DEP_2) | instskip(NEXT) | instid1(VALU_DEP_1)
	v_and_b32_e32 v6, 0x7fffffff, v5
	v_cmpx_gt_u32_e32 0x47800000, v6
	s_cbranch_execz .LBB134_692
; %bb.687:
	v_cmp_lt_u32_e32 vcc_lo, 0x37ffffff, v6
	s_mov_b32 s23, 0
                                        ; implicit-def: $vgpr6
	s_and_saveexec_b32 s25, vcc_lo
	s_delay_alu instid0(SALU_CYCLE_1)
	s_xor_b32 s25, exec_lo, s25
	s_cbranch_execz .LBB134_914
; %bb.688:
	v_bfe_u32 v6, v5, 21, 1
	s_mov_b32 s23, exec_lo
	s_delay_alu instid0(VALU_DEP_1) | instskip(NEXT) | instid1(VALU_DEP_1)
	v_add3_u32 v6, v5, v6, 0x88fffff
	v_lshrrev_b32_e32 v6, 21, v6
	s_or_saveexec_b32 s25, s25
                                        ; implicit-def: $sgpr26
	s_delay_alu instid0(SALU_CYCLE_1)
	s_xor_b32 exec_lo, exec_lo, s25
	s_cbranch_execnz .LBB134_915
.LBB134_689:
	s_or_b32 exec_lo, exec_lo, s25
	v_mov_b32_e32 v7, s26
	s_and_saveexec_b32 s25, s23
.LBB134_690:
	v_lshrrev_b32_e32 v5, 24, v5
	s_delay_alu instid0(VALU_DEP_1)
	v_and_or_b32 v7, 0x80, v5, v6
.LBB134_691:
	s_or_b32 exec_lo, exec_lo, s25
.LBB134_692:
	s_delay_alu instid0(SALU_CYCLE_1)
	s_or_b32 exec_lo, exec_lo, s22
	s_mov_b32 s22, 0
	global_store_b8 v[0:1], v7, off
.LBB134_693:
	s_and_b32 vcc_lo, exec_lo, s22
	s_cbranch_vccz .LBB134_703
; %bb.694:
	v_cvt_f32_f16_e32 v5, v3
	s_mov_b32 s22, exec_lo
                                        ; implicit-def: $vgpr6
	s_delay_alu instid0(VALU_DEP_1) | instskip(NEXT) | instid1(VALU_DEP_1)
	v_and_b32_e32 v7, 0x7fffffff, v5
	v_cmpx_gt_u32_e32 0x43f00000, v7
	s_xor_b32 s22, exec_lo, s22
	s_cbranch_execz .LBB134_700
; %bb.695:
	s_mov_b32 s23, exec_lo
                                        ; implicit-def: $vgpr6
	v_cmpx_lt_u32_e32 0x3c7fffff, v7
	s_xor_b32 s23, exec_lo, s23
; %bb.696:
	v_bfe_u32 v6, v5, 20, 1
	s_delay_alu instid0(VALU_DEP_1) | instskip(NEXT) | instid1(VALU_DEP_1)
	v_add3_u32 v6, v5, v6, 0x407ffff
	v_and_b32_e32 v7, 0xff00000, v6
	v_lshrrev_b32_e32 v6, 20, v6
	s_delay_alu instid0(VALU_DEP_2) | instskip(NEXT) | instid1(VALU_DEP_2)
	v_cmp_ne_u32_e32 vcc_lo, 0x7f00000, v7
	v_cndmask_b32_e32 v6, 0x7e, v6, vcc_lo
; %bb.697:
	s_and_not1_saveexec_b32 s23, s23
; %bb.698:
	v_add_f32_e64 v6, 0x46800000, |v5|
; %bb.699:
	s_or_b32 exec_lo, exec_lo, s23
                                        ; implicit-def: $vgpr7
.LBB134_700:
	s_and_not1_saveexec_b32 s22, s22
; %bb.701:
	v_mov_b32_e32 v6, 0x7f
	v_cmp_lt_u32_e32 vcc_lo, 0x7f800000, v7
	s_delay_alu instid0(VALU_DEP_2)
	v_cndmask_b32_e32 v6, 0x7e, v6, vcc_lo
; %bb.702:
	s_or_b32 exec_lo, exec_lo, s22
	v_lshrrev_b32_e32 v5, 24, v5
	s_delay_alu instid0(VALU_DEP_1)
	v_and_or_b32 v5, 0x80, v5, v6
	global_store_b8 v[0:1], v5, off
.LBB134_703:
	s_mov_b32 s22, 0
.LBB134_704:
	s_delay_alu instid0(SALU_CYCLE_1)
	s_and_not1_b32 vcc_lo, exec_lo, s22
	s_cbranch_vccnz .LBB134_714
; %bb.705:
	v_cvt_f32_f16_e32 v5, v3
	s_mov_b32 s22, exec_lo
                                        ; implicit-def: $vgpr6
	s_delay_alu instid0(VALU_DEP_1) | instskip(NEXT) | instid1(VALU_DEP_1)
	v_and_b32_e32 v7, 0x7fffffff, v5
	v_cmpx_gt_u32_e32 0x47800000, v7
	s_xor_b32 s22, exec_lo, s22
	s_cbranch_execz .LBB134_711
; %bb.706:
	s_mov_b32 s23, exec_lo
                                        ; implicit-def: $vgpr6
	v_cmpx_lt_u32_e32 0x387fffff, v7
	s_xor_b32 s23, exec_lo, s23
; %bb.707:
	v_bfe_u32 v6, v5, 21, 1
	s_delay_alu instid0(VALU_DEP_1) | instskip(NEXT) | instid1(VALU_DEP_1)
	v_add3_u32 v6, v5, v6, 0x80fffff
	v_lshrrev_b32_e32 v6, 21, v6
; %bb.708:
	s_and_not1_saveexec_b32 s23, s23
; %bb.709:
	v_add_f32_e64 v6, 0x43000000, |v5|
; %bb.710:
	s_or_b32 exec_lo, exec_lo, s23
                                        ; implicit-def: $vgpr7
.LBB134_711:
	s_and_not1_saveexec_b32 s22, s22
; %bb.712:
	v_mov_b32_e32 v6, 0x7f
	v_cmp_lt_u32_e32 vcc_lo, 0x7f800000, v7
	s_delay_alu instid0(VALU_DEP_2)
	v_cndmask_b32_e32 v6, 0x7c, v6, vcc_lo
; %bb.713:
	s_or_b32 exec_lo, exec_lo, s22
	v_lshrrev_b32_e32 v5, 24, v5
	s_delay_alu instid0(VALU_DEP_1)
	v_and_or_b32 v5, 0x80, v5, v6
	global_store_b8 v[0:1], v5, off
.LBB134_714:
	s_mov_b32 s23, 0
	s_mov_b32 s22, -1
.LBB134_715:
	s_and_not1_b32 vcc_lo, exec_lo, s23
	s_cbranch_vccnz .LBB134_723
; %bb.716:
	v_cmp_lt_i16_e32 vcc_lo, 14, v4
	s_mov_b32 s23, -1
	s_cbranch_vccz .LBB134_720
; %bb.717:
	v_cmp_eq_u16_e32 vcc_lo, 15, v4
	s_mov_b32 s0, -1
	s_cbranch_vccz .LBB134_719
; %bb.718:
	v_cvt_f32_f16_e32 v5, v3
	v_cmp_o_f16_e32 vcc_lo, v3, v3
	s_mov_b32 s22, -1
	s_mov_b32 s0, 0
	s_delay_alu instid0(VALU_DEP_2) | instskip(NEXT) | instid1(VALU_DEP_1)
	v_bfe_u32 v6, v5, 16, 1
	v_add3_u32 v5, v5, v6, 0x7fff
	s_delay_alu instid0(VALU_DEP_1) | instskip(NEXT) | instid1(VALU_DEP_1)
	v_lshrrev_b32_e32 v5, 16, v5
	v_cndmask_b32_e32 v5, 0x7fc0, v5, vcc_lo
	global_store_b16 v[0:1], v5, off
.LBB134_719:
	s_mov_b32 s23, 0
.LBB134_720:
	s_delay_alu instid0(SALU_CYCLE_1)
	s_and_b32 vcc_lo, exec_lo, s23
	s_cbranch_vccz .LBB134_723
; %bb.721:
	v_cmp_eq_u16_e32 vcc_lo, 11, v4
	s_mov_b32 s0, -1
	s_cbranch_vccz .LBB134_723
; %bb.722:
	v_cmp_neq_f16_e32 vcc_lo, 0, v3
	s_mov_b32 s0, 0
	s_mov_b32 s22, -1
	v_cndmask_b32_e64 v5, 0, 1, vcc_lo
	global_store_b8 v[0:1], v5, off
.LBB134_723:
	s_mov_b32 s23, 0
.LBB134_724:
	s_delay_alu instid0(SALU_CYCLE_1)
	s_and_b32 vcc_lo, exec_lo, s23
	s_cbranch_vccz .LBB134_763
; %bb.725:
	v_cmp_gt_i16_e32 vcc_lo, 5, v4
	s_mov_b32 s22, -1
	s_cbranch_vccnz .LBB134_746
; %bb.726:
	v_cmp_gt_i16_e32 vcc_lo, 8, v4
	s_cbranch_vccnz .LBB134_736
; %bb.727:
	v_cmp_gt_i16_e32 vcc_lo, 9, v4
	s_cbranch_vccnz .LBB134_733
; %bb.728:
	v_cmp_lt_i16_e32 vcc_lo, 9, v4
	s_cbranch_vccz .LBB134_730
; %bb.729:
	v_cvt_f32_f16_e32 v5, v3
	v_mov_b32_e32 v7, 0
	s_mov_b32 s22, 0
	s_delay_alu instid0(VALU_DEP_2) | instskip(NEXT) | instid1(VALU_DEP_2)
	v_cvt_f64_f32_e32 v[5:6], v5
	v_mov_b32_e32 v8, v7
	global_store_b128 v[0:1], v[5:8], off
.LBB134_730:
	s_and_not1_b32 vcc_lo, exec_lo, s22
	s_cbranch_vccnz .LBB134_732
; %bb.731:
	v_cvt_f32_f16_e32 v5, v3
	v_mov_b32_e32 v6, 0
	global_store_b64 v[0:1], v[5:6], off
.LBB134_732:
	s_mov_b32 s22, 0
.LBB134_733:
	s_delay_alu instid0(SALU_CYCLE_1)
	s_and_not1_b32 vcc_lo, exec_lo, s22
	s_cbranch_vccnz .LBB134_735
; %bb.734:
	v_and_b32_e32 v5, 0xffff, v3
	global_store_b32 v[0:1], v5, off
.LBB134_735:
	s_mov_b32 s22, 0
.LBB134_736:
	s_delay_alu instid0(SALU_CYCLE_1)
	s_and_not1_b32 vcc_lo, exec_lo, s22
	s_cbranch_vccnz .LBB134_745
; %bb.737:
	v_cmp_gt_i16_e32 vcc_lo, 6, v4
	s_mov_b32 s22, -1
	s_cbranch_vccnz .LBB134_743
; %bb.738:
	v_cmp_lt_i16_e32 vcc_lo, 6, v4
	s_cbranch_vccz .LBB134_740
; %bb.739:
	v_cvt_f32_f16_e32 v5, v3
	s_mov_b32 s22, 0
	s_delay_alu instid0(VALU_DEP_1)
	v_cvt_f64_f32_e32 v[5:6], v5
	global_store_b64 v[0:1], v[5:6], off
.LBB134_740:
	s_and_not1_b32 vcc_lo, exec_lo, s22
	s_cbranch_vccnz .LBB134_742
; %bb.741:
	v_cvt_f32_f16_e32 v5, v3
	global_store_b32 v[0:1], v5, off
.LBB134_742:
	s_mov_b32 s22, 0
.LBB134_743:
	s_delay_alu instid0(SALU_CYCLE_1)
	s_and_not1_b32 vcc_lo, exec_lo, s22
	s_cbranch_vccnz .LBB134_745
; %bb.744:
	global_store_b16 v[0:1], v3, off
.LBB134_745:
	s_mov_b32 s22, 0
.LBB134_746:
	s_delay_alu instid0(SALU_CYCLE_1)
	s_and_not1_b32 vcc_lo, exec_lo, s22
	s_cbranch_vccnz .LBB134_762
; %bb.747:
	v_cmp_gt_i16_e32 vcc_lo, 2, v4
	s_mov_b32 s22, -1
	s_cbranch_vccnz .LBB134_757
; %bb.748:
	v_cmp_gt_i16_e32 vcc_lo, 3, v4
	s_cbranch_vccnz .LBB134_754
; %bb.749:
	v_cmp_lt_i16_e32 vcc_lo, 3, v4
	s_cbranch_vccz .LBB134_751
; %bb.750:
	v_cvt_f32_f16_e32 v5, v3
	s_mov_b32 s22, 0
	s_delay_alu instid0(VALU_DEP_1) | instskip(NEXT) | instid1(VALU_DEP_1)
	v_cvt_i32_f32_e32 v5, v5
	v_ashrrev_i32_e32 v6, 31, v5
	global_store_b64 v[0:1], v[5:6], off
.LBB134_751:
	s_and_not1_b32 vcc_lo, exec_lo, s22
	s_cbranch_vccnz .LBB134_753
; %bb.752:
	v_cvt_f32_f16_e32 v5, v3
	s_delay_alu instid0(VALU_DEP_1)
	v_cvt_i32_f32_e32 v5, v5
	global_store_b32 v[0:1], v5, off
.LBB134_753:
	s_mov_b32 s22, 0
.LBB134_754:
	s_delay_alu instid0(SALU_CYCLE_1)
	s_and_not1_b32 vcc_lo, exec_lo, s22
	s_cbranch_vccnz .LBB134_756
; %bb.755:
	v_cvt_i16_f16_e32 v5, v3
	global_store_b16 v[0:1], v5, off
.LBB134_756:
	s_mov_b32 s22, 0
.LBB134_757:
	s_delay_alu instid0(SALU_CYCLE_1)
	s_and_not1_b32 vcc_lo, exec_lo, s22
	s_cbranch_vccnz .LBB134_762
; %bb.758:
	v_cmp_lt_i16_e32 vcc_lo, 0, v4
	s_mov_b32 s22, -1
	s_cbranch_vccz .LBB134_760
; %bb.759:
	v_cvt_i16_f16_e32 v4, v3
	s_mov_b32 s22, 0
	global_store_b8 v[0:1], v4, off
.LBB134_760:
	s_and_not1_b32 vcc_lo, exec_lo, s22
	s_cbranch_vccnz .LBB134_762
; %bb.761:
	v_cvt_f32_f16_e32 v3, v3
	s_delay_alu instid0(VALU_DEP_1)
	v_cvt_i32_f32_e32 v3, v3
	global_store_b8 v[0:1], v3, off
.LBB134_762:
	s_mov_b32 s22, -1
.LBB134_763:
	s_delay_alu instid0(SALU_CYCLE_1)
	s_and_not1_b32 vcc_lo, exec_lo, s22
	s_mov_b32 s23, 0
	s_cbranch_vccnz .LBB134_765
; %bb.764:
	v_add_nc_u32_e32 v2, 0x80, v2
	s_mov_b32 s25, -1
	s_branch .LBB134_767
.LBB134_765:
	s_mov_b32 s25, 0
.LBB134_766:
                                        ; implicit-def: $vgpr2
.LBB134_767:
	s_and_not1_b32 s22, s16, exec_lo
	s_and_b32 s0, s0, exec_lo
	s_and_b32 s23, s23, exec_lo
	s_or_b32 s22, s22, s0
	s_and_not1_b32 s0, s18, exec_lo
	s_and_not1_b32 s26, s19, exec_lo
	s_and_b32 s21, s21, exec_lo
	s_or_b32 s23, s0, s23
	s_or_b32 s21, s26, s21
	s_or_not1_b32 s26, s25, exec_lo
.LBB134_768:
	s_or_b32 exec_lo, exec_lo, s24
	s_mov_b32 s25, 0
	s_mov_b32 s27, 0
	;; [unrolled: 1-line block ×3, first 2 shown]
                                        ; implicit-def: $vgpr4
                                        ; implicit-def: $vgpr0_vgpr1
                                        ; implicit-def: $vgpr3
	s_and_saveexec_b32 s24, s26
	s_cbranch_execz .LBB134_1241
; %bb.769:
	s_mov_b32 s31, -1
	s_mov_b32 s26, s21
	s_mov_b32 s27, s23
	;; [unrolled: 1-line block ×3, first 2 shown]
	s_mov_b32 s25, exec_lo
	v_cmpx_gt_i32_e64 s17, v2
	s_cbranch_execz .LBB134_1157
; %bb.770:
	v_mul_lo_u32 v0, v2, s9
	v_and_b32_e64 v4, 0xff, s14
	s_delay_alu instid0(VALU_DEP_1) | instskip(NEXT) | instid1(VALU_DEP_3)
	v_cmp_gt_i16_e32 vcc_lo, 11, v4
	v_ashrrev_i32_e32 v1, 31, v0
	v_add_co_u32 v0, s0, s6, v0
	s_delay_alu instid0(VALU_DEP_1)
	v_add_co_ci_u32_e64 v1, s0, s7, v1, s0
	s_cbranch_vccnz .LBB134_777
; %bb.771:
	v_cmp_lt_i16_e32 vcc_lo, 25, v4
	s_cbranch_vccz .LBB134_778
; %bb.772:
	v_cmp_lt_i16_e32 vcc_lo, 28, v4
	s_cbranch_vccz .LBB134_779
	;; [unrolled: 3-line block ×4, first 2 shown]
; %bb.775:
	v_cmp_eq_u16_e32 vcc_lo, 46, v4
	s_mov_b32 s27, 0
	s_cbranch_vccz .LBB134_784
; %bb.776:
	global_load_b32 v3, v[0:1], off
	s_mov_b32 s0, -1
	s_mov_b32 s26, 0
	s_waitcnt vmcnt(0)
	v_lshlrev_b32_e32 v3, 16, v3
	s_delay_alu instid0(VALU_DEP_1)
	v_cvt_f16_f32_e32 v3, v3
	s_branch .LBB134_786
.LBB134_777:
	s_mov_b32 s27, -1
	s_mov_b32 s0, 0
	s_mov_b32 s26, s21
                                        ; implicit-def: $vgpr3
	s_branch .LBB134_851
.LBB134_778:
	s_mov_b32 s27, -1
	s_mov_b32 s0, 0
	s_mov_b32 s26, s21
                                        ; implicit-def: $vgpr3
	s_branch .LBB134_815
.LBB134_779:
	s_mov_b32 s27, -1
	s_mov_b32 s0, 0
	s_mov_b32 s26, s21
                                        ; implicit-def: $vgpr3
	s_branch .LBB134_796
.LBB134_780:
	s_mov_b32 s27, -1
	s_mov_b32 s0, 0
	s_mov_b32 s26, s21
                                        ; implicit-def: $vgpr3
	s_branch .LBB134_791
.LBB134_781:
	s_mov_b32 s27, -1
	s_mov_b32 s0, 0
	s_mov_b32 s26, s21
	s_branch .LBB134_785
.LBB134_782:
	s_or_saveexec_b32 s25, s25
                                        ; implicit-def: $sgpr26
	s_delay_alu instid0(SALU_CYCLE_1)
	s_xor_b32 exec_lo, exec_lo, s25
	s_cbranch_execz .LBB134_676
.LBB134_783:
	v_add_f32_e64 v6, 0x46000000, |v5|
	s_and_not1_b32 s23, s23, exec_lo
	s_mov_b32 s26, 0
	s_delay_alu instid0(VALU_DEP_1) | instskip(NEXT) | instid1(VALU_DEP_1)
	v_and_b32_e32 v6, 0xff, v6
	v_cmp_ne_u32_e32 vcc_lo, 0, v6
	s_and_b32 s27, vcc_lo, exec_lo
	s_delay_alu instid0(SALU_CYCLE_1)
	s_or_b32 s23, s23, s27
	s_or_b32 exec_lo, exec_lo, s25
	v_mov_b32_e32 v7, s26
	s_and_saveexec_b32 s25, s23
	s_cbranch_execnz .LBB134_677
	s_branch .LBB134_678
.LBB134_784:
	s_mov_b32 s26, -1
	s_mov_b32 s0, 0
.LBB134_785:
                                        ; implicit-def: $vgpr3
.LBB134_786:
	s_and_b32 vcc_lo, exec_lo, s27
	s_cbranch_vccz .LBB134_790
; %bb.787:
	v_cmp_eq_u16_e32 vcc_lo, 44, v4
	s_cbranch_vccz .LBB134_789
; %bb.788:
	global_load_u8 v3, v[0:1], off
	s_mov_b32 s26, 0
	s_mov_b32 s0, -1
	s_waitcnt vmcnt(0)
	v_lshlrev_b32_e32 v5, 23, v3
	v_cmp_ne_u32_e32 vcc_lo, 0xff, v3
	s_delay_alu instid0(VALU_DEP_2) | instskip(NEXT) | instid1(VALU_DEP_1)
	v_cvt_f16_f32_e32 v5, v5
	v_cndmask_b32_e32 v5, 0x7e00, v5, vcc_lo
	v_cmp_ne_u32_e32 vcc_lo, 0, v3
	s_delay_alu instid0(VALU_DEP_2)
	v_cndmask_b32_e32 v3, 0, v5, vcc_lo
	s_branch .LBB134_790
.LBB134_789:
	s_mov_b32 s26, -1
                                        ; implicit-def: $vgpr3
.LBB134_790:
	s_mov_b32 s27, 0
.LBB134_791:
	s_delay_alu instid0(SALU_CYCLE_1)
	s_and_b32 vcc_lo, exec_lo, s27
	s_cbranch_vccz .LBB134_795
; %bb.792:
	v_cmp_eq_u16_e32 vcc_lo, 29, v4
	s_cbranch_vccz .LBB134_794
; %bb.793:
	global_load_b64 v[5:6], v[0:1], off
	s_mov_b32 s0, -1
	s_mov_b32 s26, 0
	s_mov_b32 s27, 0
	s_waitcnt vmcnt(0)
	v_clz_i32_u32_e32 v3, v6
	s_delay_alu instid0(VALU_DEP_1) | instskip(NEXT) | instid1(VALU_DEP_1)
	v_min_u32_e32 v3, 32, v3
	v_lshlrev_b64 v[5:6], v3, v[5:6]
	v_sub_nc_u32_e32 v3, 32, v3
	s_delay_alu instid0(VALU_DEP_2) | instskip(NEXT) | instid1(VALU_DEP_1)
	v_min_u32_e32 v5, 1, v5
	v_or_b32_e32 v5, v6, v5
	s_delay_alu instid0(VALU_DEP_1) | instskip(NEXT) | instid1(VALU_DEP_1)
	v_cvt_f32_u32_e32 v5, v5
	v_ldexp_f32 v3, v5, v3
	s_delay_alu instid0(VALU_DEP_1)
	v_cvt_f16_f32_e32 v3, v3
	s_branch .LBB134_796
.LBB134_794:
	s_mov_b32 s26, -1
                                        ; implicit-def: $vgpr3
.LBB134_795:
	s_mov_b32 s27, 0
.LBB134_796:
	s_delay_alu instid0(SALU_CYCLE_1)
	s_and_b32 vcc_lo, exec_lo, s27
	s_cbranch_vccz .LBB134_814
; %bb.797:
	v_cmp_gt_i16_e32 vcc_lo, 27, v4
	s_cbranch_vccnz .LBB134_800
; %bb.798:
	v_cmp_lt_i16_e32 vcc_lo, 27, v4
	s_cbranch_vccz .LBB134_801
; %bb.799:
	global_load_b32 v3, v[0:1], off
	s_mov_b32 s0, 0
	s_waitcnt vmcnt(0)
	v_cvt_f32_u32_e32 v3, v3
	s_delay_alu instid0(VALU_DEP_1)
	v_cvt_f16_f32_e32 v3, v3
	s_branch .LBB134_802
.LBB134_800:
	s_mov_b32 s0, -1
                                        ; implicit-def: $vgpr3
	s_branch .LBB134_805
.LBB134_801:
	s_mov_b32 s0, -1
                                        ; implicit-def: $vgpr3
.LBB134_802:
	s_delay_alu instid0(SALU_CYCLE_1)
	s_and_not1_b32 vcc_lo, exec_lo, s0
	s_cbranch_vccnz .LBB134_804
; %bb.803:
	global_load_u16 v3, v[0:1], off
	s_waitcnt vmcnt(0)
	v_cvt_f16_u16_e32 v3, v3
.LBB134_804:
	s_mov_b32 s0, 0
.LBB134_805:
	s_delay_alu instid0(SALU_CYCLE_1)
	s_and_not1_b32 vcc_lo, exec_lo, s0
	s_cbranch_vccnz .LBB134_813
; %bb.806:
	global_load_u8 v5, v[0:1], off
	s_mov_b32 s0, 0
	s_mov_b32 s28, exec_lo
                                        ; implicit-def: $sgpr27
	s_waitcnt vmcnt(0)
	v_cmpx_lt_i16_e32 0x7f, v5
	s_xor_b32 s28, exec_lo, s28
	s_cbranch_execz .LBB134_827
; %bb.807:
	s_mov_b32 s0, -1
	s_mov_b32 s29, exec_lo
                                        ; implicit-def: $sgpr27
	v_cmpx_eq_u16_e32 0x80, v5
; %bb.808:
	s_movk_i32 s27, 0x7e00
	s_xor_b32 s0, exec_lo, -1
; %bb.809:
	s_or_b32 exec_lo, exec_lo, s29
	s_delay_alu instid0(SALU_CYCLE_1)
	s_and_b32 s0, s0, exec_lo
	s_or_saveexec_b32 s28, s28
	v_mov_b32_e32 v3, s27
	s_xor_b32 exec_lo, exec_lo, s28
	s_cbranch_execnz .LBB134_828
.LBB134_810:
	s_or_b32 exec_lo, exec_lo, s28
	s_and_saveexec_b32 s27, s0
	s_cbranch_execz .LBB134_812
.LBB134_811:
	v_and_b32_e32 v3, 0xffff, v5
	v_lshlrev_b32_e32 v5, 24, v5
	s_delay_alu instid0(VALU_DEP_2) | instskip(NEXT) | instid1(VALU_DEP_2)
	v_and_b32_e32 v6, 7, v3
	v_and_b32_e32 v5, 0x80000000, v5
	s_delay_alu instid0(VALU_DEP_2) | instskip(NEXT) | instid1(VALU_DEP_1)
	v_clz_i32_u32_e32 v7, v6
	v_min_u32_e32 v7, 32, v7
	s_delay_alu instid0(VALU_DEP_1) | instskip(SKIP_1) | instid1(VALU_DEP_2)
	v_subrev_nc_u32_e32 v8, 28, v7
	v_sub_nc_u32_e32 v7, 29, v7
	v_lshlrev_b32_e32 v8, v8, v3
	v_bfe_u32 v3, v3, 3, 4
	s_delay_alu instid0(VALU_DEP_1) | instskip(NEXT) | instid1(VALU_DEP_3)
	v_cmp_eq_u32_e32 vcc_lo, 0, v3
	v_dual_cndmask_b32 v3, v3, v7 :: v_dual_and_b32 v8, 7, v8
	s_delay_alu instid0(VALU_DEP_1) | instskip(NEXT) | instid1(VALU_DEP_2)
	v_cndmask_b32_e32 v6, v6, v8, vcc_lo
	v_lshl_add_u32 v3, v3, 23, 0x3b800000
	s_delay_alu instid0(VALU_DEP_2) | instskip(NEXT) | instid1(VALU_DEP_1)
	v_lshlrev_b32_e32 v6, 20, v6
	v_or3_b32 v3, v5, v3, v6
	s_delay_alu instid0(VALU_DEP_1)
	v_cvt_f16_f32_e32 v3, v3
.LBB134_812:
	s_or_b32 exec_lo, exec_lo, s27
.LBB134_813:
	s_mov_b32 s0, -1
.LBB134_814:
	s_mov_b32 s27, 0
.LBB134_815:
	s_delay_alu instid0(SALU_CYCLE_1)
	s_and_b32 vcc_lo, exec_lo, s27
	s_cbranch_vccz .LBB134_850
; %bb.816:
	v_cmp_lt_i16_e32 vcc_lo, 22, v4
	s_cbranch_vccz .LBB134_826
; %bb.817:
	v_cmp_gt_i16_e32 vcc_lo, 24, v4
	s_cbranch_vccnz .LBB134_829
; %bb.818:
	v_cmp_lt_i16_e32 vcc_lo, 24, v4
	s_cbranch_vccz .LBB134_830
; %bb.819:
	global_load_u8 v5, v[0:1], off
	s_mov_b32 s0, 0
	s_mov_b32 s28, exec_lo
                                        ; implicit-def: $sgpr27
	s_waitcnt vmcnt(0)
	v_cmpx_lt_i16_e32 0x7f, v5
	s_xor_b32 s28, exec_lo, s28
	s_cbranch_execz .LBB134_842
; %bb.820:
	s_mov_b32 s0, -1
	s_mov_b32 s29, exec_lo
                                        ; implicit-def: $sgpr27
	v_cmpx_eq_u16_e32 0x80, v5
; %bb.821:
	s_movk_i32 s27, 0x7e00
	s_xor_b32 s0, exec_lo, -1
; %bb.822:
	s_or_b32 exec_lo, exec_lo, s29
	s_delay_alu instid0(SALU_CYCLE_1)
	s_and_b32 s0, s0, exec_lo
	s_or_saveexec_b32 s28, s28
	v_mov_b32_e32 v3, s27
	s_xor_b32 exec_lo, exec_lo, s28
	s_cbranch_execnz .LBB134_843
.LBB134_823:
	s_or_b32 exec_lo, exec_lo, s28
	s_and_saveexec_b32 s27, s0
	s_cbranch_execz .LBB134_825
.LBB134_824:
	v_and_b32_e32 v3, 0xffff, v5
	v_lshlrev_b32_e32 v5, 24, v5
	s_delay_alu instid0(VALU_DEP_2) | instskip(NEXT) | instid1(VALU_DEP_2)
	v_and_b32_e32 v6, 3, v3
	v_and_b32_e32 v5, 0x80000000, v5
	s_delay_alu instid0(VALU_DEP_2) | instskip(NEXT) | instid1(VALU_DEP_1)
	v_clz_i32_u32_e32 v7, v6
	v_min_u32_e32 v7, 32, v7
	s_delay_alu instid0(VALU_DEP_1) | instskip(SKIP_1) | instid1(VALU_DEP_2)
	v_subrev_nc_u32_e32 v8, 29, v7
	v_sub_nc_u32_e32 v7, 30, v7
	v_lshlrev_b32_e32 v8, v8, v3
	v_bfe_u32 v3, v3, 2, 5
	s_delay_alu instid0(VALU_DEP_1) | instskip(NEXT) | instid1(VALU_DEP_3)
	v_cmp_eq_u32_e32 vcc_lo, 0, v3
	v_dual_cndmask_b32 v3, v3, v7 :: v_dual_and_b32 v8, 3, v8
	s_delay_alu instid0(VALU_DEP_1) | instskip(NEXT) | instid1(VALU_DEP_2)
	v_cndmask_b32_e32 v6, v6, v8, vcc_lo
	v_lshl_add_u32 v3, v3, 23, 0x37800000
	s_delay_alu instid0(VALU_DEP_2) | instskip(NEXT) | instid1(VALU_DEP_1)
	v_lshlrev_b32_e32 v6, 21, v6
	v_or3_b32 v3, v5, v3, v6
	s_delay_alu instid0(VALU_DEP_1)
	v_cvt_f16_f32_e32 v3, v3
.LBB134_825:
	s_or_b32 exec_lo, exec_lo, s27
	s_mov_b32 s0, 0
	s_branch .LBB134_831
.LBB134_826:
	s_mov_b32 s27, -1
                                        ; implicit-def: $vgpr3
	s_branch .LBB134_837
.LBB134_827:
	s_or_saveexec_b32 s28, s28
	v_mov_b32_e32 v3, s27
	s_xor_b32 exec_lo, exec_lo, s28
	s_cbranch_execz .LBB134_810
.LBB134_828:
	v_cmp_ne_u16_e32 vcc_lo, 0, v5
	v_mov_b32_e32 v3, v5
	s_and_not1_b32 s0, s0, exec_lo
	s_and_b32 s27, vcc_lo, exec_lo
	s_delay_alu instid0(SALU_CYCLE_1)
	s_or_b32 s0, s0, s27
	s_or_b32 exec_lo, exec_lo, s28
	s_and_saveexec_b32 s27, s0
	s_cbranch_execnz .LBB134_811
	s_branch .LBB134_812
.LBB134_829:
	s_mov_b32 s0, -1
                                        ; implicit-def: $vgpr3
	s_branch .LBB134_834
.LBB134_830:
	s_mov_b32 s0, -1
                                        ; implicit-def: $vgpr3
.LBB134_831:
	s_delay_alu instid0(SALU_CYCLE_1)
	s_and_b32 vcc_lo, exec_lo, s0
	s_cbranch_vccz .LBB134_833
; %bb.832:
	global_load_u8 v3, v[0:1], off
	s_waitcnt vmcnt(0)
	v_lshlrev_b32_e32 v3, 24, v3
	s_delay_alu instid0(VALU_DEP_1) | instskip(NEXT) | instid1(VALU_DEP_1)
	v_and_b32_e32 v5, 0x7f000000, v3
	v_clz_i32_u32_e32 v6, v5
	v_cmp_ne_u32_e32 vcc_lo, 0, v5
	v_add_nc_u32_e32 v8, 0x1000000, v5
	s_delay_alu instid0(VALU_DEP_3) | instskip(NEXT) | instid1(VALU_DEP_1)
	v_min_u32_e32 v6, 32, v6
	v_sub_nc_u32_e64 v6, v6, 4 clamp
	s_delay_alu instid0(VALU_DEP_1) | instskip(SKIP_1) | instid1(VALU_DEP_2)
	v_lshlrev_b32_e32 v7, v6, v5
	v_lshlrev_b32_e32 v6, 23, v6
	v_lshrrev_b32_e32 v7, 4, v7
	s_delay_alu instid0(VALU_DEP_1) | instskip(SKIP_1) | instid1(VALU_DEP_2)
	v_sub_nc_u32_e32 v6, v7, v6
	v_ashrrev_i32_e32 v7, 8, v8
	v_add_nc_u32_e32 v6, 0x3c000000, v6
	s_delay_alu instid0(VALU_DEP_1) | instskip(NEXT) | instid1(VALU_DEP_1)
	v_and_or_b32 v6, 0x7f800000, v7, v6
	v_cndmask_b32_e32 v5, 0, v6, vcc_lo
	s_delay_alu instid0(VALU_DEP_1) | instskip(NEXT) | instid1(VALU_DEP_1)
	v_and_or_b32 v3, 0x80000000, v3, v5
	v_cvt_f16_f32_e32 v3, v3
.LBB134_833:
	s_mov_b32 s0, 0
.LBB134_834:
	s_delay_alu instid0(SALU_CYCLE_1)
	s_and_not1_b32 vcc_lo, exec_lo, s0
	s_cbranch_vccnz .LBB134_836
; %bb.835:
	global_load_u8 v3, v[0:1], off
	s_waitcnt vmcnt(0)
	v_lshlrev_b32_e32 v5, 25, v3
	v_lshlrev_b16 v3, 8, v3
	s_delay_alu instid0(VALU_DEP_2) | instskip(NEXT) | instid1(VALU_DEP_2)
	v_lshrrev_b32_e32 v6, 4, v5
	v_and_or_b32 v7, 0x7f00, v3, 0.5
	v_bfe_i32 v3, v3, 0, 16
	s_delay_alu instid0(VALU_DEP_3) | instskip(NEXT) | instid1(VALU_DEP_1)
	v_or_b32_e32 v6, 0x70000000, v6
	v_dual_add_f32 v7, -0.5, v7 :: v_dual_mul_f32 v6, 0x7800000, v6
	v_cmp_gt_u32_e32 vcc_lo, 0x8000000, v5
	s_delay_alu instid0(VALU_DEP_2) | instskip(NEXT) | instid1(VALU_DEP_1)
	v_cndmask_b32_e32 v5, v6, v7, vcc_lo
	v_and_or_b32 v3, 0x80000000, v3, v5
	s_delay_alu instid0(VALU_DEP_1)
	v_cvt_f16_f32_e32 v3, v3
.LBB134_836:
	s_mov_b32 s27, 0
	s_mov_b32 s0, -1
.LBB134_837:
	s_and_not1_b32 vcc_lo, exec_lo, s27
	s_cbranch_vccnz .LBB134_850
; %bb.838:
	v_cmp_lt_i16_e32 vcc_lo, 14, v4
	s_cbranch_vccz .LBB134_841
; %bb.839:
	v_cmp_eq_u16_e32 vcc_lo, 15, v4
	s_cbranch_vccz .LBB134_844
; %bb.840:
	global_load_u16 v3, v[0:1], off
	s_mov_b32 s0, -1
	s_mov_b32 s26, 0
	s_waitcnt vmcnt(0)
	v_lshlrev_b32_e32 v3, 16, v3
	s_delay_alu instid0(VALU_DEP_1)
	v_cvt_f16_f32_e32 v3, v3
	s_branch .LBB134_845
.LBB134_841:
	s_mov_b32 s27, -1
                                        ; implicit-def: $vgpr3
	s_branch .LBB134_846
.LBB134_842:
	s_or_saveexec_b32 s28, s28
	v_mov_b32_e32 v3, s27
	s_xor_b32 exec_lo, exec_lo, s28
	s_cbranch_execz .LBB134_823
.LBB134_843:
	v_cmp_ne_u16_e32 vcc_lo, 0, v5
	v_mov_b32_e32 v3, v5
	s_and_not1_b32 s0, s0, exec_lo
	s_and_b32 s27, vcc_lo, exec_lo
	s_delay_alu instid0(SALU_CYCLE_1)
	s_or_b32 s0, s0, s27
	s_or_b32 exec_lo, exec_lo, s28
	s_and_saveexec_b32 s27, s0
	s_cbranch_execnz .LBB134_824
	s_branch .LBB134_825
.LBB134_844:
	s_mov_b32 s26, -1
                                        ; implicit-def: $vgpr3
.LBB134_845:
	s_mov_b32 s27, 0
.LBB134_846:
	s_delay_alu instid0(SALU_CYCLE_1)
	s_and_b32 vcc_lo, exec_lo, s27
	s_cbranch_vccz .LBB134_850
; %bb.847:
	v_cmp_eq_u16_e32 vcc_lo, 11, v4
	s_cbranch_vccz .LBB134_849
; %bb.848:
	global_load_u8 v3, v[0:1], off
	s_mov_b32 s26, 0
	s_mov_b32 s0, -1
	s_waitcnt vmcnt(0)
	v_cmp_ne_u16_e32 vcc_lo, 0, v3
	v_cndmask_b32_e64 v3, 0, 0x3c00, vcc_lo
	s_branch .LBB134_850
.LBB134_849:
	s_mov_b32 s26, -1
                                        ; implicit-def: $vgpr3
.LBB134_850:
	s_mov_b32 s27, 0
.LBB134_851:
	s_delay_alu instid0(SALU_CYCLE_1)
	s_and_b32 vcc_lo, exec_lo, s27
	s_cbranch_vccz .LBB134_900
; %bb.852:
	v_cmp_gt_i16_e32 vcc_lo, 5, v4
	s_cbranch_vccnz .LBB134_857
; %bb.853:
	v_cmp_gt_i16_e32 vcc_lo, 8, v4
	s_cbranch_vccnz .LBB134_858
	;; [unrolled: 3-line block ×3, first 2 shown]
; %bb.855:
	v_cmp_lt_i16_e32 vcc_lo, 9, v4
	s_cbranch_vccz .LBB134_860
; %bb.856:
	global_load_b64 v[5:6], v[0:1], off
	s_mov_b32 s0, 0
	s_waitcnt vmcnt(0)
	v_cvt_f32_f64_e32 v3, v[5:6]
	s_delay_alu instid0(VALU_DEP_1)
	v_cvt_f16_f32_e32 v3, v3
	s_branch .LBB134_861
.LBB134_857:
	s_mov_b32 s0, -1
                                        ; implicit-def: $vgpr3
	s_branch .LBB134_879
.LBB134_858:
	s_mov_b32 s0, -1
                                        ; implicit-def: $vgpr3
	s_branch .LBB134_867
.LBB134_859:
	s_mov_b32 s0, -1
                                        ; implicit-def: $vgpr3
	s_branch .LBB134_864
.LBB134_860:
	s_mov_b32 s0, -1
                                        ; implicit-def: $vgpr3
.LBB134_861:
	s_delay_alu instid0(SALU_CYCLE_1)
	s_and_not1_b32 vcc_lo, exec_lo, s0
	s_cbranch_vccnz .LBB134_863
; %bb.862:
	global_load_b32 v3, v[0:1], off
	s_waitcnt vmcnt(0)
	v_cvt_f16_f32_e32 v3, v3
.LBB134_863:
	s_mov_b32 s0, 0
.LBB134_864:
	s_delay_alu instid0(SALU_CYCLE_1)
	s_and_not1_b32 vcc_lo, exec_lo, s0
	s_cbranch_vccnz .LBB134_866
; %bb.865:
	global_load_b32 v3, v[0:1], off
.LBB134_866:
	s_mov_b32 s0, 0
.LBB134_867:
	s_delay_alu instid0(SALU_CYCLE_1)
	s_and_not1_b32 vcc_lo, exec_lo, s0
	s_cbranch_vccnz .LBB134_878
; %bb.868:
	v_cmp_gt_i16_e32 vcc_lo, 6, v4
	s_cbranch_vccnz .LBB134_871
; %bb.869:
	v_cmp_lt_i16_e32 vcc_lo, 6, v4
	s_cbranch_vccz .LBB134_872
; %bb.870:
	global_load_b64 v[5:6], v[0:1], off
	s_mov_b32 s0, 0
	s_waitcnt vmcnt(0)
	v_cvt_f32_f64_e32 v3, v[5:6]
	s_delay_alu instid0(VALU_DEP_1)
	v_cvt_f16_f32_e32 v3, v3
	s_branch .LBB134_873
.LBB134_871:
	s_mov_b32 s0, -1
                                        ; implicit-def: $vgpr3
	s_branch .LBB134_876
.LBB134_872:
	s_mov_b32 s0, -1
                                        ; implicit-def: $vgpr3
.LBB134_873:
	s_delay_alu instid0(SALU_CYCLE_1)
	s_and_not1_b32 vcc_lo, exec_lo, s0
	s_cbranch_vccnz .LBB134_875
; %bb.874:
	global_load_b32 v3, v[0:1], off
	s_waitcnt vmcnt(0)
	v_cvt_f16_f32_e32 v3, v3
.LBB134_875:
	s_mov_b32 s0, 0
.LBB134_876:
	s_delay_alu instid0(SALU_CYCLE_1)
	s_and_not1_b32 vcc_lo, exec_lo, s0
	s_cbranch_vccnz .LBB134_878
; %bb.877:
	global_load_u16 v3, v[0:1], off
.LBB134_878:
	s_mov_b32 s0, 0
.LBB134_879:
	s_delay_alu instid0(SALU_CYCLE_1)
	s_and_not1_b32 vcc_lo, exec_lo, s0
	s_cbranch_vccnz .LBB134_899
; %bb.880:
	v_cmp_gt_i16_e32 vcc_lo, 2, v4
	s_cbranch_vccnz .LBB134_884
; %bb.881:
	v_cmp_gt_i16_e32 vcc_lo, 3, v4
	s_cbranch_vccnz .LBB134_885
; %bb.882:
	v_cmp_lt_i16_e32 vcc_lo, 3, v4
	s_cbranch_vccz .LBB134_886
; %bb.883:
	global_load_b64 v[5:6], v[0:1], off
	s_mov_b32 s0, 0
	s_waitcnt vmcnt(0)
	v_xor_b32_e32 v3, v5, v6
	v_cls_i32_e32 v7, v6
	s_delay_alu instid0(VALU_DEP_2) | instskip(NEXT) | instid1(VALU_DEP_2)
	v_ashrrev_i32_e32 v3, 31, v3
	v_add_nc_u32_e32 v7, -1, v7
	s_delay_alu instid0(VALU_DEP_2) | instskip(NEXT) | instid1(VALU_DEP_1)
	v_add_nc_u32_e32 v3, 32, v3
	v_min_u32_e32 v3, v7, v3
	s_delay_alu instid0(VALU_DEP_1) | instskip(SKIP_1) | instid1(VALU_DEP_2)
	v_lshlrev_b64 v[5:6], v3, v[5:6]
	v_sub_nc_u32_e32 v3, 32, v3
	v_min_u32_e32 v5, 1, v5
	s_delay_alu instid0(VALU_DEP_1) | instskip(NEXT) | instid1(VALU_DEP_1)
	v_or_b32_e32 v5, v6, v5
	v_cvt_f32_i32_e32 v5, v5
	s_delay_alu instid0(VALU_DEP_1) | instskip(NEXT) | instid1(VALU_DEP_1)
	v_ldexp_f32 v3, v5, v3
	v_cvt_f16_f32_e32 v3, v3
	s_branch .LBB134_887
.LBB134_884:
	s_mov_b32 s0, -1
                                        ; implicit-def: $vgpr3
	s_branch .LBB134_893
.LBB134_885:
	s_mov_b32 s0, -1
                                        ; implicit-def: $vgpr3
	s_branch .LBB134_890
.LBB134_886:
	s_mov_b32 s0, -1
                                        ; implicit-def: $vgpr3
.LBB134_887:
	s_delay_alu instid0(SALU_CYCLE_1)
	s_and_not1_b32 vcc_lo, exec_lo, s0
	s_cbranch_vccnz .LBB134_889
; %bb.888:
	global_load_b32 v3, v[0:1], off
	s_waitcnt vmcnt(0)
	v_cvt_f32_i32_e32 v3, v3
	s_delay_alu instid0(VALU_DEP_1)
	v_cvt_f16_f32_e32 v3, v3
.LBB134_889:
	s_mov_b32 s0, 0
.LBB134_890:
	s_delay_alu instid0(SALU_CYCLE_1)
	s_and_not1_b32 vcc_lo, exec_lo, s0
	s_cbranch_vccnz .LBB134_892
; %bb.891:
	global_load_u16 v3, v[0:1], off
	s_waitcnt vmcnt(0)
	v_cvt_f16_i16_e32 v3, v3
.LBB134_892:
	s_mov_b32 s0, 0
.LBB134_893:
	s_delay_alu instid0(SALU_CYCLE_1)
	s_and_not1_b32 vcc_lo, exec_lo, s0
	s_cbranch_vccnz .LBB134_899
; %bb.894:
	v_cmp_lt_i16_e32 vcc_lo, 0, v4
	s_mov_b32 s0, 0
	s_cbranch_vccz .LBB134_896
; %bb.895:
	global_load_i8 v3, v[0:1], off
	s_waitcnt vmcnt(0)
	v_cvt_f16_i16_e32 v3, v3
	s_branch .LBB134_897
.LBB134_896:
	s_mov_b32 s0, -1
                                        ; implicit-def: $vgpr3
.LBB134_897:
	s_delay_alu instid0(SALU_CYCLE_1)
	s_and_not1_b32 vcc_lo, exec_lo, s0
	s_cbranch_vccnz .LBB134_899
; %bb.898:
	global_load_u8 v0, v[0:1], off
	s_waitcnt vmcnt(0)
	v_cvt_f16_u16_e32 v3, v0
.LBB134_899:
	s_mov_b32 s0, -1
.LBB134_900:
	s_delay_alu instid0(SALU_CYCLE_1)
	s_and_not1_b32 vcc_lo, exec_lo, s0
	s_cbranch_vccnz .LBB134_908
; %bb.901:
	v_mul_lo_u32 v0, v2, s10
	v_and_b32_e64 v4, 0xff, s1
	s_delay_alu instid0(VALU_DEP_1) | instskip(NEXT) | instid1(VALU_DEP_3)
	v_cmp_gt_i16_e32 vcc_lo, 11, v4
	v_ashrrev_i32_e32 v1, 31, v0
	v_add_co_u32 v0, s0, s2, v0
	s_delay_alu instid0(VALU_DEP_1)
	v_add_co_ci_u32_e64 v1, s0, s3, v1, s0
	s_cbranch_vccnz .LBB134_909
; %bb.902:
	v_cmp_lt_i16_e32 vcc_lo, 25, v4
	s_cbranch_vccz .LBB134_910
; %bb.903:
	v_cmp_lt_i16_e32 vcc_lo, 28, v4
	s_cbranch_vccz .LBB134_911
	;; [unrolled: 3-line block ×4, first 2 shown]
; %bb.906:
	v_cmp_eq_u16_e32 vcc_lo, 46, v4
	s_mov_b32 s29, 0
	s_cbranch_vccz .LBB134_916
; %bb.907:
	global_load_b32 v5, v[0:1], off
	s_mov_b32 s27, 0
	s_mov_b32 s0, -1
	s_waitcnt vmcnt(0)
	v_and_b32_e32 v5, 0x7fff7fff, v5
	s_delay_alu instid0(VALU_DEP_1)
	v_cmp_ne_u32_e32 vcc_lo, 0, v5
	s_and_b32 s28, vcc_lo, exec_lo
	s_branch .LBB134_918
.LBB134_908:
	s_mov_b32 s29, 0
	s_mov_b32 s0, s22
	;; [unrolled: 1-line block ×3, first 2 shown]
	s_branch .LBB134_1155
.LBB134_909:
	s_mov_b32 s29, -1
	s_mov_b32 s0, 0
	s_mov_b32 s27, s23
                                        ; implicit-def: $sgpr28
	s_branch .LBB134_981
.LBB134_910:
	s_mov_b32 s29, -1
	s_mov_b32 s0, 0
	s_mov_b32 s27, s23
                                        ; implicit-def: $sgpr28
	s_branch .LBB134_945
.LBB134_911:
	s_mov_b32 s29, -1
	s_mov_b32 s0, 0
	s_mov_b32 s27, s23
                                        ; implicit-def: $sgpr28
	s_branch .LBB134_926
.LBB134_912:
	s_mov_b32 s29, -1
	s_mov_b32 s0, 0
	s_mov_b32 s27, s23
                                        ; implicit-def: $sgpr28
	s_branch .LBB134_921
.LBB134_913:
	s_mov_b32 s29, -1
	s_mov_b32 s0, 0
	s_mov_b32 s27, s23
	s_branch .LBB134_917
.LBB134_914:
	s_or_saveexec_b32 s25, s25
                                        ; implicit-def: $sgpr26
	s_delay_alu instid0(SALU_CYCLE_1)
	s_xor_b32 exec_lo, exec_lo, s25
	s_cbranch_execz .LBB134_689
.LBB134_915:
	v_add_f32_e64 v6, 0x42800000, |v5|
	s_and_not1_b32 s23, s23, exec_lo
	s_mov_b32 s26, 0
	s_delay_alu instid0(VALU_DEP_1) | instskip(NEXT) | instid1(VALU_DEP_1)
	v_and_b32_e32 v6, 0xff, v6
	v_cmp_ne_u32_e32 vcc_lo, 0, v6
	s_and_b32 s27, vcc_lo, exec_lo
	s_delay_alu instid0(SALU_CYCLE_1)
	s_or_b32 s23, s23, s27
	s_or_b32 exec_lo, exec_lo, s25
	v_mov_b32_e32 v7, s26
	s_and_saveexec_b32 s25, s23
	s_cbranch_execnz .LBB134_690
	s_branch .LBB134_691
.LBB134_916:
	s_mov_b32 s27, -1
	s_mov_b32 s0, 0
.LBB134_917:
                                        ; implicit-def: $sgpr28
.LBB134_918:
	s_and_b32 vcc_lo, exec_lo, s29
	s_cbranch_vccz .LBB134_920
; %bb.919:
	v_cmp_eq_u16_e64 s0, 44, v4
	s_or_b32 s28, s28, exec_lo
	s_or_b32 s27, s27, exec_lo
.LBB134_920:
	s_mov_b32 s29, 0
.LBB134_921:
	s_delay_alu instid0(SALU_CYCLE_1)
	s_and_b32 vcc_lo, exec_lo, s29
	s_cbranch_vccz .LBB134_925
; %bb.922:
	v_cmp_eq_u16_e32 vcc_lo, 29, v4
	s_cbranch_vccz .LBB134_924
; %bb.923:
	global_load_b64 v[5:6], v[0:1], off
	s_mov_b32 s0, -1
	s_mov_b32 s27, 0
	s_mov_b32 s29, 0
	s_waitcnt vmcnt(0)
	v_cmp_ne_u64_e32 vcc_lo, 0, v[5:6]
	s_and_b32 s28, vcc_lo, exec_lo
	s_branch .LBB134_926
.LBB134_924:
	s_mov_b32 s27, -1
                                        ; implicit-def: $sgpr28
.LBB134_925:
	s_mov_b32 s29, 0
.LBB134_926:
	s_delay_alu instid0(SALU_CYCLE_1)
	s_and_b32 vcc_lo, exec_lo, s29
	s_cbranch_vccz .LBB134_944
; %bb.927:
	v_cmp_gt_i16_e32 vcc_lo, 27, v4
	s_cbranch_vccnz .LBB134_930
; %bb.928:
	v_cmp_lt_i16_e32 vcc_lo, 27, v4
	s_cbranch_vccz .LBB134_931
; %bb.929:
	global_load_b32 v5, v[0:1], off
	s_mov_b32 s0, 0
	s_waitcnt vmcnt(0)
	v_cmp_ne_u32_e32 vcc_lo, 0, v5
	s_and_b32 s28, vcc_lo, exec_lo
	s_branch .LBB134_932
.LBB134_930:
	s_mov_b32 s0, -1
                                        ; implicit-def: $sgpr28
	s_branch .LBB134_935
.LBB134_931:
	s_mov_b32 s0, -1
                                        ; implicit-def: $sgpr28
.LBB134_932:
	s_delay_alu instid0(SALU_CYCLE_1)
	s_and_not1_b32 vcc_lo, exec_lo, s0
	s_cbranch_vccnz .LBB134_934
; %bb.933:
	global_load_u16 v5, v[0:1], off
	s_and_not1_b32 s0, s28, exec_lo
	s_waitcnt vmcnt(0)
	v_cmp_ne_u16_e32 vcc_lo, 0, v5
	s_and_b32 s28, vcc_lo, exec_lo
	s_delay_alu instid0(SALU_CYCLE_1)
	s_or_b32 s28, s0, s28
.LBB134_934:
	s_mov_b32 s0, 0
.LBB134_935:
	s_delay_alu instid0(SALU_CYCLE_1)
	s_and_not1_b32 vcc_lo, exec_lo, s0
	s_cbranch_vccnz .LBB134_943
; %bb.936:
	global_load_u8 v5, v[0:1], off
	s_mov_b32 s0, 0
	s_mov_b32 s29, exec_lo
                                        ; implicit-def: $sgpr28
	s_waitcnt vmcnt(0)
	v_cmpx_lt_i16_e32 0x7f, v5
	s_xor_b32 s29, exec_lo, s29
	s_cbranch_execz .LBB134_957
; %bb.937:
	s_mov_b32 s0, -1
	s_mov_b32 s30, exec_lo
                                        ; implicit-def: $sgpr28
	v_cmpx_eq_u16_e32 0x80, v5
; %bb.938:
	s_mov_b32 s28, -1
	s_xor_b32 s0, exec_lo, -1
; %bb.939:
	s_or_b32 exec_lo, exec_lo, s30
	s_delay_alu instid0(SALU_CYCLE_1)
	s_and_b32 s0, s0, exec_lo
	s_and_not1_saveexec_b32 s29, s29
	s_cbranch_execnz .LBB134_958
.LBB134_940:
	s_or_b32 exec_lo, exec_lo, s29
	s_and_saveexec_b32 s29, s0
	s_cbranch_execz .LBB134_942
.LBB134_941:
	v_and_b32_e32 v5, 0xffff, v5
	s_and_not1_b32 s0, s28, exec_lo
	s_delay_alu instid0(VALU_DEP_1) | instskip(NEXT) | instid1(VALU_DEP_1)
	v_and_b32_e32 v6, 7, v5
	v_clz_i32_u32_e32 v7, v6
	s_delay_alu instid0(VALU_DEP_1) | instskip(NEXT) | instid1(VALU_DEP_1)
	v_min_u32_e32 v7, 32, v7
	v_subrev_nc_u32_e32 v8, 28, v7
	v_sub_nc_u32_e32 v7, 29, v7
	s_delay_alu instid0(VALU_DEP_2) | instskip(SKIP_1) | instid1(VALU_DEP_2)
	v_lshlrev_b32_e32 v8, v8, v5
	v_bfe_u32 v5, v5, 3, 4
	v_and_b32_e32 v8, 7, v8
	s_delay_alu instid0(VALU_DEP_2) | instskip(NEXT) | instid1(VALU_DEP_2)
	v_cmp_eq_u32_e32 vcc_lo, 0, v5
	v_dual_cndmask_b32 v5, v5, v7 :: v_dual_cndmask_b32 v6, v6, v8
	s_delay_alu instid0(VALU_DEP_1) | instskip(NEXT) | instid1(VALU_DEP_2)
	v_lshl_add_u32 v5, v5, 23, 0x3b800000
	v_lshlrev_b32_e32 v6, 20, v6
	s_delay_alu instid0(VALU_DEP_1) | instskip(NEXT) | instid1(VALU_DEP_1)
	v_and_or_b32 v5, 0x7f800000, v5, v6
	v_cmp_ne_u32_e32 vcc_lo, 0, v5
	s_and_b32 s28, vcc_lo, exec_lo
	s_delay_alu instid0(SALU_CYCLE_1)
	s_or_b32 s28, s0, s28
.LBB134_942:
	s_or_b32 exec_lo, exec_lo, s29
.LBB134_943:
	s_mov_b32 s0, -1
.LBB134_944:
	s_mov_b32 s29, 0
.LBB134_945:
	s_delay_alu instid0(SALU_CYCLE_1)
	s_and_b32 vcc_lo, exec_lo, s29
	s_cbranch_vccz .LBB134_980
; %bb.946:
	v_cmp_lt_i16_e32 vcc_lo, 22, v4
	s_cbranch_vccz .LBB134_956
; %bb.947:
	v_cmp_gt_i16_e32 vcc_lo, 24, v4
	s_cbranch_vccnz .LBB134_959
; %bb.948:
	v_cmp_lt_i16_e32 vcc_lo, 24, v4
	s_cbranch_vccz .LBB134_960
; %bb.949:
	global_load_u8 v5, v[0:1], off
	s_mov_b32 s0, 0
	s_mov_b32 s29, exec_lo
                                        ; implicit-def: $sgpr28
	s_waitcnt vmcnt(0)
	v_cmpx_lt_i16_e32 0x7f, v5
	s_xor_b32 s29, exec_lo, s29
	s_cbranch_execz .LBB134_972
; %bb.950:
	s_mov_b32 s0, -1
	s_mov_b32 s30, exec_lo
                                        ; implicit-def: $sgpr28
	v_cmpx_eq_u16_e32 0x80, v5
; %bb.951:
	s_mov_b32 s28, -1
	s_xor_b32 s0, exec_lo, -1
; %bb.952:
	s_or_b32 exec_lo, exec_lo, s30
	s_delay_alu instid0(SALU_CYCLE_1)
	s_and_b32 s0, s0, exec_lo
	s_and_not1_saveexec_b32 s29, s29
	s_cbranch_execnz .LBB134_973
.LBB134_953:
	s_or_b32 exec_lo, exec_lo, s29
	s_and_saveexec_b32 s29, s0
	s_cbranch_execz .LBB134_955
.LBB134_954:
	v_and_b32_e32 v5, 0xffff, v5
	s_and_not1_b32 s0, s28, exec_lo
	s_delay_alu instid0(VALU_DEP_1) | instskip(NEXT) | instid1(VALU_DEP_1)
	v_and_b32_e32 v6, 3, v5
	v_clz_i32_u32_e32 v7, v6
	s_delay_alu instid0(VALU_DEP_1) | instskip(NEXT) | instid1(VALU_DEP_1)
	v_min_u32_e32 v7, 32, v7
	v_subrev_nc_u32_e32 v8, 29, v7
	v_sub_nc_u32_e32 v7, 30, v7
	s_delay_alu instid0(VALU_DEP_2) | instskip(SKIP_1) | instid1(VALU_DEP_2)
	v_lshlrev_b32_e32 v8, v8, v5
	v_bfe_u32 v5, v5, 2, 5
	v_and_b32_e32 v8, 3, v8
	s_delay_alu instid0(VALU_DEP_2) | instskip(NEXT) | instid1(VALU_DEP_2)
	v_cmp_eq_u32_e32 vcc_lo, 0, v5
	v_dual_cndmask_b32 v5, v5, v7 :: v_dual_cndmask_b32 v6, v6, v8
	s_delay_alu instid0(VALU_DEP_1) | instskip(NEXT) | instid1(VALU_DEP_2)
	v_lshl_add_u32 v5, v5, 23, 0x37800000
	v_lshlrev_b32_e32 v6, 21, v6
	s_delay_alu instid0(VALU_DEP_1) | instskip(NEXT) | instid1(VALU_DEP_1)
	v_and_or_b32 v5, 0x7f800000, v5, v6
	v_cmp_ne_u32_e32 vcc_lo, 0, v5
	s_and_b32 s28, vcc_lo, exec_lo
	s_delay_alu instid0(SALU_CYCLE_1)
	s_or_b32 s28, s0, s28
.LBB134_955:
	s_or_b32 exec_lo, exec_lo, s29
	s_mov_b32 s0, 0
	s_branch .LBB134_961
.LBB134_956:
	s_mov_b32 s29, -1
                                        ; implicit-def: $sgpr28
	s_branch .LBB134_967
.LBB134_957:
	s_and_not1_saveexec_b32 s29, s29
	s_cbranch_execz .LBB134_940
.LBB134_958:
	v_cmp_ne_u16_e32 vcc_lo, 0, v5
	s_and_not1_b32 s0, s0, exec_lo
	s_and_not1_b32 s28, s28, exec_lo
	s_and_b32 s30, vcc_lo, exec_lo
	s_delay_alu instid0(SALU_CYCLE_1)
	s_or_b32 s0, s0, s30
	s_or_b32 exec_lo, exec_lo, s29
	s_and_saveexec_b32 s29, s0
	s_cbranch_execnz .LBB134_941
	s_branch .LBB134_942
.LBB134_959:
	s_mov_b32 s0, -1
                                        ; implicit-def: $sgpr28
	s_branch .LBB134_964
.LBB134_960:
	s_mov_b32 s0, -1
                                        ; implicit-def: $sgpr28
.LBB134_961:
	s_delay_alu instid0(SALU_CYCLE_1)
	s_and_b32 vcc_lo, exec_lo, s0
	s_cbranch_vccz .LBB134_963
; %bb.962:
	global_load_u8 v5, v[0:1], off
	s_and_not1_b32 s28, s28, exec_lo
	s_waitcnt vmcnt(0)
	v_lshlrev_b32_e32 v5, 24, v5
	s_delay_alu instid0(VALU_DEP_1) | instskip(NEXT) | instid1(VALU_DEP_1)
	v_and_b32_e32 v5, 0x7f000000, v5
	v_clz_i32_u32_e32 v6, v5
	v_add_nc_u32_e32 v8, 0x1000000, v5
	v_cmp_ne_u32_e32 vcc_lo, 0, v5
	s_delay_alu instid0(VALU_DEP_3) | instskip(NEXT) | instid1(VALU_DEP_3)
	v_min_u32_e32 v6, 32, v6
	v_ashrrev_i32_e32 v8, 8, v8
	s_delay_alu instid0(VALU_DEP_2) | instskip(NEXT) | instid1(VALU_DEP_1)
	v_sub_nc_u32_e64 v6, v6, 4 clamp
	v_lshlrev_b32_e32 v7, v6, v5
	v_lshlrev_b32_e32 v6, 23, v6
	s_delay_alu instid0(VALU_DEP_2) | instskip(NEXT) | instid1(VALU_DEP_1)
	v_lshrrev_b32_e32 v7, 4, v7
	v_sub_nc_u32_e32 v6, v7, v6
	v_and_b32_e32 v7, 0x7f800000, v8
	s_delay_alu instid0(VALU_DEP_2) | instskip(NEXT) | instid1(VALU_DEP_1)
	v_add_nc_u32_e32 v6, 0x3c000000, v6
	v_and_or_b32 v6, 0x7ff00000, v6, v7
	s_delay_alu instid0(VALU_DEP_1) | instskip(NEXT) | instid1(VALU_DEP_1)
	v_cmp_ne_u32_e64 s0, 0, v6
	s_and_b32 s0, vcc_lo, s0
	s_delay_alu instid0(SALU_CYCLE_1) | instskip(NEXT) | instid1(SALU_CYCLE_1)
	s_and_b32 s0, s0, exec_lo
	s_or_b32 s28, s28, s0
.LBB134_963:
	s_mov_b32 s0, 0
.LBB134_964:
	s_delay_alu instid0(SALU_CYCLE_1)
	s_and_not1_b32 vcc_lo, exec_lo, s0
	s_cbranch_vccnz .LBB134_966
; %bb.965:
	global_load_u8 v5, v[0:1], off
	s_and_not1_b32 s0, s28, exec_lo
	s_waitcnt vmcnt(0)
	v_lshlrev_b32_e32 v6, 25, v5
	v_lshlrev_b32_e32 v5, 8, v5
	s_delay_alu instid0(VALU_DEP_2) | instskip(NEXT) | instid1(VALU_DEP_2)
	v_lshrrev_b32_e32 v7, 4, v6
	v_and_or_b32 v5, 0x7f00, v5, 0.5
	s_delay_alu instid0(VALU_DEP_2) | instskip(NEXT) | instid1(VALU_DEP_2)
	v_or_b32_e32 v7, 0x70000000, v7
	v_add_f32_e32 v5, -0.5, v5
	s_delay_alu instid0(VALU_DEP_2) | instskip(SKIP_1) | instid1(VALU_DEP_2)
	v_mul_f32_e32 v7, 0x7800000, v7
	v_cmp_gt_u32_e32 vcc_lo, 0x8000000, v6
	v_cndmask_b32_e32 v5, v7, v5, vcc_lo
	s_delay_alu instid0(VALU_DEP_1) | instskip(SKIP_1) | instid1(SALU_CYCLE_1)
	v_cmp_neq_f32_e32 vcc_lo, 0, v5
	s_and_b32 s28, vcc_lo, exec_lo
	s_or_b32 s28, s0, s28
.LBB134_966:
	s_mov_b32 s29, 0
	s_mov_b32 s0, -1
.LBB134_967:
	s_and_not1_b32 vcc_lo, exec_lo, s29
	s_cbranch_vccnz .LBB134_980
; %bb.968:
	v_cmp_lt_i16_e32 vcc_lo, 14, v4
	s_cbranch_vccz .LBB134_971
; %bb.969:
	v_cmp_eq_u16_e32 vcc_lo, 15, v4
	s_cbranch_vccz .LBB134_974
; %bb.970:
	global_load_u16 v5, v[0:1], off
	s_mov_b32 s27, 0
	s_mov_b32 s0, -1
	s_waitcnt vmcnt(0)
	v_and_b32_e32 v5, 0x7fff, v5
	s_delay_alu instid0(VALU_DEP_1)
	v_cmp_ne_u16_e32 vcc_lo, 0, v5
	s_and_b32 s28, vcc_lo, exec_lo
	s_branch .LBB134_975
.LBB134_971:
	s_mov_b32 s29, -1
                                        ; implicit-def: $sgpr28
	s_branch .LBB134_976
.LBB134_972:
	s_and_not1_saveexec_b32 s29, s29
	s_cbranch_execz .LBB134_953
.LBB134_973:
	v_cmp_ne_u16_e32 vcc_lo, 0, v5
	s_and_not1_b32 s0, s0, exec_lo
	s_and_not1_b32 s28, s28, exec_lo
	s_and_b32 s30, vcc_lo, exec_lo
	s_delay_alu instid0(SALU_CYCLE_1)
	s_or_b32 s0, s0, s30
	s_or_b32 exec_lo, exec_lo, s29
	s_and_saveexec_b32 s29, s0
	s_cbranch_execnz .LBB134_954
	s_branch .LBB134_955
.LBB134_974:
	s_mov_b32 s27, -1
                                        ; implicit-def: $sgpr28
.LBB134_975:
	s_mov_b32 s29, 0
.LBB134_976:
	s_delay_alu instid0(SALU_CYCLE_1)
	s_and_b32 vcc_lo, exec_lo, s29
	s_cbranch_vccz .LBB134_980
; %bb.977:
	v_cmp_eq_u16_e32 vcc_lo, 11, v4
	s_cbranch_vccz .LBB134_979
; %bb.978:
	global_load_u8 v5, v[0:1], off
	s_mov_b32 s27, 0
	s_mov_b32 s0, -1
	s_waitcnt vmcnt(0)
	v_cmp_ne_u16_e32 vcc_lo, 0, v5
	s_and_b32 s28, vcc_lo, exec_lo
	s_branch .LBB134_980
.LBB134_979:
	s_mov_b32 s27, -1
                                        ; implicit-def: $sgpr28
.LBB134_980:
	s_mov_b32 s29, 0
.LBB134_981:
	s_delay_alu instid0(SALU_CYCLE_1)
	s_and_b32 vcc_lo, exec_lo, s29
	s_cbranch_vccz .LBB134_1030
; %bb.982:
	v_cmp_gt_i16_e32 vcc_lo, 5, v4
	s_cbranch_vccnz .LBB134_987
; %bb.983:
	v_cmp_gt_i16_e32 vcc_lo, 8, v4
	s_cbranch_vccnz .LBB134_988
	;; [unrolled: 3-line block ×3, first 2 shown]
; %bb.985:
	v_cmp_lt_i16_e32 vcc_lo, 9, v4
	s_cbranch_vccz .LBB134_990
; %bb.986:
	global_load_b128 v[5:8], v[0:1], off
	s_waitcnt vmcnt(0)
	v_cmp_neq_f64_e32 vcc_lo, 0, v[5:6]
	v_cmp_neq_f64_e64 s0, 0, v[7:8]
	s_delay_alu instid0(VALU_DEP_1)
	s_or_b32 s28, vcc_lo, s0
	s_mov_b32 s0, 0
	s_and_b32 s28, s28, exec_lo
	s_branch .LBB134_991
.LBB134_987:
	s_mov_b32 s0, -1
                                        ; implicit-def: $sgpr28
	s_branch .LBB134_1009
.LBB134_988:
	s_mov_b32 s0, -1
                                        ; implicit-def: $sgpr28
	s_branch .LBB134_997
.LBB134_989:
	s_mov_b32 s0, -1
                                        ; implicit-def: $sgpr28
	s_branch .LBB134_994
.LBB134_990:
	s_mov_b32 s0, -1
                                        ; implicit-def: $sgpr28
.LBB134_991:
	s_delay_alu instid0(SALU_CYCLE_1)
	s_and_not1_b32 vcc_lo, exec_lo, s0
	s_cbranch_vccnz .LBB134_993
; %bb.992:
	global_load_b64 v[5:6], v[0:1], off
	s_and_not1_b32 s0, s28, exec_lo
	s_waitcnt vmcnt(0)
	v_or_b32_e32 v5, v5, v6
	s_delay_alu instid0(VALU_DEP_1) | instskip(NEXT) | instid1(VALU_DEP_1)
	v_and_b32_e32 v5, 0x7fffffff, v5
	v_cmp_ne_u32_e32 vcc_lo, 0, v5
	s_and_b32 s28, vcc_lo, exec_lo
	s_delay_alu instid0(SALU_CYCLE_1)
	s_or_b32 s28, s0, s28
.LBB134_993:
	s_mov_b32 s0, 0
.LBB134_994:
	s_delay_alu instid0(SALU_CYCLE_1)
	s_and_not1_b32 vcc_lo, exec_lo, s0
	s_cbranch_vccnz .LBB134_996
; %bb.995:
	global_load_b32 v5, v[0:1], off
	s_and_not1_b32 s0, s28, exec_lo
	s_waitcnt vmcnt(0)
	v_and_b32_e32 v5, 0x7fff7fff, v5
	s_delay_alu instid0(VALU_DEP_1) | instskip(SKIP_1) | instid1(SALU_CYCLE_1)
	v_cmp_ne_u32_e32 vcc_lo, 0, v5
	s_and_b32 s28, vcc_lo, exec_lo
	s_or_b32 s28, s0, s28
.LBB134_996:
	s_mov_b32 s0, 0
.LBB134_997:
	s_delay_alu instid0(SALU_CYCLE_1)
	s_and_not1_b32 vcc_lo, exec_lo, s0
	s_cbranch_vccnz .LBB134_1008
; %bb.998:
	v_cmp_gt_i16_e32 vcc_lo, 6, v4
	s_cbranch_vccnz .LBB134_1001
; %bb.999:
	v_cmp_lt_i16_e32 vcc_lo, 6, v4
	s_cbranch_vccz .LBB134_1002
; %bb.1000:
	global_load_b64 v[5:6], v[0:1], off
	s_mov_b32 s0, 0
	s_waitcnt vmcnt(0)
	v_cmp_neq_f64_e32 vcc_lo, 0, v[5:6]
	s_and_b32 s28, vcc_lo, exec_lo
	s_branch .LBB134_1003
.LBB134_1001:
	s_mov_b32 s0, -1
                                        ; implicit-def: $sgpr28
	s_branch .LBB134_1006
.LBB134_1002:
	s_mov_b32 s0, -1
                                        ; implicit-def: $sgpr28
.LBB134_1003:
	s_delay_alu instid0(SALU_CYCLE_1)
	s_and_not1_b32 vcc_lo, exec_lo, s0
	s_cbranch_vccnz .LBB134_1005
; %bb.1004:
	global_load_b32 v5, v[0:1], off
	s_and_not1_b32 s0, s28, exec_lo
	s_waitcnt vmcnt(0)
	v_cmp_neq_f32_e32 vcc_lo, 0, v5
	s_and_b32 s28, vcc_lo, exec_lo
	s_delay_alu instid0(SALU_CYCLE_1)
	s_or_b32 s28, s0, s28
.LBB134_1005:
	s_mov_b32 s0, 0
.LBB134_1006:
	s_delay_alu instid0(SALU_CYCLE_1)
	s_and_not1_b32 vcc_lo, exec_lo, s0
	s_cbranch_vccnz .LBB134_1008
; %bb.1007:
	global_load_u16 v5, v[0:1], off
	s_and_not1_b32 s0, s28, exec_lo
	s_waitcnt vmcnt(0)
	v_and_b32_e32 v5, 0x7fff, v5
	s_delay_alu instid0(VALU_DEP_1) | instskip(SKIP_1) | instid1(SALU_CYCLE_1)
	v_cmp_ne_u16_e32 vcc_lo, 0, v5
	s_and_b32 s28, vcc_lo, exec_lo
	s_or_b32 s28, s0, s28
.LBB134_1008:
	s_mov_b32 s0, 0
.LBB134_1009:
	s_delay_alu instid0(SALU_CYCLE_1)
	s_and_not1_b32 vcc_lo, exec_lo, s0
	s_cbranch_vccnz .LBB134_1029
; %bb.1010:
	v_cmp_gt_i16_e32 vcc_lo, 2, v4
	s_cbranch_vccnz .LBB134_1014
; %bb.1011:
	v_cmp_gt_i16_e32 vcc_lo, 3, v4
	s_cbranch_vccnz .LBB134_1015
; %bb.1012:
	v_cmp_lt_i16_e32 vcc_lo, 3, v4
	s_cbranch_vccz .LBB134_1016
; %bb.1013:
	global_load_b64 v[5:6], v[0:1], off
	s_mov_b32 s0, 0
	s_waitcnt vmcnt(0)
	v_cmp_ne_u64_e32 vcc_lo, 0, v[5:6]
	s_and_b32 s28, vcc_lo, exec_lo
	s_branch .LBB134_1017
.LBB134_1014:
	s_mov_b32 s0, -1
                                        ; implicit-def: $sgpr28
	s_branch .LBB134_1023
.LBB134_1015:
	s_mov_b32 s0, -1
                                        ; implicit-def: $sgpr28
	s_branch .LBB134_1020
.LBB134_1016:
	s_mov_b32 s0, -1
                                        ; implicit-def: $sgpr28
.LBB134_1017:
	s_delay_alu instid0(SALU_CYCLE_1)
	s_and_not1_b32 vcc_lo, exec_lo, s0
	s_cbranch_vccnz .LBB134_1019
; %bb.1018:
	global_load_b32 v5, v[0:1], off
	s_and_not1_b32 s0, s28, exec_lo
	s_waitcnt vmcnt(0)
	v_cmp_ne_u32_e32 vcc_lo, 0, v5
	s_and_b32 s28, vcc_lo, exec_lo
	s_delay_alu instid0(SALU_CYCLE_1)
	s_or_b32 s28, s0, s28
.LBB134_1019:
	s_mov_b32 s0, 0
.LBB134_1020:
	s_delay_alu instid0(SALU_CYCLE_1)
	s_and_not1_b32 vcc_lo, exec_lo, s0
	s_cbranch_vccnz .LBB134_1022
; %bb.1021:
	global_load_u16 v5, v[0:1], off
	s_and_not1_b32 s0, s28, exec_lo
	s_waitcnt vmcnt(0)
	v_cmp_ne_u16_e32 vcc_lo, 0, v5
	s_and_b32 s28, vcc_lo, exec_lo
	s_delay_alu instid0(SALU_CYCLE_1)
	s_or_b32 s28, s0, s28
.LBB134_1022:
	s_mov_b32 s0, 0
.LBB134_1023:
	s_delay_alu instid0(SALU_CYCLE_1)
	s_and_not1_b32 vcc_lo, exec_lo, s0
	s_cbranch_vccnz .LBB134_1029
; %bb.1024:
	v_cmp_lt_i16_e32 vcc_lo, 0, v4
	s_mov_b32 s0, 0
	s_cbranch_vccz .LBB134_1026
; %bb.1025:
	global_load_u8 v4, v[0:1], off
	s_waitcnt vmcnt(0)
	v_cmp_ne_u16_e32 vcc_lo, 0, v4
	s_and_b32 s28, vcc_lo, exec_lo
	s_branch .LBB134_1027
.LBB134_1026:
	s_mov_b32 s0, -1
                                        ; implicit-def: $sgpr28
.LBB134_1027:
	s_delay_alu instid0(SALU_CYCLE_1)
	s_and_not1_b32 vcc_lo, exec_lo, s0
	s_cbranch_vccnz .LBB134_1029
; %bb.1028:
	global_load_u8 v0, v[0:1], off
	s_and_not1_b32 s0, s28, exec_lo
	s_waitcnt vmcnt(0)
	v_cmp_ne_u16_e32 vcc_lo, 0, v0
	s_and_b32 s28, vcc_lo, exec_lo
	s_delay_alu instid0(SALU_CYCLE_1)
	s_or_b32 s28, s0, s28
.LBB134_1029:
	s_mov_b32 s0, -1
.LBB134_1030:
	s_delay_alu instid0(SALU_CYCLE_1)
	s_and_not1_b32 vcc_lo, exec_lo, s0
	s_cbranch_vccnz .LBB134_1038
; %bb.1031:
	v_mul_lo_u32 v5, v2, s8
	v_cndmask_b32_e64 v0, 0, 1.0, s28
	s_waitcnt vmcnt(0)
	v_cvt_f32_f16_e32 v1, v3
	v_and_b32_e64 v4, 0xff, s12
	s_delay_alu instid0(VALU_DEP_2) | instskip(SKIP_1) | instid1(VALU_DEP_3)
	v_mul_f32_e32 v0, v1, v0
	v_ashrrev_i32_e32 v1, 31, v5
	v_cmp_gt_i16_e32 vcc_lo, 11, v4
	s_delay_alu instid0(VALU_DEP_3) | instskip(SKIP_1) | instid1(VALU_DEP_1)
	v_fma_mixlo_f16 v3, s11, v0, 0
	v_add_co_u32 v0, s0, s4, v5
	v_add_co_ci_u32_e64 v1, s0, s5, v1, s0
	s_cbranch_vccnz .LBB134_1039
; %bb.1032:
	v_cmp_lt_i16_e32 vcc_lo, 25, v4
	s_cbranch_vccz .LBB134_1040
; %bb.1033:
	v_cmp_lt_i16_e32 vcc_lo, 28, v4
	s_cbranch_vccz .LBB134_1041
	;; [unrolled: 3-line block ×4, first 2 shown]
; %bb.1036:
	v_cmp_eq_u16_e32 vcc_lo, 46, v4
	s_mov_b32 s28, 0
	s_mov_b32 s0, -1
	s_mov_b32 s27, 0
	s_cbranch_vccz .LBB134_1044
; %bb.1037:
	v_cvt_f32_f16_e32 v5, v3
	v_cmp_o_f16_e32 vcc_lo, v3, v3
	s_mov_b32 s27, -1
	s_mov_b32 s0, 0
	s_delay_alu instid0(VALU_DEP_2) | instskip(NEXT) | instid1(VALU_DEP_1)
	v_bfe_u32 v6, v5, 16, 1
	v_add3_u32 v5, v5, v6, 0x7fff
	s_delay_alu instid0(VALU_DEP_1) | instskip(NEXT) | instid1(VALU_DEP_1)
	v_lshrrev_b32_e32 v5, 16, v5
	v_cndmask_b32_e32 v5, 0x7fc0, v5, vcc_lo
	global_store_b32 v[0:1], v5, off
	s_branch .LBB134_1044
.LBB134_1038:
	s_mov_b32 s29, 0
	s_mov_b32 s0, s22
	s_branch .LBB134_1155
.LBB134_1039:
	s_mov_b32 s28, -1
	s_mov_b32 s27, 0
	s_mov_b32 s0, s22
	s_branch .LBB134_1113
.LBB134_1040:
	s_mov_b32 s28, -1
	s_mov_b32 s27, 0
	s_mov_b32 s0, s22
	s_branch .LBB134_1071
.LBB134_1041:
	s_mov_b32 s28, -1
	s_mov_b32 s27, 0
	s_mov_b32 s0, s22
	s_branch .LBB134_1054
.LBB134_1042:
	s_mov_b32 s28, -1
	s_mov_b32 s27, 0
	s_mov_b32 s0, s22
	s_branch .LBB134_1050
.LBB134_1043:
	s_mov_b32 s28, -1
	s_mov_b32 s27, 0
	s_mov_b32 s0, s22
.LBB134_1044:
	s_and_b32 vcc_lo, exec_lo, s28
	s_cbranch_vccz .LBB134_1049
; %bb.1045:
	v_cmp_eq_u16_e32 vcc_lo, 44, v4
	s_mov_b32 s0, -1
	s_cbranch_vccz .LBB134_1049
; %bb.1046:
	v_cvt_f32_f16_e32 v5, v3
	v_mov_b32_e32 v6, 0xff
	s_mov_b32 s27, exec_lo
	s_delay_alu instid0(VALU_DEP_2) | instskip(NEXT) | instid1(VALU_DEP_1)
	v_bfe_u32 v7, v5, 23, 8
	v_cmpx_ne_u32_e32 0xff, v7
; %bb.1047:
	v_and_b32_e32 v6, 0x400000, v5
	v_and_or_b32 v7, 0x3fffff, v5, v7
	v_lshrrev_b32_e32 v5, 23, v5
	s_delay_alu instid0(VALU_DEP_3) | instskip(NEXT) | instid1(VALU_DEP_3)
	v_cmp_ne_u32_e32 vcc_lo, 0, v6
	v_cmp_ne_u32_e64 s0, 0, v7
	s_delay_alu instid0(VALU_DEP_1) | instskip(NEXT) | instid1(SALU_CYCLE_1)
	s_and_b32 s0, vcc_lo, s0
	v_cndmask_b32_e64 v6, 0, 1, s0
	s_delay_alu instid0(VALU_DEP_1)
	v_add_nc_u32_e32 v6, v5, v6
; %bb.1048:
	s_or_b32 exec_lo, exec_lo, s27
	s_mov_b32 s27, -1
	s_mov_b32 s0, 0
	global_store_b8 v[0:1], v6, off
.LBB134_1049:
	s_mov_b32 s28, 0
.LBB134_1050:
	s_delay_alu instid0(SALU_CYCLE_1)
	s_and_b32 vcc_lo, exec_lo, s28
	s_cbranch_vccz .LBB134_1053
; %bb.1051:
	v_cmp_eq_u16_e32 vcc_lo, 29, v4
	s_mov_b32 s0, -1
	s_cbranch_vccz .LBB134_1053
; %bb.1052:
	v_cvt_f32_f16_e32 v5, v3
	v_mov_b32_e32 v6, 0
	s_mov_b32 s0, 0
	s_mov_b32 s27, -1
	s_mov_b32 s28, 0
	v_cvt_u32_f32_e32 v5, v5
	global_store_b64 v[0:1], v[5:6], off
	s_branch .LBB134_1054
.LBB134_1053:
	s_mov_b32 s28, 0
.LBB134_1054:
	s_delay_alu instid0(SALU_CYCLE_1)
	s_and_b32 vcc_lo, exec_lo, s28
	s_cbranch_vccz .LBB134_1070
; %bb.1055:
	v_cmp_gt_i16_e32 vcc_lo, 27, v4
	s_mov_b32 s27, -1
	s_cbranch_vccnz .LBB134_1061
; %bb.1056:
	v_cmp_lt_i16_e32 vcc_lo, 27, v4
	s_cbranch_vccz .LBB134_1058
; %bb.1057:
	v_cvt_f32_f16_e32 v5, v3
	s_mov_b32 s27, 0
	s_delay_alu instid0(VALU_DEP_1)
	v_cvt_u32_f32_e32 v5, v5
	global_store_b32 v[0:1], v5, off
.LBB134_1058:
	s_and_not1_b32 vcc_lo, exec_lo, s27
	s_cbranch_vccnz .LBB134_1060
; %bb.1059:
	v_cvt_u16_f16_e32 v5, v3
	global_store_b16 v[0:1], v5, off
.LBB134_1060:
	s_mov_b32 s27, 0
.LBB134_1061:
	s_delay_alu instid0(SALU_CYCLE_1)
	s_and_not1_b32 vcc_lo, exec_lo, s27
	s_cbranch_vccnz .LBB134_1069
; %bb.1062:
	v_cvt_f32_f16_e32 v5, v3
	v_mov_b32_e32 v7, 0x80
	s_mov_b32 s27, exec_lo
	s_delay_alu instid0(VALU_DEP_2) | instskip(NEXT) | instid1(VALU_DEP_1)
	v_and_b32_e32 v6, 0x7fffffff, v5
	v_cmpx_gt_u32_e32 0x43800000, v6
	s_cbranch_execz .LBB134_1068
; %bb.1063:
	v_cmp_lt_u32_e32 vcc_lo, 0x3bffffff, v6
	s_mov_b32 s28, 0
                                        ; implicit-def: $vgpr6
	s_and_saveexec_b32 s29, vcc_lo
	s_delay_alu instid0(SALU_CYCLE_1)
	s_xor_b32 s29, exec_lo, s29
	s_cbranch_execz .LBB134_1171
; %bb.1064:
	v_bfe_u32 v6, v5, 20, 1
	s_mov_b32 s28, exec_lo
	s_delay_alu instid0(VALU_DEP_1) | instskip(NEXT) | instid1(VALU_DEP_1)
	v_add3_u32 v6, v5, v6, 0x487ffff
	v_lshrrev_b32_e32 v6, 20, v6
	s_or_saveexec_b32 s29, s29
                                        ; implicit-def: $sgpr30
	s_delay_alu instid0(SALU_CYCLE_1)
	s_xor_b32 exec_lo, exec_lo, s29
	s_cbranch_execnz .LBB134_1172
.LBB134_1065:
	s_or_b32 exec_lo, exec_lo, s29
	v_mov_b32_e32 v7, s30
	s_and_saveexec_b32 s29, s28
.LBB134_1066:
	v_lshrrev_b32_e32 v5, 24, v5
	s_delay_alu instid0(VALU_DEP_1)
	v_and_or_b32 v7, 0x80, v5, v6
.LBB134_1067:
	s_or_b32 exec_lo, exec_lo, s29
.LBB134_1068:
	s_delay_alu instid0(SALU_CYCLE_1)
	s_or_b32 exec_lo, exec_lo, s27
	global_store_b8 v[0:1], v7, off
.LBB134_1069:
	s_mov_b32 s27, -1
.LBB134_1070:
	s_mov_b32 s28, 0
.LBB134_1071:
	s_delay_alu instid0(SALU_CYCLE_1)
	s_and_b32 vcc_lo, exec_lo, s28
	s_cbranch_vccz .LBB134_1112
; %bb.1072:
	v_cmp_lt_i16_e32 vcc_lo, 22, v4
	s_mov_b32 s28, -1
	s_cbranch_vccz .LBB134_1104
; %bb.1073:
	v_cmp_gt_i16_e32 vcc_lo, 24, v4
	s_mov_b32 s27, -1
	s_cbranch_vccnz .LBB134_1093
; %bb.1074:
	v_cmp_lt_i16_e32 vcc_lo, 24, v4
	s_cbranch_vccz .LBB134_1082
; %bb.1075:
	v_cvt_f32_f16_e32 v5, v3
	v_mov_b32_e32 v7, 0x80
	s_mov_b32 s27, exec_lo
	s_delay_alu instid0(VALU_DEP_2) | instskip(NEXT) | instid1(VALU_DEP_1)
	v_and_b32_e32 v6, 0x7fffffff, v5
	v_cmpx_gt_u32_e32 0x47800000, v6
	s_cbranch_execz .LBB134_1081
; %bb.1076:
	v_cmp_lt_u32_e32 vcc_lo, 0x37ffffff, v6
	s_mov_b32 s28, 0
                                        ; implicit-def: $vgpr6
	s_and_saveexec_b32 s29, vcc_lo
	s_delay_alu instid0(SALU_CYCLE_1)
	s_xor_b32 s29, exec_lo, s29
	s_cbranch_execz .LBB134_2220
; %bb.1077:
	v_bfe_u32 v6, v5, 21, 1
	s_mov_b32 s28, exec_lo
	s_delay_alu instid0(VALU_DEP_1) | instskip(NEXT) | instid1(VALU_DEP_1)
	v_add3_u32 v6, v5, v6, 0x88fffff
	v_lshrrev_b32_e32 v6, 21, v6
	s_or_saveexec_b32 s29, s29
                                        ; implicit-def: $sgpr30
	s_delay_alu instid0(SALU_CYCLE_1)
	s_xor_b32 exec_lo, exec_lo, s29
	s_cbranch_execnz .LBB134_2221
.LBB134_1078:
	s_or_b32 exec_lo, exec_lo, s29
	v_mov_b32_e32 v7, s30
	s_and_saveexec_b32 s29, s28
.LBB134_1079:
	v_lshrrev_b32_e32 v5, 24, v5
	s_delay_alu instid0(VALU_DEP_1)
	v_and_or_b32 v7, 0x80, v5, v6
.LBB134_1080:
	s_or_b32 exec_lo, exec_lo, s29
.LBB134_1081:
	s_delay_alu instid0(SALU_CYCLE_1)
	s_or_b32 exec_lo, exec_lo, s27
	s_mov_b32 s27, 0
	global_store_b8 v[0:1], v7, off
.LBB134_1082:
	s_and_b32 vcc_lo, exec_lo, s27
	s_cbranch_vccz .LBB134_1092
; %bb.1083:
	v_cvt_f32_f16_e32 v5, v3
	s_mov_b32 s27, exec_lo
                                        ; implicit-def: $vgpr6
	s_delay_alu instid0(VALU_DEP_1) | instskip(NEXT) | instid1(VALU_DEP_1)
	v_and_b32_e32 v7, 0x7fffffff, v5
	v_cmpx_gt_u32_e32 0x43f00000, v7
	s_xor_b32 s27, exec_lo, s27
	s_cbranch_execz .LBB134_1089
; %bb.1084:
	s_mov_b32 s28, exec_lo
                                        ; implicit-def: $vgpr6
	v_cmpx_lt_u32_e32 0x3c7fffff, v7
	s_xor_b32 s28, exec_lo, s28
; %bb.1085:
	v_bfe_u32 v6, v5, 20, 1
	s_delay_alu instid0(VALU_DEP_1) | instskip(NEXT) | instid1(VALU_DEP_1)
	v_add3_u32 v6, v5, v6, 0x407ffff
	v_and_b32_e32 v7, 0xff00000, v6
	v_lshrrev_b32_e32 v6, 20, v6
	s_delay_alu instid0(VALU_DEP_2) | instskip(NEXT) | instid1(VALU_DEP_2)
	v_cmp_ne_u32_e32 vcc_lo, 0x7f00000, v7
	v_cndmask_b32_e32 v6, 0x7e, v6, vcc_lo
; %bb.1086:
	s_and_not1_saveexec_b32 s28, s28
; %bb.1087:
	v_add_f32_e64 v6, 0x46800000, |v5|
; %bb.1088:
	s_or_b32 exec_lo, exec_lo, s28
                                        ; implicit-def: $vgpr7
.LBB134_1089:
	s_and_not1_saveexec_b32 s27, s27
; %bb.1090:
	v_mov_b32_e32 v6, 0x7f
	v_cmp_lt_u32_e32 vcc_lo, 0x7f800000, v7
	s_delay_alu instid0(VALU_DEP_2)
	v_cndmask_b32_e32 v6, 0x7e, v6, vcc_lo
; %bb.1091:
	s_or_b32 exec_lo, exec_lo, s27
	v_lshrrev_b32_e32 v5, 24, v5
	s_delay_alu instid0(VALU_DEP_1)
	v_and_or_b32 v5, 0x80, v5, v6
	global_store_b8 v[0:1], v5, off
.LBB134_1092:
	s_mov_b32 s27, 0
.LBB134_1093:
	s_delay_alu instid0(SALU_CYCLE_1)
	s_and_not1_b32 vcc_lo, exec_lo, s27
	s_cbranch_vccnz .LBB134_1103
; %bb.1094:
	v_cvt_f32_f16_e32 v5, v3
	s_mov_b32 s27, exec_lo
                                        ; implicit-def: $vgpr6
	s_delay_alu instid0(VALU_DEP_1) | instskip(NEXT) | instid1(VALU_DEP_1)
	v_and_b32_e32 v7, 0x7fffffff, v5
	v_cmpx_gt_u32_e32 0x47800000, v7
	s_xor_b32 s27, exec_lo, s27
	s_cbranch_execz .LBB134_1100
; %bb.1095:
	s_mov_b32 s28, exec_lo
                                        ; implicit-def: $vgpr6
	v_cmpx_lt_u32_e32 0x387fffff, v7
	s_xor_b32 s28, exec_lo, s28
; %bb.1096:
	v_bfe_u32 v6, v5, 21, 1
	s_delay_alu instid0(VALU_DEP_1) | instskip(NEXT) | instid1(VALU_DEP_1)
	v_add3_u32 v6, v5, v6, 0x80fffff
	v_lshrrev_b32_e32 v6, 21, v6
; %bb.1097:
	s_and_not1_saveexec_b32 s28, s28
; %bb.1098:
	v_add_f32_e64 v6, 0x43000000, |v5|
; %bb.1099:
	s_or_b32 exec_lo, exec_lo, s28
                                        ; implicit-def: $vgpr7
.LBB134_1100:
	s_and_not1_saveexec_b32 s27, s27
; %bb.1101:
	v_mov_b32_e32 v6, 0x7f
	v_cmp_lt_u32_e32 vcc_lo, 0x7f800000, v7
	s_delay_alu instid0(VALU_DEP_2)
	v_cndmask_b32_e32 v6, 0x7c, v6, vcc_lo
; %bb.1102:
	s_or_b32 exec_lo, exec_lo, s27
	v_lshrrev_b32_e32 v5, 24, v5
	s_delay_alu instid0(VALU_DEP_1)
	v_and_or_b32 v5, 0x80, v5, v6
	global_store_b8 v[0:1], v5, off
.LBB134_1103:
	s_mov_b32 s28, 0
	s_mov_b32 s27, -1
.LBB134_1104:
	s_and_not1_b32 vcc_lo, exec_lo, s28
	s_cbranch_vccnz .LBB134_1112
; %bb.1105:
	v_cmp_lt_i16_e32 vcc_lo, 14, v4
	s_mov_b32 s28, -1
	s_cbranch_vccz .LBB134_1109
; %bb.1106:
	v_cmp_eq_u16_e32 vcc_lo, 15, v4
	s_mov_b32 s0, -1
	s_cbranch_vccz .LBB134_1108
; %bb.1107:
	v_cvt_f32_f16_e32 v5, v3
	v_cmp_o_f16_e32 vcc_lo, v3, v3
	s_mov_b32 s27, -1
	s_mov_b32 s0, 0
	s_delay_alu instid0(VALU_DEP_2) | instskip(NEXT) | instid1(VALU_DEP_1)
	v_bfe_u32 v6, v5, 16, 1
	v_add3_u32 v5, v5, v6, 0x7fff
	s_delay_alu instid0(VALU_DEP_1) | instskip(NEXT) | instid1(VALU_DEP_1)
	v_lshrrev_b32_e32 v5, 16, v5
	v_cndmask_b32_e32 v5, 0x7fc0, v5, vcc_lo
	global_store_b16 v[0:1], v5, off
.LBB134_1108:
	s_mov_b32 s28, 0
.LBB134_1109:
	s_delay_alu instid0(SALU_CYCLE_1)
	s_and_b32 vcc_lo, exec_lo, s28
	s_cbranch_vccz .LBB134_1112
; %bb.1110:
	v_cmp_eq_u16_e32 vcc_lo, 11, v4
	s_mov_b32 s0, -1
	s_cbranch_vccz .LBB134_1112
; %bb.1111:
	v_cmp_neq_f16_e32 vcc_lo, 0, v3
	s_mov_b32 s0, 0
	s_mov_b32 s27, -1
	v_cndmask_b32_e64 v5, 0, 1, vcc_lo
	global_store_b8 v[0:1], v5, off
.LBB134_1112:
	s_mov_b32 s28, 0
.LBB134_1113:
	s_delay_alu instid0(SALU_CYCLE_1)
	s_and_b32 vcc_lo, exec_lo, s28
	s_cbranch_vccz .LBB134_1152
; %bb.1114:
	v_cmp_gt_i16_e32 vcc_lo, 5, v4
	s_mov_b32 s27, -1
	s_cbranch_vccnz .LBB134_1135
; %bb.1115:
	v_cmp_gt_i16_e32 vcc_lo, 8, v4
	s_cbranch_vccnz .LBB134_1125
; %bb.1116:
	v_cmp_gt_i16_e32 vcc_lo, 9, v4
	s_cbranch_vccnz .LBB134_1122
; %bb.1117:
	v_cmp_lt_i16_e32 vcc_lo, 9, v4
	s_cbranch_vccz .LBB134_1119
; %bb.1118:
	v_cvt_f32_f16_e32 v5, v3
	v_mov_b32_e32 v7, 0
	s_mov_b32 s27, 0
	s_delay_alu instid0(VALU_DEP_2) | instskip(NEXT) | instid1(VALU_DEP_2)
	v_cvt_f64_f32_e32 v[5:6], v5
	v_mov_b32_e32 v8, v7
	global_store_b128 v[0:1], v[5:8], off
.LBB134_1119:
	s_and_not1_b32 vcc_lo, exec_lo, s27
	s_cbranch_vccnz .LBB134_1121
; %bb.1120:
	v_cvt_f32_f16_e32 v5, v3
	v_mov_b32_e32 v6, 0
	global_store_b64 v[0:1], v[5:6], off
.LBB134_1121:
	s_mov_b32 s27, 0
.LBB134_1122:
	s_delay_alu instid0(SALU_CYCLE_1)
	s_and_not1_b32 vcc_lo, exec_lo, s27
	s_cbranch_vccnz .LBB134_1124
; %bb.1123:
	v_and_b32_e32 v5, 0xffff, v3
	global_store_b32 v[0:1], v5, off
.LBB134_1124:
	s_mov_b32 s27, 0
.LBB134_1125:
	s_delay_alu instid0(SALU_CYCLE_1)
	s_and_not1_b32 vcc_lo, exec_lo, s27
	s_cbranch_vccnz .LBB134_1134
; %bb.1126:
	v_cmp_gt_i16_e32 vcc_lo, 6, v4
	s_mov_b32 s27, -1
	s_cbranch_vccnz .LBB134_1132
; %bb.1127:
	v_cmp_lt_i16_e32 vcc_lo, 6, v4
	s_cbranch_vccz .LBB134_1129
; %bb.1128:
	v_cvt_f32_f16_e32 v5, v3
	s_mov_b32 s27, 0
	s_delay_alu instid0(VALU_DEP_1)
	v_cvt_f64_f32_e32 v[5:6], v5
	global_store_b64 v[0:1], v[5:6], off
.LBB134_1129:
	s_and_not1_b32 vcc_lo, exec_lo, s27
	s_cbranch_vccnz .LBB134_1131
; %bb.1130:
	v_cvt_f32_f16_e32 v5, v3
	global_store_b32 v[0:1], v5, off
.LBB134_1131:
	s_mov_b32 s27, 0
.LBB134_1132:
	s_delay_alu instid0(SALU_CYCLE_1)
	s_and_not1_b32 vcc_lo, exec_lo, s27
	s_cbranch_vccnz .LBB134_1134
; %bb.1133:
	global_store_b16 v[0:1], v3, off
.LBB134_1134:
	s_mov_b32 s27, 0
.LBB134_1135:
	s_delay_alu instid0(SALU_CYCLE_1)
	s_and_not1_b32 vcc_lo, exec_lo, s27
	s_cbranch_vccnz .LBB134_1151
; %bb.1136:
	v_cmp_gt_i16_e32 vcc_lo, 2, v4
	s_mov_b32 s27, -1
	s_cbranch_vccnz .LBB134_1146
; %bb.1137:
	v_cmp_gt_i16_e32 vcc_lo, 3, v4
	s_cbranch_vccnz .LBB134_1143
; %bb.1138:
	v_cmp_lt_i16_e32 vcc_lo, 3, v4
	s_cbranch_vccz .LBB134_1140
; %bb.1139:
	v_cvt_f32_f16_e32 v5, v3
	s_mov_b32 s27, 0
	s_delay_alu instid0(VALU_DEP_1) | instskip(NEXT) | instid1(VALU_DEP_1)
	v_cvt_i32_f32_e32 v5, v5
	v_ashrrev_i32_e32 v6, 31, v5
	global_store_b64 v[0:1], v[5:6], off
.LBB134_1140:
	s_and_not1_b32 vcc_lo, exec_lo, s27
	s_cbranch_vccnz .LBB134_1142
; %bb.1141:
	v_cvt_f32_f16_e32 v5, v3
	s_delay_alu instid0(VALU_DEP_1)
	v_cvt_i32_f32_e32 v5, v5
	global_store_b32 v[0:1], v5, off
.LBB134_1142:
	s_mov_b32 s27, 0
.LBB134_1143:
	s_delay_alu instid0(SALU_CYCLE_1)
	s_and_not1_b32 vcc_lo, exec_lo, s27
	s_cbranch_vccnz .LBB134_1145
; %bb.1144:
	v_cvt_i16_f16_e32 v5, v3
	global_store_b16 v[0:1], v5, off
.LBB134_1145:
	s_mov_b32 s27, 0
.LBB134_1146:
	s_delay_alu instid0(SALU_CYCLE_1)
	s_and_not1_b32 vcc_lo, exec_lo, s27
	s_cbranch_vccnz .LBB134_1151
; %bb.1147:
	v_cmp_lt_i16_e32 vcc_lo, 0, v4
	s_mov_b32 s27, -1
	s_cbranch_vccz .LBB134_1149
; %bb.1148:
	v_cvt_i16_f16_e32 v4, v3
	s_mov_b32 s27, 0
	global_store_b8 v[0:1], v4, off
.LBB134_1149:
	s_and_not1_b32 vcc_lo, exec_lo, s27
	s_cbranch_vccnz .LBB134_1151
; %bb.1150:
	v_cvt_f32_f16_e32 v3, v3
	s_delay_alu instid0(VALU_DEP_1)
	v_cvt_i32_f32_e32 v3, v3
	global_store_b8 v[0:1], v3, off
.LBB134_1151:
	s_mov_b32 s27, -1
.LBB134_1152:
	s_delay_alu instid0(SALU_CYCLE_1)
	s_and_not1_b32 vcc_lo, exec_lo, s27
	s_mov_b32 s27, 0
	s_cbranch_vccnz .LBB134_1154
; %bb.1153:
	v_add_nc_u32_e32 v2, 0x80, v2
	s_mov_b32 s29, -1
	s_branch .LBB134_1156
.LBB134_1154:
	s_mov_b32 s29, 0
.LBB134_1155:
                                        ; implicit-def: $vgpr2
.LBB134_1156:
	s_and_not1_b32 s28, s22, exec_lo
	s_and_b32 s0, s0, exec_lo
	s_and_b32 s27, s27, exec_lo
	s_or_b32 s28, s28, s0
	s_and_not1_b32 s0, s23, exec_lo
	s_and_not1_b32 s30, s21, exec_lo
	s_and_b32 s26, s26, exec_lo
	s_or_b32 s27, s0, s27
	s_or_b32 s26, s30, s26
	s_or_not1_b32 s31, s29, exec_lo
.LBB134_1157:
	s_or_b32 exec_lo, exec_lo, s25
	s_mov_b32 s29, 0
	s_mov_b32 s30, 0
	;; [unrolled: 1-line block ×3, first 2 shown]
                                        ; implicit-def: $vgpr4
                                        ; implicit-def: $vgpr0_vgpr1
                                        ; implicit-def: $vgpr3
	s_and_saveexec_b32 s25, s31
	s_cbranch_execz .LBB134_1240
; %bb.1158:
	v_cmp_gt_i32_e32 vcc_lo, s17, v2
	s_mov_b32 s31, s26
	s_mov_b32 s33, 0
                                        ; implicit-def: $vgpr4
                                        ; implicit-def: $vgpr0_vgpr1
                                        ; implicit-def: $vgpr3
	s_and_saveexec_b32 s17, vcc_lo
	s_cbranch_execz .LBB134_1239
; %bb.1159:
	v_mul_lo_u32 v0, v2, s9
	v_and_b32_e64 v4, 0xff, s14
	s_delay_alu instid0(VALU_DEP_1) | instskip(NEXT) | instid1(VALU_DEP_3)
	v_cmp_gt_i16_e32 vcc_lo, 11, v4
	v_ashrrev_i32_e32 v1, 31, v0
	v_add_co_u32 v0, s0, s6, v0
	s_delay_alu instid0(VALU_DEP_1)
	v_add_co_ci_u32_e64 v1, s0, s7, v1, s0
	s_cbranch_vccnz .LBB134_1166
; %bb.1160:
	v_cmp_lt_i16_e32 vcc_lo, 25, v4
	s_cbranch_vccz .LBB134_1167
; %bb.1161:
	v_cmp_lt_i16_e32 vcc_lo, 28, v4
	s_cbranch_vccz .LBB134_1168
	;; [unrolled: 3-line block ×4, first 2 shown]
; %bb.1164:
	v_cmp_eq_u16_e32 vcc_lo, 46, v4
	s_mov_b32 s31, 0
	s_cbranch_vccz .LBB134_1173
; %bb.1165:
	global_load_b32 v3, v[0:1], off
	s_mov_b32 s0, 0
	s_mov_b32 s30, -1
	s_waitcnt vmcnt(0)
	v_lshlrev_b32_e32 v3, 16, v3
	s_delay_alu instid0(VALU_DEP_1)
	v_cvt_f16_f32_e32 v3, v3
	s_branch .LBB134_1175
.LBB134_1166:
	s_mov_b32 s31, -1
	s_mov_b32 s0, s26
                                        ; implicit-def: $vgpr3
	s_branch .LBB134_1238
.LBB134_1167:
	s_mov_b32 s31, -1
	s_mov_b32 s0, s26
                                        ; implicit-def: $vgpr3
	s_branch .LBB134_1204
.LBB134_1168:
	s_mov_b32 s31, -1
	s_mov_b32 s0, s26
                                        ; implicit-def: $vgpr3
	s_branch .LBB134_1185
.LBB134_1169:
	s_mov_b32 s31, -1
	s_mov_b32 s0, s26
                                        ; implicit-def: $vgpr3
	s_branch .LBB134_1180
.LBB134_1170:
	s_mov_b32 s31, -1
	s_mov_b32 s0, s26
	s_branch .LBB134_1174
.LBB134_1171:
	s_or_saveexec_b32 s29, s29
                                        ; implicit-def: $sgpr30
	s_delay_alu instid0(SALU_CYCLE_1)
	s_xor_b32 exec_lo, exec_lo, s29
	s_cbranch_execz .LBB134_1065
.LBB134_1172:
	v_add_f32_e64 v6, 0x46000000, |v5|
	s_and_not1_b32 s28, s28, exec_lo
	s_mov_b32 s30, 0
	s_delay_alu instid0(VALU_DEP_1) | instskip(NEXT) | instid1(VALU_DEP_1)
	v_and_b32_e32 v6, 0xff, v6
	v_cmp_ne_u32_e32 vcc_lo, 0, v6
	s_and_b32 s31, vcc_lo, exec_lo
	s_delay_alu instid0(SALU_CYCLE_1)
	s_or_b32 s28, s28, s31
	s_or_b32 exec_lo, exec_lo, s29
	v_mov_b32_e32 v7, s30
	s_and_saveexec_b32 s29, s28
	s_cbranch_execnz .LBB134_1066
	s_branch .LBB134_1067
.LBB134_1173:
	s_mov_b32 s0, -1
.LBB134_1174:
                                        ; implicit-def: $vgpr3
.LBB134_1175:
	s_and_b32 vcc_lo, exec_lo, s31
	s_cbranch_vccz .LBB134_1179
; %bb.1176:
	v_cmp_eq_u16_e32 vcc_lo, 44, v4
	s_cbranch_vccz .LBB134_1178
; %bb.1177:
	global_load_u8 v3, v[0:1], off
	s_mov_b32 s0, 0
	s_mov_b32 s30, -1
	s_waitcnt vmcnt(0)
	v_lshlrev_b32_e32 v5, 23, v3
	v_cmp_ne_u32_e32 vcc_lo, 0xff, v3
	s_delay_alu instid0(VALU_DEP_2) | instskip(NEXT) | instid1(VALU_DEP_1)
	v_cvt_f16_f32_e32 v5, v5
	v_cndmask_b32_e32 v5, 0x7e00, v5, vcc_lo
	v_cmp_ne_u32_e32 vcc_lo, 0, v3
	s_delay_alu instid0(VALU_DEP_2)
	v_cndmask_b32_e32 v3, 0, v5, vcc_lo
	s_branch .LBB134_1179
.LBB134_1178:
	s_mov_b32 s0, -1
                                        ; implicit-def: $vgpr3
.LBB134_1179:
	s_mov_b32 s31, 0
.LBB134_1180:
	s_delay_alu instid0(SALU_CYCLE_1)
	s_and_b32 vcc_lo, exec_lo, s31
	s_cbranch_vccz .LBB134_1184
; %bb.1181:
	v_cmp_eq_u16_e32 vcc_lo, 29, v4
	s_cbranch_vccz .LBB134_1183
; %bb.1182:
	global_load_b64 v[5:6], v[0:1], off
	s_mov_b32 s0, 0
	s_mov_b32 s30, -1
	s_mov_b32 s31, 0
	s_waitcnt vmcnt(0)
	v_clz_i32_u32_e32 v3, v6
	s_delay_alu instid0(VALU_DEP_1) | instskip(NEXT) | instid1(VALU_DEP_1)
	v_min_u32_e32 v3, 32, v3
	v_lshlrev_b64 v[5:6], v3, v[5:6]
	v_sub_nc_u32_e32 v3, 32, v3
	s_delay_alu instid0(VALU_DEP_2) | instskip(NEXT) | instid1(VALU_DEP_1)
	v_min_u32_e32 v5, 1, v5
	v_or_b32_e32 v5, v6, v5
	s_delay_alu instid0(VALU_DEP_1) | instskip(NEXT) | instid1(VALU_DEP_1)
	v_cvt_f32_u32_e32 v5, v5
	v_ldexp_f32 v3, v5, v3
	s_delay_alu instid0(VALU_DEP_1)
	v_cvt_f16_f32_e32 v3, v3
	s_branch .LBB134_1185
.LBB134_1183:
	s_mov_b32 s0, -1
                                        ; implicit-def: $vgpr3
.LBB134_1184:
	s_mov_b32 s31, 0
.LBB134_1185:
	s_delay_alu instid0(SALU_CYCLE_1)
	s_and_b32 vcc_lo, exec_lo, s31
	s_cbranch_vccz .LBB134_1203
; %bb.1186:
	v_cmp_gt_i16_e32 vcc_lo, 27, v4
	s_cbranch_vccnz .LBB134_1189
; %bb.1187:
	v_cmp_lt_i16_e32 vcc_lo, 27, v4
	s_cbranch_vccz .LBB134_1190
; %bb.1188:
	global_load_b32 v3, v[0:1], off
	s_mov_b32 s30, 0
	s_waitcnt vmcnt(0)
	v_cvt_f32_u32_e32 v3, v3
	s_delay_alu instid0(VALU_DEP_1)
	v_cvt_f16_f32_e32 v3, v3
	s_branch .LBB134_1191
.LBB134_1189:
	s_mov_b32 s30, -1
                                        ; implicit-def: $vgpr3
	s_branch .LBB134_1194
.LBB134_1190:
	s_mov_b32 s30, -1
                                        ; implicit-def: $vgpr3
.LBB134_1191:
	s_delay_alu instid0(SALU_CYCLE_1)
	s_and_not1_b32 vcc_lo, exec_lo, s30
	s_cbranch_vccnz .LBB134_1193
; %bb.1192:
	global_load_u16 v3, v[0:1], off
	s_waitcnt vmcnt(0)
	v_cvt_f16_u16_e32 v3, v3
.LBB134_1193:
	s_mov_b32 s30, 0
.LBB134_1194:
	s_delay_alu instid0(SALU_CYCLE_1)
	s_and_not1_b32 vcc_lo, exec_lo, s30
	s_cbranch_vccnz .LBB134_1202
; %bb.1195:
	global_load_u8 v5, v[0:1], off
	s_mov_b32 s30, 0
	s_mov_b32 s33, exec_lo
                                        ; implicit-def: $sgpr31
	s_waitcnt vmcnt(0)
	v_cmpx_lt_i16_e32 0x7f, v5
	s_xor_b32 s33, exec_lo, s33
	s_cbranch_execz .LBB134_1216
; %bb.1196:
	s_mov_b32 s30, -1
	s_mov_b32 s34, exec_lo
                                        ; implicit-def: $sgpr31
	v_cmpx_eq_u16_e32 0x80, v5
; %bb.1197:
	s_movk_i32 s31, 0x7e00
	s_xor_b32 s30, exec_lo, -1
; %bb.1198:
	s_or_b32 exec_lo, exec_lo, s34
	s_delay_alu instid0(SALU_CYCLE_1)
	s_and_b32 s30, s30, exec_lo
	s_or_saveexec_b32 s33, s33
	v_mov_b32_e32 v3, s31
	s_xor_b32 exec_lo, exec_lo, s33
	s_cbranch_execnz .LBB134_1217
.LBB134_1199:
	s_or_b32 exec_lo, exec_lo, s33
	s_and_saveexec_b32 s31, s30
	s_cbranch_execz .LBB134_1201
.LBB134_1200:
	v_and_b32_e32 v3, 0xffff, v5
	v_lshlrev_b32_e32 v5, 24, v5
	s_delay_alu instid0(VALU_DEP_2) | instskip(NEXT) | instid1(VALU_DEP_2)
	v_and_b32_e32 v6, 7, v3
	v_and_b32_e32 v5, 0x80000000, v5
	s_delay_alu instid0(VALU_DEP_2) | instskip(NEXT) | instid1(VALU_DEP_1)
	v_clz_i32_u32_e32 v7, v6
	v_min_u32_e32 v7, 32, v7
	s_delay_alu instid0(VALU_DEP_1) | instskip(SKIP_1) | instid1(VALU_DEP_2)
	v_subrev_nc_u32_e32 v8, 28, v7
	v_sub_nc_u32_e32 v7, 29, v7
	v_lshlrev_b32_e32 v8, v8, v3
	v_bfe_u32 v3, v3, 3, 4
	s_delay_alu instid0(VALU_DEP_1) | instskip(NEXT) | instid1(VALU_DEP_3)
	v_cmp_eq_u32_e32 vcc_lo, 0, v3
	v_dual_cndmask_b32 v3, v3, v7 :: v_dual_and_b32 v8, 7, v8
	s_delay_alu instid0(VALU_DEP_1) | instskip(NEXT) | instid1(VALU_DEP_2)
	v_cndmask_b32_e32 v6, v6, v8, vcc_lo
	v_lshl_add_u32 v3, v3, 23, 0x3b800000
	s_delay_alu instid0(VALU_DEP_2) | instskip(NEXT) | instid1(VALU_DEP_1)
	v_lshlrev_b32_e32 v6, 20, v6
	v_or3_b32 v3, v5, v3, v6
	s_delay_alu instid0(VALU_DEP_1)
	v_cvt_f16_f32_e32 v3, v3
.LBB134_1201:
	s_or_b32 exec_lo, exec_lo, s31
.LBB134_1202:
	s_mov_b32 s30, -1
.LBB134_1203:
	s_mov_b32 s31, 0
.LBB134_1204:
	s_delay_alu instid0(SALU_CYCLE_1)
	s_and_b32 vcc_lo, exec_lo, s31
	s_cbranch_vccz .LBB134_1237
; %bb.1205:
	v_cmp_lt_i16_e32 vcc_lo, 22, v4
	s_cbranch_vccz .LBB134_1215
; %bb.1206:
	v_cmp_gt_i16_e32 vcc_lo, 24, v4
	s_cbranch_vccnz .LBB134_1218
; %bb.1207:
	v_cmp_lt_i16_e32 vcc_lo, 24, v4
	s_cbranch_vccz .LBB134_1219
; %bb.1208:
	global_load_u8 v5, v[0:1], off
	s_mov_b32 s31, exec_lo
                                        ; implicit-def: $sgpr30
	s_waitcnt vmcnt(0)
	v_cmpx_lt_i16_e32 0x7f, v5
	s_xor_b32 s31, exec_lo, s31
	s_cbranch_execz .LBB134_1231
; %bb.1209:
	s_mov_b32 s29, -1
	s_mov_b32 s33, exec_lo
                                        ; implicit-def: $sgpr30
	v_cmpx_eq_u16_e32 0x80, v5
; %bb.1210:
	s_movk_i32 s30, 0x7e00
	s_xor_b32 s29, exec_lo, -1
; %bb.1211:
	s_or_b32 exec_lo, exec_lo, s33
	s_delay_alu instid0(SALU_CYCLE_1)
	s_and_b32 s29, s29, exec_lo
	s_or_saveexec_b32 s31, s31
	v_mov_b32_e32 v3, s30
	s_xor_b32 exec_lo, exec_lo, s31
	s_cbranch_execnz .LBB134_1232
.LBB134_1212:
	s_or_b32 exec_lo, exec_lo, s31
	s_and_saveexec_b32 s30, s29
	s_cbranch_execz .LBB134_1214
.LBB134_1213:
	v_and_b32_e32 v3, 0xffff, v5
	v_lshlrev_b32_e32 v5, 24, v5
	s_delay_alu instid0(VALU_DEP_2) | instskip(NEXT) | instid1(VALU_DEP_2)
	v_and_b32_e32 v6, 3, v3
	v_and_b32_e32 v5, 0x80000000, v5
	s_delay_alu instid0(VALU_DEP_2) | instskip(NEXT) | instid1(VALU_DEP_1)
	v_clz_i32_u32_e32 v7, v6
	v_min_u32_e32 v7, 32, v7
	s_delay_alu instid0(VALU_DEP_1) | instskip(SKIP_1) | instid1(VALU_DEP_2)
	v_subrev_nc_u32_e32 v8, 29, v7
	v_sub_nc_u32_e32 v7, 30, v7
	v_lshlrev_b32_e32 v8, v8, v3
	v_bfe_u32 v3, v3, 2, 5
	s_delay_alu instid0(VALU_DEP_1) | instskip(NEXT) | instid1(VALU_DEP_3)
	v_cmp_eq_u32_e32 vcc_lo, 0, v3
	v_dual_cndmask_b32 v3, v3, v7 :: v_dual_and_b32 v8, 3, v8
	s_delay_alu instid0(VALU_DEP_1) | instskip(NEXT) | instid1(VALU_DEP_2)
	v_cndmask_b32_e32 v6, v6, v8, vcc_lo
	v_lshl_add_u32 v3, v3, 23, 0x37800000
	s_delay_alu instid0(VALU_DEP_2) | instskip(NEXT) | instid1(VALU_DEP_1)
	v_lshlrev_b32_e32 v6, 21, v6
	v_or3_b32 v3, v5, v3, v6
	s_delay_alu instid0(VALU_DEP_1)
	v_cvt_f16_f32_e32 v3, v3
.LBB134_1214:
	s_or_b32 exec_lo, exec_lo, s30
	s_mov_b32 s29, 0
	s_branch .LBB134_1220
.LBB134_1215:
	s_mov_b32 s29, -1
                                        ; implicit-def: $vgpr3
	s_branch .LBB134_1226
.LBB134_1216:
	s_or_saveexec_b32 s33, s33
	v_mov_b32_e32 v3, s31
	s_xor_b32 exec_lo, exec_lo, s33
	s_cbranch_execz .LBB134_1199
.LBB134_1217:
	v_cmp_ne_u16_e32 vcc_lo, 0, v5
	v_mov_b32_e32 v3, v5
	s_and_not1_b32 s30, s30, exec_lo
	s_and_b32 s31, vcc_lo, exec_lo
	s_delay_alu instid0(SALU_CYCLE_1)
	s_or_b32 s30, s30, s31
	s_or_b32 exec_lo, exec_lo, s33
	s_and_saveexec_b32 s31, s30
	s_cbranch_execnz .LBB134_1200
	s_branch .LBB134_1201
.LBB134_1218:
	s_mov_b32 s29, -1
                                        ; implicit-def: $vgpr3
	s_branch .LBB134_1223
.LBB134_1219:
	s_mov_b32 s29, -1
                                        ; implicit-def: $vgpr3
.LBB134_1220:
	s_delay_alu instid0(SALU_CYCLE_1)
	s_and_b32 vcc_lo, exec_lo, s29
	s_cbranch_vccz .LBB134_1222
; %bb.1221:
	global_load_u8 v3, v[0:1], off
	s_waitcnt vmcnt(0)
	v_lshlrev_b32_e32 v3, 24, v3
	s_delay_alu instid0(VALU_DEP_1) | instskip(NEXT) | instid1(VALU_DEP_1)
	v_and_b32_e32 v5, 0x7f000000, v3
	v_clz_i32_u32_e32 v6, v5
	v_cmp_ne_u32_e32 vcc_lo, 0, v5
	v_add_nc_u32_e32 v8, 0x1000000, v5
	s_delay_alu instid0(VALU_DEP_3) | instskip(NEXT) | instid1(VALU_DEP_1)
	v_min_u32_e32 v6, 32, v6
	v_sub_nc_u32_e64 v6, v6, 4 clamp
	s_delay_alu instid0(VALU_DEP_1) | instskip(SKIP_1) | instid1(VALU_DEP_2)
	v_lshlrev_b32_e32 v7, v6, v5
	v_lshlrev_b32_e32 v6, 23, v6
	v_lshrrev_b32_e32 v7, 4, v7
	s_delay_alu instid0(VALU_DEP_1) | instskip(SKIP_1) | instid1(VALU_DEP_2)
	v_sub_nc_u32_e32 v6, v7, v6
	v_ashrrev_i32_e32 v7, 8, v8
	v_add_nc_u32_e32 v6, 0x3c000000, v6
	s_delay_alu instid0(VALU_DEP_1) | instskip(NEXT) | instid1(VALU_DEP_1)
	v_and_or_b32 v6, 0x7f800000, v7, v6
	v_cndmask_b32_e32 v5, 0, v6, vcc_lo
	s_delay_alu instid0(VALU_DEP_1) | instskip(NEXT) | instid1(VALU_DEP_1)
	v_and_or_b32 v3, 0x80000000, v3, v5
	v_cvt_f16_f32_e32 v3, v3
.LBB134_1222:
	s_mov_b32 s29, 0
.LBB134_1223:
	s_delay_alu instid0(SALU_CYCLE_1)
	s_and_not1_b32 vcc_lo, exec_lo, s29
	s_cbranch_vccnz .LBB134_1225
; %bb.1224:
	global_load_u8 v3, v[0:1], off
	s_waitcnt vmcnt(0)
	v_lshlrev_b32_e32 v5, 25, v3
	v_lshlrev_b16 v3, 8, v3
	s_delay_alu instid0(VALU_DEP_2) | instskip(NEXT) | instid1(VALU_DEP_2)
	v_lshrrev_b32_e32 v6, 4, v5
	v_and_or_b32 v7, 0x7f00, v3, 0.5
	v_bfe_i32 v3, v3, 0, 16
	s_delay_alu instid0(VALU_DEP_3) | instskip(NEXT) | instid1(VALU_DEP_1)
	v_or_b32_e32 v6, 0x70000000, v6
	v_dual_add_f32 v7, -0.5, v7 :: v_dual_mul_f32 v6, 0x7800000, v6
	v_cmp_gt_u32_e32 vcc_lo, 0x8000000, v5
	s_delay_alu instid0(VALU_DEP_2) | instskip(NEXT) | instid1(VALU_DEP_1)
	v_cndmask_b32_e32 v5, v6, v7, vcc_lo
	v_and_or_b32 v3, 0x80000000, v3, v5
	s_delay_alu instid0(VALU_DEP_1)
	v_cvt_f16_f32_e32 v3, v3
.LBB134_1225:
	s_mov_b32 s29, 0
	s_mov_b32 s30, -1
.LBB134_1226:
	s_and_not1_b32 vcc_lo, exec_lo, s29
	s_mov_b32 s29, 0
	s_cbranch_vccnz .LBB134_1237
; %bb.1227:
	v_cmp_lt_i16_e32 vcc_lo, 14, v4
	s_cbranch_vccz .LBB134_1230
; %bb.1228:
	v_cmp_eq_u16_e32 vcc_lo, 15, v4
	s_cbranch_vccz .LBB134_1233
; %bb.1229:
	global_load_u16 v3, v[0:1], off
	s_mov_b32 s0, 0
	s_mov_b32 s30, -1
	s_waitcnt vmcnt(0)
	v_lshlrev_b32_e32 v3, 16, v3
	s_delay_alu instid0(VALU_DEP_1)
	v_cvt_f16_f32_e32 v3, v3
	s_branch .LBB134_1235
.LBB134_1230:
	s_mov_b32 s29, -1
	s_branch .LBB134_1234
.LBB134_1231:
	s_or_saveexec_b32 s31, s31
	v_mov_b32_e32 v3, s30
	s_xor_b32 exec_lo, exec_lo, s31
	s_cbranch_execz .LBB134_1212
.LBB134_1232:
	v_cmp_ne_u16_e32 vcc_lo, 0, v5
	v_mov_b32_e32 v3, v5
	s_and_not1_b32 s29, s29, exec_lo
	s_and_b32 s30, vcc_lo, exec_lo
	s_delay_alu instid0(SALU_CYCLE_1)
	s_or_b32 s29, s29, s30
	s_or_b32 exec_lo, exec_lo, s31
	s_and_saveexec_b32 s30, s29
	s_cbranch_execnz .LBB134_1213
	s_branch .LBB134_1214
.LBB134_1233:
	s_mov_b32 s0, -1
.LBB134_1234:
                                        ; implicit-def: $vgpr3
.LBB134_1235:
	s_and_b32 vcc_lo, exec_lo, s29
	s_mov_b32 s29, 0
	s_cbranch_vccz .LBB134_1237
; %bb.1236:
	v_cmp_ne_u16_e32 vcc_lo, 11, v4
	s_and_not1_b32 s0, s0, exec_lo
	s_mov_b32 s29, -1
                                        ; implicit-def: $vgpr3
	s_and_b32 s31, vcc_lo, exec_lo
	s_delay_alu instid0(SALU_CYCLE_1)
	s_or_b32 s0, s0, s31
.LBB134_1237:
	s_mov_b32 s31, 0
.LBB134_1238:
	s_and_b32 s33, s30, exec_lo
	s_and_b32 s30, s31, exec_lo
	s_and_not1_b32 s31, s26, exec_lo
	s_and_b32 s0, s0, exec_lo
	s_and_b32 s29, s29, exec_lo
	s_or_b32 s31, s31, s0
.LBB134_1239:
	s_or_b32 exec_lo, exec_lo, s17
	s_delay_alu instid0(SALU_CYCLE_1)
	s_and_not1_b32 s17, s26, exec_lo
	s_and_b32 s26, s31, exec_lo
	s_and_b32 s0, s33, exec_lo
	;; [unrolled: 1-line block ×4, first 2 shown]
	s_or_b32 s26, s17, s26
.LBB134_1240:
	s_or_b32 exec_lo, exec_lo, s25
	s_delay_alu instid0(SALU_CYCLE_1)
	s_and_not1_b32 s17, s22, exec_lo
	s_and_b32 s22, s28, exec_lo
	s_and_not1_b32 s23, s23, exec_lo
	s_and_b32 s25, s27, exec_lo
	s_or_b32 s22, s17, s22
	s_and_not1_b32 s17, s21, exec_lo
	s_and_b32 s21, s26, exec_lo
	s_or_b32 s23, s23, s25
	s_and_b32 s0, s0, exec_lo
	s_and_b32 s27, s30, exec_lo
	;; [unrolled: 1-line block ×3, first 2 shown]
	s_or_b32 s21, s17, s21
.LBB134_1241:
	s_or_b32 exec_lo, exec_lo, s24
	s_delay_alu instid0(SALU_CYCLE_1)
	s_and_not1_b32 s16, s16, exec_lo
	s_and_b32 s17, s22, exec_lo
	s_and_not1_b32 s18, s18, exec_lo
	s_and_b32 s22, s23, exec_lo
	s_or_b32 s16, s16, s17
	s_and_not1_b32 s17, s19, exec_lo
	s_and_b32 s19, s21, exec_lo
	s_or_b32 s18, s18, s22
	s_and_b32 s0, s0, exec_lo
	s_and_b32 s22, s27, exec_lo
	;; [unrolled: 1-line block ×3, first 2 shown]
	s_or_b32 s19, s17, s19
.LBB134_1242:
	s_or_b32 exec_lo, exec_lo, s20
	s_mov_b32 s17, 0
	s_and_saveexec_b32 s20, s19
	s_cbranch_execnz .LBB134_1254
; %bb.1243:
	s_or_b32 exec_lo, exec_lo, s20
	s_and_saveexec_b32 s19, s21
	s_delay_alu instid0(SALU_CYCLE_1)
	s_xor_b32 s19, exec_lo, s19
	s_cbranch_execz .LBB134_1245
.LBB134_1244:
	global_load_u8 v3, v[0:1], off
	s_or_b32 s0, s0, exec_lo
	s_waitcnt vmcnt(0)
	v_cmp_ne_u16_e32 vcc_lo, 0, v3
	v_cndmask_b32_e64 v3, 0, 0x3c00, vcc_lo
.LBB134_1245:
	s_or_b32 exec_lo, exec_lo, s19
	s_and_saveexec_b32 s19, s22
	s_cbranch_execz .LBB134_1293
; %bb.1246:
	v_cmp_gt_i16_e32 vcc_lo, 5, v4
	s_cbranch_vccnz .LBB134_1251
; %bb.1247:
	v_cmp_gt_i16_e32 vcc_lo, 8, v4
	s_cbranch_vccnz .LBB134_1252
	;; [unrolled: 3-line block ×3, first 2 shown]
; %bb.1249:
	v_cmp_lt_i16_e32 vcc_lo, 9, v4
	s_cbranch_vccz .LBB134_1256
; %bb.1250:
	global_load_b64 v[5:6], v[0:1], off
	s_mov_b32 s20, 0
	s_waitcnt vmcnt(0)
	v_cvt_f32_f64_e32 v3, v[5:6]
	s_delay_alu instid0(VALU_DEP_1)
	v_cvt_f16_f32_e32 v3, v3
	s_branch .LBB134_1257
.LBB134_1251:
                                        ; implicit-def: $vgpr3
	s_branch .LBB134_1274
.LBB134_1252:
                                        ; implicit-def: $vgpr3
	s_branch .LBB134_1263
.LBB134_1253:
	s_mov_b32 s20, -1
                                        ; implicit-def: $vgpr3
	s_branch .LBB134_1260
.LBB134_1254:
	s_cbranch_execnz .LBB134_1305
; %bb.1255:
	s_mov_b32 s17, exec_lo
	s_and_not1_b32 s21, s21, exec_lo
                                        ; implicit-def: $vgpr3
	s_or_b32 exec_lo, exec_lo, s20
	s_and_saveexec_b32 s19, s21
	s_delay_alu instid0(SALU_CYCLE_1)
	s_xor_b32 s19, exec_lo, s19
	s_cbranch_execnz .LBB134_1244
	s_branch .LBB134_1245
.LBB134_1256:
	s_mov_b32 s20, -1
                                        ; implicit-def: $vgpr3
.LBB134_1257:
	s_delay_alu instid0(SALU_CYCLE_1)
	s_and_not1_b32 vcc_lo, exec_lo, s20
	s_cbranch_vccnz .LBB134_1259
; %bb.1258:
	global_load_b32 v3, v[0:1], off
	s_waitcnt vmcnt(0)
	v_cvt_f16_f32_e32 v3, v3
.LBB134_1259:
	s_mov_b32 s20, 0
.LBB134_1260:
	s_delay_alu instid0(SALU_CYCLE_1)
	s_and_not1_b32 vcc_lo, exec_lo, s20
	s_cbranch_vccnz .LBB134_1262
; %bb.1261:
	global_load_b32 v3, v[0:1], off
.LBB134_1262:
	s_cbranch_execnz .LBB134_1273
.LBB134_1263:
	v_cmp_gt_i16_e32 vcc_lo, 6, v4
	s_cbranch_vccnz .LBB134_1266
; %bb.1264:
	v_cmp_lt_i16_e32 vcc_lo, 6, v4
	s_cbranch_vccz .LBB134_1267
; %bb.1265:
	global_load_b64 v[5:6], v[0:1], off
	s_mov_b32 s20, 0
	s_waitcnt vmcnt(0)
	v_cvt_f32_f64_e32 v3, v[5:6]
	s_delay_alu instid0(VALU_DEP_1)
	v_cvt_f16_f32_e32 v3, v3
	s_branch .LBB134_1268
.LBB134_1266:
	s_mov_b32 s20, -1
                                        ; implicit-def: $vgpr3
	s_branch .LBB134_1271
.LBB134_1267:
	s_mov_b32 s20, -1
                                        ; implicit-def: $vgpr3
.LBB134_1268:
	s_delay_alu instid0(SALU_CYCLE_1)
	s_and_not1_b32 vcc_lo, exec_lo, s20
	s_cbranch_vccnz .LBB134_1270
; %bb.1269:
	global_load_b32 v3, v[0:1], off
	s_waitcnt vmcnt(0)
	v_cvt_f16_f32_e32 v3, v3
.LBB134_1270:
	s_mov_b32 s20, 0
.LBB134_1271:
	s_delay_alu instid0(SALU_CYCLE_1)
	s_and_not1_b32 vcc_lo, exec_lo, s20
	s_cbranch_vccnz .LBB134_1273
; %bb.1272:
	global_load_u16 v3, v[0:1], off
.LBB134_1273:
	s_cbranch_execnz .LBB134_1292
.LBB134_1274:
	v_cmp_gt_i16_e32 vcc_lo, 2, v4
	s_cbranch_vccnz .LBB134_1278
; %bb.1275:
	v_cmp_gt_i16_e32 vcc_lo, 3, v4
	s_cbranch_vccnz .LBB134_1279
; %bb.1276:
	v_cmp_lt_i16_e32 vcc_lo, 3, v4
	s_cbranch_vccz .LBB134_1280
; %bb.1277:
	global_load_b64 v[5:6], v[0:1], off
	s_mov_b32 s20, 0
	s_waitcnt vmcnt(0)
	v_xor_b32_e32 v3, v5, v6
	v_cls_i32_e32 v7, v6
	s_delay_alu instid0(VALU_DEP_2) | instskip(NEXT) | instid1(VALU_DEP_2)
	v_ashrrev_i32_e32 v3, 31, v3
	v_add_nc_u32_e32 v7, -1, v7
	s_delay_alu instid0(VALU_DEP_2) | instskip(NEXT) | instid1(VALU_DEP_1)
	v_add_nc_u32_e32 v3, 32, v3
	v_min_u32_e32 v3, v7, v3
	s_delay_alu instid0(VALU_DEP_1) | instskip(SKIP_1) | instid1(VALU_DEP_2)
	v_lshlrev_b64 v[5:6], v3, v[5:6]
	v_sub_nc_u32_e32 v3, 32, v3
	v_min_u32_e32 v5, 1, v5
	s_delay_alu instid0(VALU_DEP_1) | instskip(NEXT) | instid1(VALU_DEP_1)
	v_or_b32_e32 v5, v6, v5
	v_cvt_f32_i32_e32 v5, v5
	s_delay_alu instid0(VALU_DEP_1) | instskip(NEXT) | instid1(VALU_DEP_1)
	v_ldexp_f32 v3, v5, v3
	v_cvt_f16_f32_e32 v3, v3
	s_branch .LBB134_1281
.LBB134_1278:
                                        ; implicit-def: $vgpr3
	s_branch .LBB134_1287
.LBB134_1279:
	s_mov_b32 s20, -1
                                        ; implicit-def: $vgpr3
	s_branch .LBB134_1284
.LBB134_1280:
	s_mov_b32 s20, -1
                                        ; implicit-def: $vgpr3
.LBB134_1281:
	s_delay_alu instid0(SALU_CYCLE_1)
	s_and_not1_b32 vcc_lo, exec_lo, s20
	s_cbranch_vccnz .LBB134_1283
; %bb.1282:
	global_load_b32 v3, v[0:1], off
	s_waitcnt vmcnt(0)
	v_cvt_f32_i32_e32 v3, v3
	s_delay_alu instid0(VALU_DEP_1)
	v_cvt_f16_f32_e32 v3, v3
.LBB134_1283:
	s_mov_b32 s20, 0
.LBB134_1284:
	s_delay_alu instid0(SALU_CYCLE_1)
	s_and_not1_b32 vcc_lo, exec_lo, s20
	s_cbranch_vccnz .LBB134_1286
; %bb.1285:
	global_load_u16 v3, v[0:1], off
	s_waitcnt vmcnt(0)
	v_cvt_f16_i16_e32 v3, v3
.LBB134_1286:
	s_cbranch_execnz .LBB134_1292
.LBB134_1287:
	v_cmp_lt_i16_e32 vcc_lo, 0, v4
	s_mov_b32 s20, 0
	s_cbranch_vccz .LBB134_1289
; %bb.1288:
	global_load_i8 v3, v[0:1], off
	s_waitcnt vmcnt(0)
	v_cvt_f16_i16_e32 v3, v3
	s_branch .LBB134_1290
.LBB134_1289:
	s_mov_b32 s20, -1
                                        ; implicit-def: $vgpr3
.LBB134_1290:
	s_delay_alu instid0(SALU_CYCLE_1)
	s_and_not1_b32 vcc_lo, exec_lo, s20
	s_cbranch_vccnz .LBB134_1292
; %bb.1291:
	global_load_u8 v0, v[0:1], off
	s_waitcnt vmcnt(0)
	v_cvt_f16_u16_e32 v3, v0
.LBB134_1292:
	s_or_b32 s0, s0, exec_lo
.LBB134_1293:
	s_or_b32 exec_lo, exec_lo, s19
	s_mov_b32 s20, 0
	s_mov_b32 s23, 0
	s_mov_b32 s22, 0
                                        ; implicit-def: $sgpr21
                                        ; implicit-def: $vgpr4
                                        ; implicit-def: $vgpr0_vgpr1
	s_and_saveexec_b32 s19, s0
	s_cbranch_execz .LBB134_1371
; %bb.1294:
	v_mul_lo_u32 v0, v2, s10
	v_and_b32_e64 v4, 0xff, s1
	s_delay_alu instid0(VALU_DEP_1) | instskip(NEXT) | instid1(VALU_DEP_3)
	v_cmp_gt_i16_e32 vcc_lo, 11, v4
	v_ashrrev_i32_e32 v1, 31, v0
	v_add_co_u32 v0, s0, s2, v0
	s_delay_alu instid0(VALU_DEP_1)
	v_add_co_ci_u32_e64 v1, s0, s3, v1, s0
	s_cbranch_vccnz .LBB134_1301
; %bb.1295:
	v_cmp_lt_i16_e32 vcc_lo, 25, v4
	s_mov_b32 s0, 0
	s_cbranch_vccz .LBB134_1302
; %bb.1296:
	v_cmp_lt_i16_e32 vcc_lo, 28, v4
	s_cbranch_vccz .LBB134_1303
; %bb.1297:
	v_cmp_lt_i16_e32 vcc_lo, 43, v4
	;; [unrolled: 3-line block ×3, first 2 shown]
	s_cbranch_vccz .LBB134_1307
; %bb.1299:
	v_cmp_eq_u16_e32 vcc_lo, 46, v4
	s_cbranch_vccz .LBB134_1308
; %bb.1300:
	global_load_b32 v5, v[0:1], off
	s_mov_b32 s22, -1
	s_waitcnt vmcnt(0)
	v_and_b32_e32 v5, 0x7fff7fff, v5
	s_delay_alu instid0(VALU_DEP_1)
	v_cmp_ne_u32_e32 vcc_lo, 0, v5
	s_and_b32 s21, vcc_lo, exec_lo
	s_branch .LBB134_1310
.LBB134_1301:
	s_mov_b32 s23, -1
	s_mov_b32 s0, 0
	s_mov_b32 s20, s18
                                        ; implicit-def: $sgpr21
	s_branch .LBB134_1370
.LBB134_1302:
	s_mov_b32 s20, s18
                                        ; implicit-def: $sgpr21
	s_cbranch_execnz .LBB134_1337
	s_branch .LBB134_1369
.LBB134_1303:
	s_mov_b32 s23, -1
	s_mov_b32 s20, s18
                                        ; implicit-def: $sgpr21
	s_branch .LBB134_1318
.LBB134_1304:
	s_mov_b32 s23, -1
	s_mov_b32 s20, s18
                                        ; implicit-def: $sgpr21
	s_branch .LBB134_1313
.LBB134_1305:
	s_trap 2
	s_sendmsg_rtn_b32 s0, sendmsg(MSG_RTN_GET_DOORBELL)
	s_mov_b32 ttmp2, m0
	s_waitcnt lgkmcnt(0)
	s_and_b32 s0, s0, 0x3ff
	s_delay_alu instid0(SALU_CYCLE_1) | instskip(NEXT) | instid1(SALU_CYCLE_1)
	s_bitset1_b32 s0, 10
	s_mov_b32 m0, s0
	s_sendmsg sendmsg(MSG_INTERRUPT)
	s_mov_b32 m0, ttmp2
.LBB134_1306:                           ; =>This Inner Loop Header: Depth=1
	s_sethalt 5
	s_branch .LBB134_1306
.LBB134_1307:
	s_mov_b32 s23, -1
	s_mov_b32 s20, s18
	s_branch .LBB134_1309
.LBB134_1308:
	s_mov_b32 s20, -1
.LBB134_1309:
                                        ; implicit-def: $sgpr21
.LBB134_1310:
	s_and_b32 vcc_lo, exec_lo, s23
	s_cbranch_vccz .LBB134_1312
; %bb.1311:
	v_cmp_ne_u16_e32 vcc_lo, 44, v4
	s_and_not1_b32 s20, s20, exec_lo
	s_mov_b32 s22, -1
	s_or_b32 s21, s21, exec_lo
	s_and_b32 s23, vcc_lo, exec_lo
	s_delay_alu instid0(SALU_CYCLE_1)
	s_or_b32 s20, s20, s23
.LBB134_1312:
	s_mov_b32 s23, 0
.LBB134_1313:
	s_delay_alu instid0(SALU_CYCLE_1)
	s_and_b32 vcc_lo, exec_lo, s23
	s_cbranch_vccz .LBB134_1317
; %bb.1314:
	v_cmp_eq_u16_e32 vcc_lo, 29, v4
	s_cbranch_vccz .LBB134_1316
; %bb.1315:
	global_load_b64 v[5:6], v[0:1], off
	s_mov_b32 s20, 0
	s_mov_b32 s22, -1
	s_mov_b32 s23, 0
	s_waitcnt vmcnt(0)
	v_cmp_ne_u64_e32 vcc_lo, 0, v[5:6]
	s_and_b32 s21, vcc_lo, exec_lo
	s_branch .LBB134_1318
.LBB134_1316:
	s_mov_b32 s20, -1
                                        ; implicit-def: $sgpr21
.LBB134_1317:
	s_mov_b32 s23, 0
.LBB134_1318:
	s_delay_alu instid0(SALU_CYCLE_1)
	s_and_b32 vcc_lo, exec_lo, s23
	s_cbranch_vccz .LBB134_1336
; %bb.1319:
	v_cmp_gt_i16_e32 vcc_lo, 27, v4
	s_cbranch_vccnz .LBB134_1322
; %bb.1320:
	v_cmp_lt_i16_e32 vcc_lo, 27, v4
	s_cbranch_vccz .LBB134_1323
; %bb.1321:
	global_load_b32 v5, v[0:1], off
	s_mov_b32 s22, 0
	s_waitcnt vmcnt(0)
	v_cmp_ne_u32_e32 vcc_lo, 0, v5
	s_and_b32 s21, vcc_lo, exec_lo
	s_branch .LBB134_1324
.LBB134_1322:
	s_mov_b32 s22, -1
                                        ; implicit-def: $sgpr21
	s_branch .LBB134_1327
.LBB134_1323:
	s_mov_b32 s22, -1
                                        ; implicit-def: $sgpr21
.LBB134_1324:
	s_delay_alu instid0(SALU_CYCLE_1)
	s_and_not1_b32 vcc_lo, exec_lo, s22
	s_cbranch_vccnz .LBB134_1326
; %bb.1325:
	global_load_u16 v5, v[0:1], off
	s_and_not1_b32 s21, s21, exec_lo
	s_waitcnt vmcnt(0)
	v_cmp_ne_u16_e32 vcc_lo, 0, v5
	s_and_b32 s22, vcc_lo, exec_lo
	s_delay_alu instid0(SALU_CYCLE_1)
	s_or_b32 s21, s21, s22
.LBB134_1326:
	s_mov_b32 s22, 0
.LBB134_1327:
	s_delay_alu instid0(SALU_CYCLE_1)
	s_and_not1_b32 vcc_lo, exec_lo, s22
	s_cbranch_vccnz .LBB134_1335
; %bb.1328:
	global_load_u8 v5, v[0:1], off
	s_mov_b32 s22, 0
	s_mov_b32 s23, exec_lo
                                        ; implicit-def: $sgpr21
	s_waitcnt vmcnt(0)
	v_cmpx_lt_i16_e32 0x7f, v5
	s_xor_b32 s23, exec_lo, s23
	s_cbranch_execz .LBB134_1348
; %bb.1329:
	s_mov_b32 s22, -1
	s_mov_b32 s24, exec_lo
                                        ; implicit-def: $sgpr21
	v_cmpx_eq_u16_e32 0x80, v5
; %bb.1330:
	s_mov_b32 s21, -1
	s_xor_b32 s22, exec_lo, -1
; %bb.1331:
	s_or_b32 exec_lo, exec_lo, s24
	s_delay_alu instid0(SALU_CYCLE_1)
	s_and_b32 s22, s22, exec_lo
	s_and_not1_saveexec_b32 s23, s23
	s_cbranch_execnz .LBB134_1349
.LBB134_1332:
	s_or_b32 exec_lo, exec_lo, s23
	s_and_saveexec_b32 s23, s22
	s_cbranch_execz .LBB134_1334
.LBB134_1333:
	v_and_b32_e32 v5, 0xffff, v5
	s_and_not1_b32 s21, s21, exec_lo
	s_delay_alu instid0(VALU_DEP_1) | instskip(NEXT) | instid1(VALU_DEP_1)
	v_and_b32_e32 v6, 7, v5
	v_clz_i32_u32_e32 v7, v6
	s_delay_alu instid0(VALU_DEP_1) | instskip(NEXT) | instid1(VALU_DEP_1)
	v_min_u32_e32 v7, 32, v7
	v_subrev_nc_u32_e32 v8, 28, v7
	v_sub_nc_u32_e32 v7, 29, v7
	s_delay_alu instid0(VALU_DEP_2) | instskip(SKIP_1) | instid1(VALU_DEP_2)
	v_lshlrev_b32_e32 v8, v8, v5
	v_bfe_u32 v5, v5, 3, 4
	v_and_b32_e32 v8, 7, v8
	s_delay_alu instid0(VALU_DEP_2) | instskip(NEXT) | instid1(VALU_DEP_2)
	v_cmp_eq_u32_e32 vcc_lo, 0, v5
	v_dual_cndmask_b32 v5, v5, v7 :: v_dual_cndmask_b32 v6, v6, v8
	s_delay_alu instid0(VALU_DEP_1) | instskip(NEXT) | instid1(VALU_DEP_2)
	v_lshl_add_u32 v5, v5, 23, 0x3b800000
	v_lshlrev_b32_e32 v6, 20, v6
	s_delay_alu instid0(VALU_DEP_1) | instskip(NEXT) | instid1(VALU_DEP_1)
	v_and_or_b32 v5, 0x7f800000, v5, v6
	v_cmp_ne_u32_e32 vcc_lo, 0, v5
	s_and_b32 s22, vcc_lo, exec_lo
	s_delay_alu instid0(SALU_CYCLE_1)
	s_or_b32 s21, s21, s22
.LBB134_1334:
	s_or_b32 exec_lo, exec_lo, s23
.LBB134_1335:
	s_mov_b32 s22, -1
.LBB134_1336:
	s_branch .LBB134_1369
.LBB134_1337:
	v_cmp_lt_i16_e32 vcc_lo, 22, v4
	s_cbranch_vccz .LBB134_1347
; %bb.1338:
	v_cmp_gt_i16_e32 vcc_lo, 24, v4
	s_cbranch_vccnz .LBB134_1350
; %bb.1339:
	v_cmp_lt_i16_e32 vcc_lo, 24, v4
	s_cbranch_vccz .LBB134_1351
; %bb.1340:
	global_load_u8 v5, v[0:1], off
	s_mov_b32 s22, exec_lo
                                        ; implicit-def: $sgpr21
	s_waitcnt vmcnt(0)
	v_cmpx_lt_i16_e32 0x7f, v5
	s_xor_b32 s22, exec_lo, s22
	s_cbranch_execz .LBB134_1363
; %bb.1341:
	s_mov_b32 s0, -1
	s_mov_b32 s23, exec_lo
                                        ; implicit-def: $sgpr21
	v_cmpx_eq_u16_e32 0x80, v5
; %bb.1342:
	s_mov_b32 s21, -1
	s_xor_b32 s0, exec_lo, -1
; %bb.1343:
	s_or_b32 exec_lo, exec_lo, s23
	s_delay_alu instid0(SALU_CYCLE_1)
	s_and_b32 s0, s0, exec_lo
	s_and_not1_saveexec_b32 s22, s22
	s_cbranch_execnz .LBB134_1364
.LBB134_1344:
	s_or_b32 exec_lo, exec_lo, s22
	s_and_saveexec_b32 s22, s0
	s_cbranch_execz .LBB134_1346
.LBB134_1345:
	v_and_b32_e32 v5, 0xffff, v5
	s_and_not1_b32 s0, s21, exec_lo
	s_delay_alu instid0(VALU_DEP_1) | instskip(NEXT) | instid1(VALU_DEP_1)
	v_and_b32_e32 v6, 3, v5
	v_clz_i32_u32_e32 v7, v6
	s_delay_alu instid0(VALU_DEP_1) | instskip(NEXT) | instid1(VALU_DEP_1)
	v_min_u32_e32 v7, 32, v7
	v_subrev_nc_u32_e32 v8, 29, v7
	v_sub_nc_u32_e32 v7, 30, v7
	s_delay_alu instid0(VALU_DEP_2) | instskip(SKIP_1) | instid1(VALU_DEP_2)
	v_lshlrev_b32_e32 v8, v8, v5
	v_bfe_u32 v5, v5, 2, 5
	v_and_b32_e32 v8, 3, v8
	s_delay_alu instid0(VALU_DEP_2) | instskip(NEXT) | instid1(VALU_DEP_2)
	v_cmp_eq_u32_e32 vcc_lo, 0, v5
	v_dual_cndmask_b32 v5, v5, v7 :: v_dual_cndmask_b32 v6, v6, v8
	s_delay_alu instid0(VALU_DEP_1) | instskip(NEXT) | instid1(VALU_DEP_2)
	v_lshl_add_u32 v5, v5, 23, 0x37800000
	v_lshlrev_b32_e32 v6, 21, v6
	s_delay_alu instid0(VALU_DEP_1) | instskip(NEXT) | instid1(VALU_DEP_1)
	v_and_or_b32 v5, 0x7f800000, v5, v6
	v_cmp_ne_u32_e32 vcc_lo, 0, v5
	s_and_b32 s21, vcc_lo, exec_lo
	s_delay_alu instid0(SALU_CYCLE_1)
	s_or_b32 s21, s0, s21
.LBB134_1346:
	s_or_b32 exec_lo, exec_lo, s22
	s_mov_b32 s0, 0
	s_branch .LBB134_1352
.LBB134_1347:
	s_mov_b32 s0, -1
                                        ; implicit-def: $sgpr21
	s_branch .LBB134_1358
.LBB134_1348:
	s_and_not1_saveexec_b32 s23, s23
	s_cbranch_execz .LBB134_1332
.LBB134_1349:
	v_cmp_ne_u16_e32 vcc_lo, 0, v5
	s_and_not1_b32 s22, s22, exec_lo
	s_and_not1_b32 s21, s21, exec_lo
	s_and_b32 s24, vcc_lo, exec_lo
	s_delay_alu instid0(SALU_CYCLE_1)
	s_or_b32 s22, s22, s24
	s_or_b32 exec_lo, exec_lo, s23
	s_and_saveexec_b32 s23, s22
	s_cbranch_execnz .LBB134_1333
	s_branch .LBB134_1334
.LBB134_1350:
	s_mov_b32 s0, -1
                                        ; implicit-def: $sgpr21
	s_branch .LBB134_1355
.LBB134_1351:
	s_mov_b32 s0, -1
                                        ; implicit-def: $sgpr21
.LBB134_1352:
	s_delay_alu instid0(SALU_CYCLE_1)
	s_and_b32 vcc_lo, exec_lo, s0
	s_cbranch_vccz .LBB134_1354
; %bb.1353:
	global_load_u8 v5, v[0:1], off
	s_and_not1_b32 s21, s21, exec_lo
	s_waitcnt vmcnt(0)
	v_lshlrev_b32_e32 v5, 24, v5
	s_delay_alu instid0(VALU_DEP_1) | instskip(NEXT) | instid1(VALU_DEP_1)
	v_and_b32_e32 v5, 0x7f000000, v5
	v_clz_i32_u32_e32 v6, v5
	v_add_nc_u32_e32 v8, 0x1000000, v5
	v_cmp_ne_u32_e32 vcc_lo, 0, v5
	s_delay_alu instid0(VALU_DEP_3) | instskip(NEXT) | instid1(VALU_DEP_3)
	v_min_u32_e32 v6, 32, v6
	v_ashrrev_i32_e32 v8, 8, v8
	s_delay_alu instid0(VALU_DEP_2) | instskip(NEXT) | instid1(VALU_DEP_1)
	v_sub_nc_u32_e64 v6, v6, 4 clamp
	v_lshlrev_b32_e32 v7, v6, v5
	v_lshlrev_b32_e32 v6, 23, v6
	s_delay_alu instid0(VALU_DEP_2) | instskip(NEXT) | instid1(VALU_DEP_1)
	v_lshrrev_b32_e32 v7, 4, v7
	v_sub_nc_u32_e32 v6, v7, v6
	v_and_b32_e32 v7, 0x7f800000, v8
	s_delay_alu instid0(VALU_DEP_2) | instskip(NEXT) | instid1(VALU_DEP_1)
	v_add_nc_u32_e32 v6, 0x3c000000, v6
	v_and_or_b32 v6, 0x7ff00000, v6, v7
	s_delay_alu instid0(VALU_DEP_1) | instskip(NEXT) | instid1(VALU_DEP_1)
	v_cmp_ne_u32_e64 s0, 0, v6
	s_and_b32 s0, vcc_lo, s0
	s_delay_alu instid0(SALU_CYCLE_1) | instskip(NEXT) | instid1(SALU_CYCLE_1)
	s_and_b32 s0, s0, exec_lo
	s_or_b32 s21, s21, s0
.LBB134_1354:
	s_mov_b32 s0, 0
.LBB134_1355:
	s_delay_alu instid0(SALU_CYCLE_1)
	s_and_not1_b32 vcc_lo, exec_lo, s0
	s_cbranch_vccnz .LBB134_1357
; %bb.1356:
	global_load_u8 v5, v[0:1], off
	s_and_not1_b32 s0, s21, exec_lo
	s_waitcnt vmcnt(0)
	v_lshlrev_b32_e32 v6, 25, v5
	v_lshlrev_b32_e32 v5, 8, v5
	s_delay_alu instid0(VALU_DEP_2) | instskip(NEXT) | instid1(VALU_DEP_2)
	v_lshrrev_b32_e32 v7, 4, v6
	v_and_or_b32 v5, 0x7f00, v5, 0.5
	s_delay_alu instid0(VALU_DEP_2) | instskip(NEXT) | instid1(VALU_DEP_2)
	v_or_b32_e32 v7, 0x70000000, v7
	v_add_f32_e32 v5, -0.5, v5
	s_delay_alu instid0(VALU_DEP_2) | instskip(SKIP_1) | instid1(VALU_DEP_2)
	v_mul_f32_e32 v7, 0x7800000, v7
	v_cmp_gt_u32_e32 vcc_lo, 0x8000000, v6
	v_cndmask_b32_e32 v5, v7, v5, vcc_lo
	s_delay_alu instid0(VALU_DEP_1) | instskip(SKIP_1) | instid1(SALU_CYCLE_1)
	v_cmp_neq_f32_e32 vcc_lo, 0, v5
	s_and_b32 s21, vcc_lo, exec_lo
	s_or_b32 s21, s0, s21
.LBB134_1357:
	s_mov_b32 s0, 0
	s_mov_b32 s22, -1
.LBB134_1358:
	s_and_not1_b32 vcc_lo, exec_lo, s0
	s_mov_b32 s0, 0
	s_cbranch_vccnz .LBB134_1369
; %bb.1359:
	v_cmp_lt_i16_e32 vcc_lo, 14, v4
	s_cbranch_vccz .LBB134_1362
; %bb.1360:
	v_cmp_eq_u16_e32 vcc_lo, 15, v4
	s_cbranch_vccz .LBB134_1365
; %bb.1361:
	global_load_u16 v5, v[0:1], off
	s_mov_b32 s20, 0
	s_mov_b32 s22, -1
	s_waitcnt vmcnt(0)
	v_and_b32_e32 v5, 0x7fff, v5
	s_delay_alu instid0(VALU_DEP_1)
	v_cmp_ne_u16_e32 vcc_lo, 0, v5
	s_and_b32 s21, vcc_lo, exec_lo
	s_branch .LBB134_1367
.LBB134_1362:
	s_mov_b32 s0, -1
	s_branch .LBB134_1366
.LBB134_1363:
	s_and_not1_saveexec_b32 s22, s22
	s_cbranch_execz .LBB134_1344
.LBB134_1364:
	v_cmp_ne_u16_e32 vcc_lo, 0, v5
	s_and_not1_b32 s0, s0, exec_lo
	s_and_not1_b32 s21, s21, exec_lo
	s_and_b32 s23, vcc_lo, exec_lo
	s_delay_alu instid0(SALU_CYCLE_1)
	s_or_b32 s0, s0, s23
	s_or_b32 exec_lo, exec_lo, s22
	s_and_saveexec_b32 s22, s0
	s_cbranch_execnz .LBB134_1345
	s_branch .LBB134_1346
.LBB134_1365:
	s_mov_b32 s20, -1
.LBB134_1366:
                                        ; implicit-def: $sgpr21
.LBB134_1367:
	s_and_b32 vcc_lo, exec_lo, s0
	s_mov_b32 s0, 0
	s_cbranch_vccz .LBB134_1369
; %bb.1368:
	v_cmp_ne_u16_e32 vcc_lo, 11, v4
	s_and_not1_b32 s20, s20, exec_lo
	s_mov_b32 s0, -1
	s_and_not1_b32 s21, s21, exec_lo
	s_and_b32 s23, vcc_lo, exec_lo
	s_delay_alu instid0(SALU_CYCLE_1)
	s_or_b32 s20, s20, s23
.LBB134_1369:
	s_mov_b32 s23, 0
.LBB134_1370:
	s_and_not1_b32 s18, s18, exec_lo
	s_and_b32 s24, s20, exec_lo
	s_and_b32 s21, s21, exec_lo
	;; [unrolled: 1-line block ×5, first 2 shown]
	s_or_b32 s18, s18, s24
.LBB134_1371:
	s_or_b32 exec_lo, exec_lo, s19
	s_and_saveexec_b32 s0, s18
	s_cbranch_execnz .LBB134_1383
; %bb.1372:
	s_or_b32 exec_lo, exec_lo, s0
	s_and_saveexec_b32 s0, s20
	s_delay_alu instid0(SALU_CYCLE_1)
	s_xor_b32 s0, exec_lo, s0
	s_cbranch_execz .LBB134_1374
.LBB134_1373:
	global_load_u8 v5, v[0:1], off
	s_and_not1_b32 s18, s21, exec_lo
	s_or_b32 s22, s22, exec_lo
	s_waitcnt vmcnt(0)
	v_cmp_ne_u16_e32 vcc_lo, 0, v5
	s_and_b32 s19, vcc_lo, exec_lo
	s_delay_alu instid0(SALU_CYCLE_1)
	s_or_b32 s21, s18, s19
.LBB134_1374:
	s_or_b32 exec_lo, exec_lo, s0
	s_and_saveexec_b32 s18, s23
	s_cbranch_execz .LBB134_1422
; %bb.1375:
	v_cmp_gt_i16_e32 vcc_lo, 5, v4
	s_cbranch_vccnz .LBB134_1380
; %bb.1376:
	v_cmp_gt_i16_e32 vcc_lo, 8, v4
	s_cbranch_vccnz .LBB134_1381
	;; [unrolled: 3-line block ×3, first 2 shown]
; %bb.1378:
	v_cmp_lt_i16_e32 vcc_lo, 9, v4
	s_cbranch_vccz .LBB134_1385
; %bb.1379:
	global_load_b128 v[5:8], v[0:1], off
	s_mov_b32 s19, 0
	s_waitcnt vmcnt(0)
	v_cmp_neq_f64_e32 vcc_lo, 0, v[5:6]
	v_cmp_neq_f64_e64 s0, 0, v[7:8]
	s_delay_alu instid0(VALU_DEP_1) | instskip(NEXT) | instid1(SALU_CYCLE_1)
	s_or_b32 s0, vcc_lo, s0
	s_and_b32 s0, s0, exec_lo
	s_branch .LBB134_1386
.LBB134_1380:
                                        ; implicit-def: $sgpr0
	s_branch .LBB134_1403
.LBB134_1381:
                                        ; implicit-def: $sgpr0
	s_branch .LBB134_1392
.LBB134_1382:
	s_mov_b32 s19, -1
                                        ; implicit-def: $sgpr0
	s_branch .LBB134_1389
.LBB134_1383:
	s_cbranch_execnz .LBB134_1431
; %bb.1384:
	s_and_not1_b32 s21, s21, exec_lo
	s_or_b32 s17, s17, exec_lo
	s_and_not1_b32 s22, s22, exec_lo
	s_and_not1_b32 s20, s20, exec_lo
	s_or_b32 exec_lo, exec_lo, s0
	s_and_saveexec_b32 s0, s20
	s_delay_alu instid0(SALU_CYCLE_1)
	s_xor_b32 s0, exec_lo, s0
	s_cbranch_execnz .LBB134_1373
	s_branch .LBB134_1374
.LBB134_1385:
	s_mov_b32 s19, -1
                                        ; implicit-def: $sgpr0
.LBB134_1386:
	s_delay_alu instid0(SALU_CYCLE_1)
	s_and_not1_b32 vcc_lo, exec_lo, s19
	s_cbranch_vccnz .LBB134_1388
; %bb.1387:
	global_load_b64 v[5:6], v[0:1], off
	s_and_not1_b32 s0, s0, exec_lo
	s_waitcnt vmcnt(0)
	v_or_b32_e32 v5, v5, v6
	s_delay_alu instid0(VALU_DEP_1) | instskip(NEXT) | instid1(VALU_DEP_1)
	v_and_b32_e32 v5, 0x7fffffff, v5
	v_cmp_ne_u32_e32 vcc_lo, 0, v5
	s_and_b32 s19, vcc_lo, exec_lo
	s_delay_alu instid0(SALU_CYCLE_1)
	s_or_b32 s0, s0, s19
.LBB134_1388:
	s_mov_b32 s19, 0
.LBB134_1389:
	s_delay_alu instid0(SALU_CYCLE_1)
	s_and_not1_b32 vcc_lo, exec_lo, s19
	s_cbranch_vccnz .LBB134_1391
; %bb.1390:
	global_load_b32 v5, v[0:1], off
	s_and_not1_b32 s0, s0, exec_lo
	s_waitcnt vmcnt(0)
	v_and_b32_e32 v5, 0x7fff7fff, v5
	s_delay_alu instid0(VALU_DEP_1) | instskip(SKIP_1) | instid1(SALU_CYCLE_1)
	v_cmp_ne_u32_e32 vcc_lo, 0, v5
	s_and_b32 s19, vcc_lo, exec_lo
	s_or_b32 s0, s0, s19
.LBB134_1391:
	s_cbranch_execnz .LBB134_1402
.LBB134_1392:
	v_cmp_gt_i16_e32 vcc_lo, 6, v4
	s_cbranch_vccnz .LBB134_1395
; %bb.1393:
	v_cmp_lt_i16_e32 vcc_lo, 6, v4
	s_cbranch_vccz .LBB134_1396
; %bb.1394:
	global_load_b64 v[5:6], v[0:1], off
	s_mov_b32 s19, 0
	s_waitcnt vmcnt(0)
	v_cmp_neq_f64_e32 vcc_lo, 0, v[5:6]
	s_and_b32 s0, vcc_lo, exec_lo
	s_branch .LBB134_1397
.LBB134_1395:
	s_mov_b32 s19, -1
                                        ; implicit-def: $sgpr0
	s_branch .LBB134_1400
.LBB134_1396:
	s_mov_b32 s19, -1
                                        ; implicit-def: $sgpr0
.LBB134_1397:
	s_delay_alu instid0(SALU_CYCLE_1)
	s_and_not1_b32 vcc_lo, exec_lo, s19
	s_cbranch_vccnz .LBB134_1399
; %bb.1398:
	global_load_b32 v5, v[0:1], off
	s_and_not1_b32 s0, s0, exec_lo
	s_waitcnt vmcnt(0)
	v_cmp_neq_f32_e32 vcc_lo, 0, v5
	s_and_b32 s19, vcc_lo, exec_lo
	s_delay_alu instid0(SALU_CYCLE_1)
	s_or_b32 s0, s0, s19
.LBB134_1399:
	s_mov_b32 s19, 0
.LBB134_1400:
	s_delay_alu instid0(SALU_CYCLE_1)
	s_and_not1_b32 vcc_lo, exec_lo, s19
	s_cbranch_vccnz .LBB134_1402
; %bb.1401:
	global_load_u16 v5, v[0:1], off
	s_and_not1_b32 s0, s0, exec_lo
	s_waitcnt vmcnt(0)
	v_and_b32_e32 v5, 0x7fff, v5
	s_delay_alu instid0(VALU_DEP_1) | instskip(SKIP_1) | instid1(SALU_CYCLE_1)
	v_cmp_ne_u16_e32 vcc_lo, 0, v5
	s_and_b32 s19, vcc_lo, exec_lo
	s_or_b32 s0, s0, s19
.LBB134_1402:
	s_cbranch_execnz .LBB134_1421
.LBB134_1403:
	v_cmp_gt_i16_e32 vcc_lo, 2, v4
	s_cbranch_vccnz .LBB134_1407
; %bb.1404:
	v_cmp_gt_i16_e32 vcc_lo, 3, v4
	s_cbranch_vccnz .LBB134_1408
; %bb.1405:
	v_cmp_lt_i16_e32 vcc_lo, 3, v4
	s_cbranch_vccz .LBB134_1409
; %bb.1406:
	global_load_b64 v[5:6], v[0:1], off
	s_mov_b32 s19, 0
	s_waitcnt vmcnt(0)
	v_cmp_ne_u64_e32 vcc_lo, 0, v[5:6]
	s_and_b32 s0, vcc_lo, exec_lo
	s_branch .LBB134_1410
.LBB134_1407:
                                        ; implicit-def: $sgpr0
	s_branch .LBB134_1416
.LBB134_1408:
	s_mov_b32 s19, -1
                                        ; implicit-def: $sgpr0
	s_branch .LBB134_1413
.LBB134_1409:
	s_mov_b32 s19, -1
                                        ; implicit-def: $sgpr0
.LBB134_1410:
	s_delay_alu instid0(SALU_CYCLE_1)
	s_and_not1_b32 vcc_lo, exec_lo, s19
	s_cbranch_vccnz .LBB134_1412
; %bb.1411:
	global_load_b32 v5, v[0:1], off
	s_and_not1_b32 s0, s0, exec_lo
	s_waitcnt vmcnt(0)
	v_cmp_ne_u32_e32 vcc_lo, 0, v5
	s_and_b32 s19, vcc_lo, exec_lo
	s_delay_alu instid0(SALU_CYCLE_1)
	s_or_b32 s0, s0, s19
.LBB134_1412:
	s_mov_b32 s19, 0
.LBB134_1413:
	s_delay_alu instid0(SALU_CYCLE_1)
	s_and_not1_b32 vcc_lo, exec_lo, s19
	s_cbranch_vccnz .LBB134_1415
; %bb.1414:
	global_load_u16 v5, v[0:1], off
	s_and_not1_b32 s0, s0, exec_lo
	s_waitcnt vmcnt(0)
	v_cmp_ne_u16_e32 vcc_lo, 0, v5
	s_and_b32 s19, vcc_lo, exec_lo
	s_delay_alu instid0(SALU_CYCLE_1)
	s_or_b32 s0, s0, s19
.LBB134_1415:
	s_cbranch_execnz .LBB134_1421
.LBB134_1416:
	v_cmp_lt_i16_e32 vcc_lo, 0, v4
	s_mov_b32 s19, 0
	s_cbranch_vccz .LBB134_1418
; %bb.1417:
	global_load_u8 v4, v[0:1], off
	s_waitcnt vmcnt(0)
	v_cmp_ne_u16_e32 vcc_lo, 0, v4
	s_and_b32 s0, vcc_lo, exec_lo
	s_branch .LBB134_1419
.LBB134_1418:
	s_mov_b32 s19, -1
                                        ; implicit-def: $sgpr0
.LBB134_1419:
	s_delay_alu instid0(SALU_CYCLE_1)
	s_and_not1_b32 vcc_lo, exec_lo, s19
	s_cbranch_vccnz .LBB134_1421
; %bb.1420:
	global_load_u8 v0, v[0:1], off
	s_and_not1_b32 s0, s0, exec_lo
	s_waitcnt vmcnt(0)
	v_cmp_ne_u16_e32 vcc_lo, 0, v0
	s_and_b32 s19, vcc_lo, exec_lo
	s_delay_alu instid0(SALU_CYCLE_1)
	s_or_b32 s0, s0, s19
.LBB134_1421:
	s_and_not1_b32 s19, s21, exec_lo
	s_and_b32 s0, s0, exec_lo
	s_or_b32 s22, s22, exec_lo
	s_or_b32 s21, s19, s0
.LBB134_1422:
	s_or_b32 exec_lo, exec_lo, s18
	s_mov_b32 s0, 0
	s_mov_b32 s19, 0
                                        ; implicit-def: $vgpr5
                                        ; implicit-def: $vgpr0_vgpr1
                                        ; implicit-def: $vgpr4
	s_and_saveexec_b32 s18, s22
	s_cbranch_execz .LBB134_1502
; %bb.1423:
	v_mul_lo_u32 v2, v2, s8
	v_cndmask_b32_e64 v0, 0, 1.0, s21
	s_waitcnt vmcnt(0)
	v_cvt_f32_f16_e32 v1, v3
	v_and_b32_e64 v5, 0xff, s12
	s_delay_alu instid0(VALU_DEP_2) | instskip(SKIP_1) | instid1(VALU_DEP_3)
	v_mul_f32_e32 v0, v1, v0
	v_ashrrev_i32_e32 v1, 31, v2
	v_cmp_gt_i16_e32 vcc_lo, 11, v5
	s_delay_alu instid0(VALU_DEP_3) | instskip(SKIP_1) | instid1(VALU_DEP_1)
	v_fma_mixlo_f16 v4, s11, v0, 0
	v_add_co_u32 v0, s0, s4, v2
	v_add_co_ci_u32_e64 v1, s0, s5, v1, s0
	s_cbranch_vccnz .LBB134_1430
; %bb.1424:
	v_cmp_lt_i16_e32 vcc_lo, 25, v5
	s_mov_b32 s19, -1
	s_mov_b32 s0, s16
	s_cbranch_vccz .LBB134_1460
; %bb.1425:
	v_cmp_lt_i16_e32 vcc_lo, 28, v5
	s_mov_b32 s0, s16
	s_cbranch_vccz .LBB134_1444
; %bb.1426:
	v_cmp_lt_i16_e32 vcc_lo, 43, v5
	;; [unrolled: 4-line block ×3, first 2 shown]
	s_mov_b32 s0, s16
	s_cbranch_vccz .LBB134_1434
; %bb.1428:
	v_cmp_eq_u16_e32 vcc_lo, 46, v5
	s_mov_b32 s0, -1
	s_cbranch_vccz .LBB134_1433
; %bb.1429:
	v_cvt_f32_f16_e32 v2, v4
	v_cmp_o_f16_e32 vcc_lo, v4, v4
	s_mov_b32 s0, 0
	s_mov_b32 s19, 0
	s_delay_alu instid0(VALU_DEP_2) | instskip(NEXT) | instid1(VALU_DEP_1)
	v_bfe_u32 v3, v2, 16, 1
	v_add3_u32 v2, v2, v3, 0x7fff
	s_delay_alu instid0(VALU_DEP_1) | instskip(NEXT) | instid1(VALU_DEP_1)
	v_lshrrev_b32_e32 v2, 16, v2
	v_cndmask_b32_e32 v2, 0x7fc0, v2, vcc_lo
	global_store_b32 v[0:1], v2, off
	s_branch .LBB134_1434
.LBB134_1430:
	s_mov_b32 s20, 0
	s_mov_b32 s19, -1
	s_mov_b32 s0, s16
	s_branch .LBB134_1501
.LBB134_1431:
	s_trap 2
	s_sendmsg_rtn_b32 s0, sendmsg(MSG_RTN_GET_DOORBELL)
	s_mov_b32 ttmp2, m0
	s_waitcnt lgkmcnt(0)
	s_and_b32 s0, s0, 0x3ff
	s_delay_alu instid0(SALU_CYCLE_1) | instskip(NEXT) | instid1(SALU_CYCLE_1)
	s_bitset1_b32 s0, 10
	s_mov_b32 m0, s0
	s_sendmsg sendmsg(MSG_INTERRUPT)
	s_mov_b32 m0, ttmp2
.LBB134_1432:                           ; =>This Inner Loop Header: Depth=1
	s_sethalt 5
	s_branch .LBB134_1432
.LBB134_1433:
	s_mov_b32 s19, 0
.LBB134_1434:
	s_delay_alu instid0(SALU_CYCLE_1)
	s_and_b32 vcc_lo, exec_lo, s19
	s_cbranch_vccz .LBB134_1439
; %bb.1435:
	v_cmp_eq_u16_e32 vcc_lo, 44, v5
	s_mov_b32 s0, -1
	s_cbranch_vccz .LBB134_1439
; %bb.1436:
	v_cvt_f32_f16_e32 v2, v4
	v_mov_b32_e32 v3, 0xff
	s_mov_b32 s19, exec_lo
	s_delay_alu instid0(VALU_DEP_2) | instskip(NEXT) | instid1(VALU_DEP_1)
	v_bfe_u32 v6, v2, 23, 8
	v_cmpx_ne_u32_e32 0xff, v6
; %bb.1437:
	v_and_b32_e32 v3, 0x400000, v2
	v_and_or_b32 v6, 0x3fffff, v2, v6
	v_lshrrev_b32_e32 v2, 23, v2
	s_delay_alu instid0(VALU_DEP_3) | instskip(NEXT) | instid1(VALU_DEP_3)
	v_cmp_ne_u32_e32 vcc_lo, 0, v3
	v_cmp_ne_u32_e64 s0, 0, v6
	s_delay_alu instid0(VALU_DEP_1) | instskip(NEXT) | instid1(SALU_CYCLE_1)
	s_and_b32 s0, vcc_lo, s0
	v_cndmask_b32_e64 v3, 0, 1, s0
	s_delay_alu instid0(VALU_DEP_1)
	v_add_nc_u32_e32 v3, v2, v3
; %bb.1438:
	s_or_b32 exec_lo, exec_lo, s19
	s_mov_b32 s0, 0
	global_store_b8 v[0:1], v3, off
.LBB134_1439:
	s_mov_b32 s19, 0
.LBB134_1440:
	s_delay_alu instid0(SALU_CYCLE_1)
	s_and_b32 vcc_lo, exec_lo, s19
	s_cbranch_vccz .LBB134_1443
; %bb.1441:
	v_cmp_eq_u16_e32 vcc_lo, 29, v5
	s_mov_b32 s0, -1
	s_cbranch_vccz .LBB134_1443
; %bb.1442:
	v_cvt_f32_f16_e32 v2, v4
	v_mov_b32_e32 v3, 0
	s_mov_b32 s0, 0
	s_mov_b32 s19, 0
	s_delay_alu instid0(VALU_DEP_2)
	v_cvt_u32_f32_e32 v2, v2
	global_store_b64 v[0:1], v[2:3], off
	s_branch .LBB134_1444
.LBB134_1443:
	s_mov_b32 s19, 0
.LBB134_1444:
	s_delay_alu instid0(SALU_CYCLE_1)
	s_and_b32 vcc_lo, exec_lo, s19
	s_cbranch_vccz .LBB134_1459
; %bb.1445:
	v_cmp_gt_i16_e32 vcc_lo, 27, v5
	s_mov_b32 s19, -1
	s_cbranch_vccnz .LBB134_1451
; %bb.1446:
	v_cmp_lt_i16_e32 vcc_lo, 27, v5
	s_cbranch_vccz .LBB134_1448
; %bb.1447:
	v_cvt_f32_f16_e32 v2, v4
	s_mov_b32 s19, 0
	s_delay_alu instid0(VALU_DEP_1)
	v_cvt_u32_f32_e32 v2, v2
	global_store_b32 v[0:1], v2, off
.LBB134_1448:
	s_and_not1_b32 vcc_lo, exec_lo, s19
	s_cbranch_vccnz .LBB134_1450
; %bb.1449:
	v_cvt_u16_f16_e32 v2, v4
	global_store_b16 v[0:1], v2, off
.LBB134_1450:
	s_mov_b32 s19, 0
.LBB134_1451:
	s_delay_alu instid0(SALU_CYCLE_1)
	s_and_not1_b32 vcc_lo, exec_lo, s19
	s_cbranch_vccnz .LBB134_1459
; %bb.1452:
	v_cvt_f32_f16_e32 v2, v4
	v_mov_b32_e32 v6, 0x80
	s_mov_b32 s19, exec_lo
	s_delay_alu instid0(VALU_DEP_2) | instskip(NEXT) | instid1(VALU_DEP_1)
	v_and_b32_e32 v3, 0x7fffffff, v2
	v_cmpx_gt_u32_e32 0x43800000, v3
	s_cbranch_execz .LBB134_1458
; %bb.1453:
	v_cmp_lt_u32_e32 vcc_lo, 0x3bffffff, v3
	s_mov_b32 s20, 0
                                        ; implicit-def: $vgpr3
	s_and_saveexec_b32 s21, vcc_lo
	s_delay_alu instid0(SALU_CYCLE_1)
	s_xor_b32 s21, exec_lo, s21
	s_cbranch_execz .LBB134_1694
; %bb.1454:
	v_bfe_u32 v3, v2, 20, 1
	s_mov_b32 s20, exec_lo
	s_delay_alu instid0(VALU_DEP_1) | instskip(NEXT) | instid1(VALU_DEP_1)
	v_add3_u32 v3, v2, v3, 0x487ffff
	v_lshrrev_b32_e32 v3, 20, v3
	s_or_saveexec_b32 s21, s21
                                        ; implicit-def: $sgpr22
	s_delay_alu instid0(SALU_CYCLE_1)
	s_xor_b32 exec_lo, exec_lo, s21
	s_cbranch_execnz .LBB134_1695
.LBB134_1455:
	s_or_b32 exec_lo, exec_lo, s21
	v_mov_b32_e32 v6, s22
	s_and_saveexec_b32 s21, s20
.LBB134_1456:
	v_lshrrev_b32_e32 v2, 24, v2
	s_delay_alu instid0(VALU_DEP_1)
	v_and_or_b32 v6, 0x80, v2, v3
.LBB134_1457:
	s_or_b32 exec_lo, exec_lo, s21
.LBB134_1458:
	s_delay_alu instid0(SALU_CYCLE_1)
	s_or_b32 exec_lo, exec_lo, s19
	global_store_b8 v[0:1], v6, off
.LBB134_1459:
	s_mov_b32 s19, 0
.LBB134_1460:
	s_delay_alu instid0(SALU_CYCLE_1)
	s_and_b32 vcc_lo, exec_lo, s19
	s_mov_b32 s19, 0
	s_cbranch_vccz .LBB134_1500
; %bb.1461:
	v_cmp_lt_i16_e32 vcc_lo, 22, v5
	s_mov_b32 s20, -1
	s_cbranch_vccz .LBB134_1493
; %bb.1462:
	v_cmp_gt_i16_e32 vcc_lo, 24, v5
	s_cbranch_vccnz .LBB134_1482
; %bb.1463:
	v_cmp_lt_i16_e32 vcc_lo, 24, v5
	s_cbranch_vccz .LBB134_1471
; %bb.1464:
	v_cvt_f32_f16_e32 v2, v4
	v_mov_b32_e32 v6, 0x80
	s_mov_b32 s20, exec_lo
	s_delay_alu instid0(VALU_DEP_2) | instskip(NEXT) | instid1(VALU_DEP_1)
	v_and_b32_e32 v3, 0x7fffffff, v2
	v_cmpx_gt_u32_e32 0x47800000, v3
	s_cbranch_execz .LBB134_1470
; %bb.1465:
	v_cmp_lt_u32_e32 vcc_lo, 0x37ffffff, v3
	s_mov_b32 s21, 0
                                        ; implicit-def: $vgpr3
	s_and_saveexec_b32 s22, vcc_lo
	s_delay_alu instid0(SALU_CYCLE_1)
	s_xor_b32 s22, exec_lo, s22
	s_cbranch_execz .LBB134_1824
; %bb.1466:
	v_bfe_u32 v3, v2, 21, 1
	s_mov_b32 s21, exec_lo
	s_delay_alu instid0(VALU_DEP_1) | instskip(NEXT) | instid1(VALU_DEP_1)
	v_add3_u32 v3, v2, v3, 0x88fffff
	v_lshrrev_b32_e32 v3, 21, v3
	s_or_saveexec_b32 s22, s22
                                        ; implicit-def: $sgpr23
	s_delay_alu instid0(SALU_CYCLE_1)
	s_xor_b32 exec_lo, exec_lo, s22
	s_cbranch_execnz .LBB134_1825
.LBB134_1467:
	s_or_b32 exec_lo, exec_lo, s22
	v_mov_b32_e32 v6, s23
	s_and_saveexec_b32 s22, s21
.LBB134_1468:
	v_lshrrev_b32_e32 v2, 24, v2
	s_delay_alu instid0(VALU_DEP_1)
	v_and_or_b32 v6, 0x80, v2, v3
.LBB134_1469:
	s_or_b32 exec_lo, exec_lo, s22
.LBB134_1470:
	s_delay_alu instid0(SALU_CYCLE_1)
	s_or_b32 exec_lo, exec_lo, s20
	s_mov_b32 s20, 0
	global_store_b8 v[0:1], v6, off
.LBB134_1471:
	s_and_b32 vcc_lo, exec_lo, s20
	s_cbranch_vccz .LBB134_1481
; %bb.1472:
	v_cvt_f32_f16_e32 v2, v4
	s_mov_b32 s20, exec_lo
                                        ; implicit-def: $vgpr3
	s_delay_alu instid0(VALU_DEP_1) | instskip(NEXT) | instid1(VALU_DEP_1)
	v_and_b32_e32 v6, 0x7fffffff, v2
	v_cmpx_gt_u32_e32 0x43f00000, v6
	s_xor_b32 s20, exec_lo, s20
	s_cbranch_execz .LBB134_1478
; %bb.1473:
	s_mov_b32 s21, exec_lo
                                        ; implicit-def: $vgpr3
	v_cmpx_lt_u32_e32 0x3c7fffff, v6
	s_xor_b32 s21, exec_lo, s21
; %bb.1474:
	v_bfe_u32 v3, v2, 20, 1
	s_delay_alu instid0(VALU_DEP_1) | instskip(NEXT) | instid1(VALU_DEP_1)
	v_add3_u32 v3, v2, v3, 0x407ffff
	v_and_b32_e32 v6, 0xff00000, v3
	v_lshrrev_b32_e32 v3, 20, v3
	s_delay_alu instid0(VALU_DEP_2) | instskip(NEXT) | instid1(VALU_DEP_2)
	v_cmp_ne_u32_e32 vcc_lo, 0x7f00000, v6
	v_cndmask_b32_e32 v3, 0x7e, v3, vcc_lo
; %bb.1475:
	s_and_not1_saveexec_b32 s21, s21
; %bb.1476:
	v_add_f32_e64 v3, 0x46800000, |v2|
; %bb.1477:
	s_or_b32 exec_lo, exec_lo, s21
                                        ; implicit-def: $vgpr6
.LBB134_1478:
	s_and_not1_saveexec_b32 s20, s20
; %bb.1479:
	v_mov_b32_e32 v3, 0x7f
	v_cmp_lt_u32_e32 vcc_lo, 0x7f800000, v6
	s_delay_alu instid0(VALU_DEP_2)
	v_cndmask_b32_e32 v3, 0x7e, v3, vcc_lo
; %bb.1480:
	s_or_b32 exec_lo, exec_lo, s20
	v_lshrrev_b32_e32 v2, 24, v2
	s_delay_alu instid0(VALU_DEP_1)
	v_and_or_b32 v2, 0x80, v2, v3
	global_store_b8 v[0:1], v2, off
.LBB134_1481:
	s_mov_b32 s20, 0
.LBB134_1482:
	s_delay_alu instid0(SALU_CYCLE_1)
	s_and_not1_b32 vcc_lo, exec_lo, s20
	s_cbranch_vccnz .LBB134_1492
; %bb.1483:
	v_cvt_f32_f16_e32 v2, v4
	s_mov_b32 s20, exec_lo
                                        ; implicit-def: $vgpr3
	s_delay_alu instid0(VALU_DEP_1) | instskip(NEXT) | instid1(VALU_DEP_1)
	v_and_b32_e32 v6, 0x7fffffff, v2
	v_cmpx_gt_u32_e32 0x47800000, v6
	s_xor_b32 s20, exec_lo, s20
	s_cbranch_execz .LBB134_1489
; %bb.1484:
	s_mov_b32 s21, exec_lo
                                        ; implicit-def: $vgpr3
	v_cmpx_lt_u32_e32 0x387fffff, v6
	s_xor_b32 s21, exec_lo, s21
; %bb.1485:
	v_bfe_u32 v3, v2, 21, 1
	s_delay_alu instid0(VALU_DEP_1) | instskip(NEXT) | instid1(VALU_DEP_1)
	v_add3_u32 v3, v2, v3, 0x80fffff
	v_lshrrev_b32_e32 v3, 21, v3
; %bb.1486:
	s_and_not1_saveexec_b32 s21, s21
; %bb.1487:
	v_add_f32_e64 v3, 0x43000000, |v2|
; %bb.1488:
	s_or_b32 exec_lo, exec_lo, s21
                                        ; implicit-def: $vgpr6
.LBB134_1489:
	s_and_not1_saveexec_b32 s20, s20
; %bb.1490:
	v_mov_b32_e32 v3, 0x7f
	v_cmp_lt_u32_e32 vcc_lo, 0x7f800000, v6
	s_delay_alu instid0(VALU_DEP_2)
	v_cndmask_b32_e32 v3, 0x7c, v3, vcc_lo
; %bb.1491:
	s_or_b32 exec_lo, exec_lo, s20
	v_lshrrev_b32_e32 v2, 24, v2
	s_delay_alu instid0(VALU_DEP_1)
	v_and_or_b32 v2, 0x80, v2, v3
	global_store_b8 v[0:1], v2, off
.LBB134_1492:
	s_mov_b32 s20, 0
.LBB134_1493:
	s_delay_alu instid0(SALU_CYCLE_1)
	s_and_not1_b32 vcc_lo, exec_lo, s20
	s_mov_b32 s20, 0
	s_cbranch_vccnz .LBB134_1501
; %bb.1494:
	v_cmp_lt_i16_e32 vcc_lo, 14, v5
	s_mov_b32 s20, -1
	s_cbranch_vccz .LBB134_1498
; %bb.1495:
	v_cmp_eq_u16_e32 vcc_lo, 15, v5
	s_mov_b32 s0, -1
	s_cbranch_vccz .LBB134_1497
; %bb.1496:
	v_cvt_f32_f16_e32 v2, v4
	v_cmp_o_f16_e32 vcc_lo, v4, v4
	s_mov_b32 s0, 0
	s_delay_alu instid0(VALU_DEP_2) | instskip(NEXT) | instid1(VALU_DEP_1)
	v_bfe_u32 v3, v2, 16, 1
	v_add3_u32 v2, v2, v3, 0x7fff
	s_delay_alu instid0(VALU_DEP_1) | instskip(NEXT) | instid1(VALU_DEP_1)
	v_lshrrev_b32_e32 v2, 16, v2
	v_cndmask_b32_e32 v2, 0x7fc0, v2, vcc_lo
	global_store_b16 v[0:1], v2, off
.LBB134_1497:
	s_mov_b32 s20, 0
.LBB134_1498:
	s_delay_alu instid0(SALU_CYCLE_1)
	s_and_b32 vcc_lo, exec_lo, s20
	s_mov_b32 s20, 0
	s_cbranch_vccz .LBB134_1501
; %bb.1499:
	v_cmp_ne_u16_e32 vcc_lo, 11, v5
	s_and_not1_b32 s0, s0, exec_lo
	s_mov_b32 s20, -1
	s_and_b32 s21, vcc_lo, exec_lo
	s_delay_alu instid0(SALU_CYCLE_1)
	s_or_b32 s0, s0, s21
	s_branch .LBB134_1501
.LBB134_1500:
	s_mov_b32 s20, 0
.LBB134_1501:
	s_and_not1_b32 s16, s16, exec_lo
	s_and_b32 s21, s0, exec_lo
	s_and_b32 s19, s19, exec_lo
	;; [unrolled: 1-line block ×3, first 2 shown]
	s_or_b32 s16, s16, s21
.LBB134_1502:
	s_or_b32 exec_lo, exec_lo, s18
	s_and_saveexec_b32 s18, s16
	s_cbranch_execnz .LBB134_1564
; %bb.1503:
	s_or_b32 exec_lo, exec_lo, s18
	s_and_saveexec_b32 s16, s0
	s_delay_alu instid0(SALU_CYCLE_1)
	s_xor_b32 s0, exec_lo, s16
	s_cbranch_execz .LBB134_1505
.LBB134_1504:
	v_cmp_neq_f16_e32 vcc_lo, 0, v4
	v_cndmask_b32_e64 v2, 0, 1, vcc_lo
	global_store_b8 v[0:1], v2, off
.LBB134_1505:
	s_or_b32 exec_lo, exec_lo, s0
	s_and_saveexec_b32 s0, s19
	s_delay_alu instid0(SALU_CYCLE_1)
	s_xor_b32 s0, exec_lo, s0
	s_cbranch_execz .LBB134_1543
; %bb.1506:
	v_cmp_gt_i16_e32 vcc_lo, 5, v5
	s_mov_b32 s16, -1
	s_cbranch_vccnz .LBB134_1527
; %bb.1507:
	v_cmp_gt_i16_e32 vcc_lo, 8, v5
	s_cbranch_vccnz .LBB134_1517
; %bb.1508:
	v_cmp_gt_i16_e32 vcc_lo, 9, v5
	s_cbranch_vccnz .LBB134_1514
; %bb.1509:
	v_cmp_lt_i16_e32 vcc_lo, 9, v5
	s_cbranch_vccz .LBB134_1511
; %bb.1510:
	v_cvt_f32_f16_e32 v2, v4
	v_mov_b32_e32 v8, 0
	s_mov_b32 s16, 0
	s_delay_alu instid0(VALU_DEP_2) | instskip(NEXT) | instid1(VALU_DEP_2)
	v_cvt_f64_f32_e32 v[6:7], v2
	v_mov_b32_e32 v9, v8
	global_store_b128 v[0:1], v[6:9], off
.LBB134_1511:
	s_and_not1_b32 vcc_lo, exec_lo, s16
	s_cbranch_vccnz .LBB134_1513
; %bb.1512:
	v_cvt_f32_f16_e32 v2, v4
	s_waitcnt vmcnt(0)
	v_mov_b32_e32 v3, 0
	global_store_b64 v[0:1], v[2:3], off
.LBB134_1513:
	s_mov_b32 s16, 0
.LBB134_1514:
	s_delay_alu instid0(SALU_CYCLE_1)
	s_and_not1_b32 vcc_lo, exec_lo, s16
	s_cbranch_vccnz .LBB134_1516
; %bb.1515:
	v_and_b32_e32 v2, 0xffff, v4
	global_store_b32 v[0:1], v2, off
.LBB134_1516:
	s_mov_b32 s16, 0
.LBB134_1517:
	s_delay_alu instid0(SALU_CYCLE_1)
	s_and_not1_b32 vcc_lo, exec_lo, s16
	s_cbranch_vccnz .LBB134_1526
; %bb.1518:
	v_cmp_gt_i16_e32 vcc_lo, 6, v5
	s_mov_b32 s16, -1
	s_cbranch_vccnz .LBB134_1524
; %bb.1519:
	v_cmp_lt_i16_e32 vcc_lo, 6, v5
	s_cbranch_vccz .LBB134_1521
; %bb.1520:
	v_cvt_f32_f16_e32 v2, v4
	s_mov_b32 s16, 0
	s_waitcnt vmcnt(0)
	s_delay_alu instid0(VALU_DEP_1)
	v_cvt_f64_f32_e32 v[2:3], v2
	global_store_b64 v[0:1], v[2:3], off
.LBB134_1521:
	s_and_not1_b32 vcc_lo, exec_lo, s16
	s_cbranch_vccnz .LBB134_1523
; %bb.1522:
	v_cvt_f32_f16_e32 v2, v4
	global_store_b32 v[0:1], v2, off
.LBB134_1523:
	s_mov_b32 s16, 0
.LBB134_1524:
	s_delay_alu instid0(SALU_CYCLE_1)
	s_and_not1_b32 vcc_lo, exec_lo, s16
	s_cbranch_vccnz .LBB134_1526
; %bb.1525:
	global_store_b16 v[0:1], v4, off
.LBB134_1526:
	s_mov_b32 s16, 0
.LBB134_1527:
	s_delay_alu instid0(SALU_CYCLE_1)
	s_and_not1_b32 vcc_lo, exec_lo, s16
	s_cbranch_vccnz .LBB134_1543
; %bb.1528:
	v_cmp_gt_i16_e32 vcc_lo, 2, v5
	s_mov_b32 s16, -1
	s_cbranch_vccnz .LBB134_1538
; %bb.1529:
	v_cmp_gt_i16_e32 vcc_lo, 3, v5
	s_cbranch_vccnz .LBB134_1535
; %bb.1530:
	v_cmp_lt_i16_e32 vcc_lo, 3, v5
	s_cbranch_vccz .LBB134_1532
; %bb.1531:
	v_cvt_f32_f16_e32 v2, v4
	s_mov_b32 s16, 0
	s_delay_alu instid0(VALU_DEP_1) | instskip(SKIP_1) | instid1(VALU_DEP_1)
	v_cvt_i32_f32_e32 v2, v2
	s_waitcnt vmcnt(0)
	v_ashrrev_i32_e32 v3, 31, v2
	global_store_b64 v[0:1], v[2:3], off
.LBB134_1532:
	s_and_not1_b32 vcc_lo, exec_lo, s16
	s_cbranch_vccnz .LBB134_1534
; %bb.1533:
	v_cvt_f32_f16_e32 v2, v4
	s_delay_alu instid0(VALU_DEP_1)
	v_cvt_i32_f32_e32 v2, v2
	global_store_b32 v[0:1], v2, off
.LBB134_1534:
	s_mov_b32 s16, 0
.LBB134_1535:
	s_delay_alu instid0(SALU_CYCLE_1)
	s_and_not1_b32 vcc_lo, exec_lo, s16
	s_cbranch_vccnz .LBB134_1537
; %bb.1536:
	v_cvt_i16_f16_e32 v2, v4
	global_store_b16 v[0:1], v2, off
.LBB134_1537:
	s_mov_b32 s16, 0
.LBB134_1538:
	s_delay_alu instid0(SALU_CYCLE_1)
	s_and_not1_b32 vcc_lo, exec_lo, s16
	s_cbranch_vccnz .LBB134_1543
; %bb.1539:
	v_cmp_lt_i16_e32 vcc_lo, 0, v5
	s_mov_b32 s16, -1
	s_cbranch_vccz .LBB134_1541
; %bb.1540:
	v_cvt_i16_f16_e32 v2, v4
	s_mov_b32 s16, 0
	global_store_b8 v[0:1], v2, off
.LBB134_1541:
	s_and_not1_b32 vcc_lo, exec_lo, s16
	s_cbranch_vccnz .LBB134_1543
; %bb.1542:
	v_cvt_f32_f16_e32 v2, v4
	s_delay_alu instid0(VALU_DEP_1)
	v_cvt_i32_f32_e32 v2, v2
	global_store_b8 v[0:1], v2, off
.LBB134_1543:
	s_or_b32 exec_lo, exec_lo, s0
	s_delay_alu instid0(SALU_CYCLE_1)
	s_and_b32 s16, s17, exec_lo
                                        ; implicit-def: $vgpr2
.LBB134_1544:
	s_or_saveexec_b32 s15, s15
	s_mov_b32 s0, 0
                                        ; implicit-def: $vgpr3
                                        ; implicit-def: $vgpr0_vgpr1
                                        ; implicit-def: $vgpr4
	s_xor_b32 exec_lo, exec_lo, s15
	s_cbranch_execz .LBB134_3039
; %bb.1545:
	v_mul_lo_u32 v6, s9, v2
	v_and_b32_e64 v5, 0xff, s14
	s_delay_alu instid0(VALU_DEP_1) | instskip(NEXT) | instid1(VALU_DEP_3)
	v_cmp_gt_i16_e32 vcc_lo, 11, v5
	v_ashrrev_i32_e32 v1, 31, v6
	v_add_co_u32 v0, s0, s6, v6
	s_delay_alu instid0(VALU_DEP_1)
	v_add_co_ci_u32_e64 v1, s0, s7, v1, s0
	s_cbranch_vccnz .LBB134_1552
; %bb.1546:
	v_cmp_lt_i16_e32 vcc_lo, 25, v5
	s_mov_b32 s14, 0
	s_cbranch_vccz .LBB134_1558
; %bb.1547:
	v_cmp_lt_i16_e32 vcc_lo, 28, v5
	s_cbranch_vccz .LBB134_1560
; %bb.1548:
	v_cmp_lt_i16_e32 vcc_lo, 43, v5
	;; [unrolled: 3-line block ×3, first 2 shown]
	s_cbranch_vccz .LBB134_1566
; %bb.1550:
	v_cmp_eq_u16_e32 vcc_lo, 46, v5
	s_cbranch_vccz .LBB134_1606
; %bb.1551:
	global_load_b32 v3, v[0:1], off
	s_mov_b32 s0, 0
	s_mov_b32 s17, -1
	s_waitcnt vmcnt(0)
	v_lshlrev_b32_e32 v3, 16, v3
	s_delay_alu instid0(VALU_DEP_1)
	v_cvt_f16_f32_e32 v3, v3
	s_branch .LBB134_1608
.LBB134_1552:
	s_mov_b32 s17, 0
	s_mov_b32 s13, s16
                                        ; implicit-def: $vgpr3
	s_cbranch_execz .LBB134_1671
; %bb.1553:
	v_cmp_gt_i16_e32 vcc_lo, 5, v5
	s_cbranch_vccnz .LBB134_1559
; %bb.1554:
	v_cmp_gt_i16_e32 vcc_lo, 8, v5
	s_cbranch_vccnz .LBB134_1561
	;; [unrolled: 3-line block ×3, first 2 shown]
; %bb.1556:
	v_cmp_lt_i16_e32 vcc_lo, 9, v5
	s_cbranch_vccz .LBB134_1567
; %bb.1557:
	global_load_b64 v[3:4], v[0:1], off
	s_mov_b32 s0, 0
	s_waitcnt vmcnt(0)
	v_cvt_f32_f64_e32 v3, v[3:4]
	s_delay_alu instid0(VALU_DEP_1)
	v_cvt_f16_f32_e32 v3, v3
	s_branch .LBB134_1568
.LBB134_1558:
	s_mov_b32 s17, 0
	s_mov_b32 s0, 0
                                        ; implicit-def: $vgpr3
	s_cbranch_execnz .LBB134_1636
	s_branch .LBB134_1667
.LBB134_1559:
                                        ; implicit-def: $vgpr3
	s_branch .LBB134_1585
.LBB134_1560:
	s_mov_b32 s13, -1
	s_mov_b32 s17, 0
	s_mov_b32 s0, 0
                                        ; implicit-def: $vgpr3
	s_branch .LBB134_1617
.LBB134_1561:
                                        ; implicit-def: $vgpr3
	s_branch .LBB134_1574
.LBB134_1562:
	s_mov_b32 s17, 0
	s_mov_b32 s0, 0
                                        ; implicit-def: $vgpr3
	s_cbranch_execnz .LBB134_1613
	s_branch .LBB134_1616
.LBB134_1563:
	s_mov_b32 s0, -1
                                        ; implicit-def: $vgpr3
	s_branch .LBB134_1571
.LBB134_1564:
	s_cbranch_execnz .LBB134_1604
; %bb.1565:
	s_or_b32 s17, s17, exec_lo
	s_and_not1_b32 s0, s0, exec_lo
	s_or_b32 exec_lo, exec_lo, s18
	s_and_saveexec_b32 s16, s0
	s_delay_alu instid0(SALU_CYCLE_1)
	s_xor_b32 s0, exec_lo, s16
	s_cbranch_execnz .LBB134_1504
	s_branch .LBB134_1505
.LBB134_1566:
	s_mov_b32 s13, -1
	s_mov_b32 s17, 0
	s_mov_b32 s0, 0
	s_branch .LBB134_1607
.LBB134_1567:
	s_mov_b32 s0, -1
                                        ; implicit-def: $vgpr3
.LBB134_1568:
	s_delay_alu instid0(SALU_CYCLE_1)
	s_and_not1_b32 vcc_lo, exec_lo, s0
	s_cbranch_vccnz .LBB134_1570
; %bb.1569:
	global_load_b32 v3, v[0:1], off
	s_waitcnt vmcnt(0)
	v_cvt_f16_f32_e32 v3, v3
.LBB134_1570:
	s_mov_b32 s0, 0
.LBB134_1571:
	s_delay_alu instid0(SALU_CYCLE_1)
	s_and_not1_b32 vcc_lo, exec_lo, s0
	s_cbranch_vccnz .LBB134_1573
; %bb.1572:
	global_load_b32 v3, v[0:1], off
.LBB134_1573:
	s_cbranch_execnz .LBB134_1584
.LBB134_1574:
	v_cmp_gt_i16_e32 vcc_lo, 6, v5
	s_cbranch_vccnz .LBB134_1577
; %bb.1575:
	v_cmp_lt_i16_e32 vcc_lo, 6, v5
	s_cbranch_vccz .LBB134_1578
; %bb.1576:
	global_load_b64 v[3:4], v[0:1], off
	s_mov_b32 s0, 0
	s_waitcnt vmcnt(0)
	v_cvt_f32_f64_e32 v3, v[3:4]
	s_delay_alu instid0(VALU_DEP_1)
	v_cvt_f16_f32_e32 v3, v3
	s_branch .LBB134_1579
.LBB134_1577:
	s_mov_b32 s0, -1
                                        ; implicit-def: $vgpr3
	s_branch .LBB134_1582
.LBB134_1578:
	s_mov_b32 s0, -1
                                        ; implicit-def: $vgpr3
.LBB134_1579:
	s_delay_alu instid0(SALU_CYCLE_1)
	s_and_not1_b32 vcc_lo, exec_lo, s0
	s_cbranch_vccnz .LBB134_1581
; %bb.1580:
	global_load_b32 v3, v[0:1], off
	s_waitcnt vmcnt(0)
	v_cvt_f16_f32_e32 v3, v3
.LBB134_1581:
	s_mov_b32 s0, 0
.LBB134_1582:
	s_delay_alu instid0(SALU_CYCLE_1)
	s_and_not1_b32 vcc_lo, exec_lo, s0
	s_cbranch_vccnz .LBB134_1584
; %bb.1583:
	global_load_u16 v3, v[0:1], off
.LBB134_1584:
	s_cbranch_execnz .LBB134_1603
.LBB134_1585:
	v_cmp_gt_i16_e32 vcc_lo, 2, v5
	s_cbranch_vccnz .LBB134_1589
; %bb.1586:
	v_cmp_gt_i16_e32 vcc_lo, 3, v5
	s_cbranch_vccnz .LBB134_1590
; %bb.1587:
	v_cmp_lt_i16_e32 vcc_lo, 3, v5
	s_cbranch_vccz .LBB134_1591
; %bb.1588:
	global_load_b64 v[3:4], v[0:1], off
	s_mov_b32 s0, 0
	s_waitcnt vmcnt(0)
	v_xor_b32_e32 v7, v3, v4
	v_cls_i32_e32 v8, v4
	s_delay_alu instid0(VALU_DEP_2) | instskip(NEXT) | instid1(VALU_DEP_2)
	v_ashrrev_i32_e32 v7, 31, v7
	v_add_nc_u32_e32 v8, -1, v8
	s_delay_alu instid0(VALU_DEP_2) | instskip(NEXT) | instid1(VALU_DEP_1)
	v_add_nc_u32_e32 v7, 32, v7
	v_min_u32_e32 v7, v8, v7
	s_delay_alu instid0(VALU_DEP_1) | instskip(NEXT) | instid1(VALU_DEP_1)
	v_lshlrev_b64 v[3:4], v7, v[3:4]
	v_min_u32_e32 v3, 1, v3
	s_delay_alu instid0(VALU_DEP_1) | instskip(SKIP_1) | instid1(VALU_DEP_2)
	v_or_b32_e32 v3, v4, v3
	v_sub_nc_u32_e32 v4, 32, v7
	v_cvt_f32_i32_e32 v3, v3
	s_delay_alu instid0(VALU_DEP_1) | instskip(NEXT) | instid1(VALU_DEP_1)
	v_ldexp_f32 v3, v3, v4
	v_cvt_f16_f32_e32 v3, v3
	s_branch .LBB134_1592
.LBB134_1589:
                                        ; implicit-def: $vgpr3
	s_branch .LBB134_1598
.LBB134_1590:
	s_mov_b32 s0, -1
                                        ; implicit-def: $vgpr3
	s_branch .LBB134_1595
.LBB134_1591:
	s_mov_b32 s0, -1
                                        ; implicit-def: $vgpr3
.LBB134_1592:
	s_delay_alu instid0(SALU_CYCLE_1)
	s_and_not1_b32 vcc_lo, exec_lo, s0
	s_cbranch_vccnz .LBB134_1594
; %bb.1593:
	global_load_b32 v3, v[0:1], off
	s_waitcnt vmcnt(0)
	v_cvt_f32_i32_e32 v3, v3
	s_delay_alu instid0(VALU_DEP_1)
	v_cvt_f16_f32_e32 v3, v3
.LBB134_1594:
	s_mov_b32 s0, 0
.LBB134_1595:
	s_delay_alu instid0(SALU_CYCLE_1)
	s_and_not1_b32 vcc_lo, exec_lo, s0
	s_cbranch_vccnz .LBB134_1597
; %bb.1596:
	global_load_u16 v3, v[0:1], off
	s_waitcnt vmcnt(0)
	v_cvt_f16_i16_e32 v3, v3
.LBB134_1597:
	s_cbranch_execnz .LBB134_1603
.LBB134_1598:
	v_cmp_lt_i16_e32 vcc_lo, 0, v5
	s_mov_b32 s0, 0
	s_cbranch_vccz .LBB134_1600
; %bb.1599:
	global_load_i8 v3, v[0:1], off
	s_waitcnt vmcnt(0)
	v_cvt_f16_i16_e32 v3, v3
	s_branch .LBB134_1601
.LBB134_1600:
	s_mov_b32 s0, -1
                                        ; implicit-def: $vgpr3
.LBB134_1601:
	s_delay_alu instid0(SALU_CYCLE_1)
	s_and_not1_b32 vcc_lo, exec_lo, s0
	s_cbranch_vccnz .LBB134_1603
; %bb.1602:
	global_load_u8 v0, v[0:1], off
	s_waitcnt vmcnt(0)
	v_cvt_f16_u16_e32 v3, v0
.LBB134_1603:
	s_branch .LBB134_1672
.LBB134_1604:
	s_trap 2
	s_sendmsg_rtn_b32 s0, sendmsg(MSG_RTN_GET_DOORBELL)
	s_mov_b32 ttmp2, m0
	s_waitcnt lgkmcnt(0)
	s_and_b32 s0, s0, 0x3ff
	s_delay_alu instid0(SALU_CYCLE_1) | instskip(NEXT) | instid1(SALU_CYCLE_1)
	s_bitset1_b32 s0, 10
	s_mov_b32 m0, s0
	s_sendmsg sendmsg(MSG_INTERRUPT)
	s_mov_b32 m0, ttmp2
.LBB134_1605:                           ; =>This Inner Loop Header: Depth=1
	s_sethalt 5
	s_branch .LBB134_1605
.LBB134_1606:
	s_mov_b32 s0, -1
	s_mov_b32 s17, 0
.LBB134_1607:
                                        ; implicit-def: $vgpr3
.LBB134_1608:
	s_and_b32 vcc_lo, exec_lo, s13
	s_cbranch_vccz .LBB134_1611
; %bb.1609:
	v_cmp_eq_u16_e32 vcc_lo, 44, v5
	s_cbranch_vccz .LBB134_1612
; %bb.1610:
	global_load_u8 v3, v[0:1], off
	s_mov_b32 s0, 0
	s_mov_b32 s17, -1
	s_waitcnt vmcnt(0)
	v_lshlrev_b32_e32 v4, 23, v3
	v_cmp_ne_u32_e32 vcc_lo, 0xff, v3
	s_delay_alu instid0(VALU_DEP_2) | instskip(NEXT) | instid1(VALU_DEP_1)
	v_cvt_f16_f32_e32 v4, v4
	v_cndmask_b32_e32 v4, 0x7e00, v4, vcc_lo
	v_cmp_ne_u32_e32 vcc_lo, 0, v3
	s_delay_alu instid0(VALU_DEP_2)
	v_cndmask_b32_e32 v3, 0, v4, vcc_lo
.LBB134_1611:
	s_branch .LBB134_1616
.LBB134_1612:
	s_mov_b32 s0, -1
                                        ; implicit-def: $vgpr3
	s_branch .LBB134_1616
.LBB134_1613:
	v_cmp_eq_u16_e32 vcc_lo, 29, v5
	s_cbranch_vccz .LBB134_1615
; %bb.1614:
	global_load_b64 v[3:4], v[0:1], off
	s_mov_b32 s0, 0
	s_mov_b32 s17, -1
	s_mov_b32 s13, 0
	s_waitcnt vmcnt(0)
	v_clz_i32_u32_e32 v7, v4
	s_delay_alu instid0(VALU_DEP_1) | instskip(NEXT) | instid1(VALU_DEP_1)
	v_min_u32_e32 v7, 32, v7
	v_lshlrev_b64 v[3:4], v7, v[3:4]
	s_delay_alu instid0(VALU_DEP_1) | instskip(NEXT) | instid1(VALU_DEP_1)
	v_min_u32_e32 v3, 1, v3
	v_or_b32_e32 v3, v4, v3
	v_sub_nc_u32_e32 v4, 32, v7
	s_delay_alu instid0(VALU_DEP_2) | instskip(NEXT) | instid1(VALU_DEP_1)
	v_cvt_f32_u32_e32 v3, v3
	v_ldexp_f32 v3, v3, v4
	s_delay_alu instid0(VALU_DEP_1)
	v_cvt_f16_f32_e32 v3, v3
	s_branch .LBB134_1617
.LBB134_1615:
	s_mov_b32 s0, -1
                                        ; implicit-def: $vgpr3
.LBB134_1616:
	s_mov_b32 s13, 0
.LBB134_1617:
	s_delay_alu instid0(SALU_CYCLE_1)
	s_and_b32 vcc_lo, exec_lo, s13
	s_cbranch_vccz .LBB134_1635
; %bb.1618:
	v_cmp_gt_i16_e32 vcc_lo, 27, v5
	s_cbranch_vccnz .LBB134_1621
; %bb.1619:
	v_cmp_lt_i16_e32 vcc_lo, 27, v5
	s_cbranch_vccz .LBB134_1622
; %bb.1620:
	global_load_b32 v3, v[0:1], off
	s_mov_b32 s13, 0
	s_waitcnt vmcnt(0)
	v_cvt_f32_u32_e32 v3, v3
	s_delay_alu instid0(VALU_DEP_1)
	v_cvt_f16_f32_e32 v3, v3
	s_branch .LBB134_1623
.LBB134_1621:
	s_mov_b32 s13, -1
                                        ; implicit-def: $vgpr3
	s_branch .LBB134_1626
.LBB134_1622:
	s_mov_b32 s13, -1
                                        ; implicit-def: $vgpr3
.LBB134_1623:
	s_delay_alu instid0(SALU_CYCLE_1)
	s_and_not1_b32 vcc_lo, exec_lo, s13
	s_cbranch_vccnz .LBB134_1625
; %bb.1624:
	global_load_u16 v3, v[0:1], off
	s_waitcnt vmcnt(0)
	v_cvt_f16_u16_e32 v3, v3
.LBB134_1625:
	s_mov_b32 s13, 0
.LBB134_1626:
	s_delay_alu instid0(SALU_CYCLE_1)
	s_and_not1_b32 vcc_lo, exec_lo, s13
	s_cbranch_vccnz .LBB134_1634
; %bb.1627:
	global_load_u8 v4, v[0:1], off
	s_mov_b32 s13, 0
	s_mov_b32 s18, exec_lo
                                        ; implicit-def: $sgpr17
	s_waitcnt vmcnt(0)
	v_cmpx_lt_i16_e32 0x7f, v4
	s_xor_b32 s18, exec_lo, s18
	s_cbranch_execz .LBB134_1647
; %bb.1628:
	s_mov_b32 s13, -1
	s_mov_b32 s19, exec_lo
                                        ; implicit-def: $sgpr17
	v_cmpx_eq_u16_e32 0x80, v4
; %bb.1629:
	s_movk_i32 s17, 0x7e00
	s_xor_b32 s13, exec_lo, -1
; %bb.1630:
	s_or_b32 exec_lo, exec_lo, s19
	s_delay_alu instid0(SALU_CYCLE_1)
	s_and_b32 s13, s13, exec_lo
	s_or_saveexec_b32 s18, s18
	v_mov_b32_e32 v3, s17
	s_xor_b32 exec_lo, exec_lo, s18
	s_cbranch_execnz .LBB134_1648
.LBB134_1631:
	s_or_b32 exec_lo, exec_lo, s18
	s_and_saveexec_b32 s17, s13
	s_cbranch_execz .LBB134_1633
.LBB134_1632:
	v_and_b32_e32 v3, 0xffff, v4
	s_delay_alu instid0(VALU_DEP_1) | instskip(NEXT) | instid1(VALU_DEP_1)
	v_and_b32_e32 v7, 7, v3
	v_clz_i32_u32_e32 v8, v7
	s_delay_alu instid0(VALU_DEP_1) | instskip(NEXT) | instid1(VALU_DEP_1)
	v_min_u32_e32 v8, 32, v8
	v_subrev_nc_u32_e32 v9, 28, v8
	v_sub_nc_u32_e32 v8, 29, v8
	s_delay_alu instid0(VALU_DEP_2) | instskip(SKIP_1) | instid1(VALU_DEP_2)
	v_lshlrev_b32_e32 v9, v9, v3
	v_bfe_u32 v3, v3, 3, 4
	v_and_b32_e32 v9, 7, v9
	s_delay_alu instid0(VALU_DEP_2) | instskip(NEXT) | instid1(VALU_DEP_2)
	v_cmp_eq_u32_e32 vcc_lo, 0, v3
	v_dual_cndmask_b32 v7, v7, v9 :: v_dual_lshlrev_b32 v4, 24, v4
	v_cndmask_b32_e32 v3, v3, v8, vcc_lo
	s_delay_alu instid0(VALU_DEP_2) | instskip(NEXT) | instid1(VALU_DEP_3)
	v_and_b32_e32 v4, 0x80000000, v4
	v_lshlrev_b32_e32 v7, 20, v7
	s_delay_alu instid0(VALU_DEP_3) | instskip(NEXT) | instid1(VALU_DEP_1)
	v_lshl_add_u32 v3, v3, 23, 0x3b800000
	v_or3_b32 v3, v4, v3, v7
	s_delay_alu instid0(VALU_DEP_1)
	v_cvt_f16_f32_e32 v3, v3
.LBB134_1633:
	s_or_b32 exec_lo, exec_lo, s17
.LBB134_1634:
	s_mov_b32 s17, -1
.LBB134_1635:
	s_branch .LBB134_1667
.LBB134_1636:
	v_cmp_lt_i16_e32 vcc_lo, 22, v5
	s_cbranch_vccz .LBB134_1646
; %bb.1637:
	v_cmp_gt_i16_e32 vcc_lo, 24, v5
	s_cbranch_vccnz .LBB134_1649
; %bb.1638:
	v_cmp_lt_i16_e32 vcc_lo, 24, v5
	s_cbranch_vccz .LBB134_1650
; %bb.1639:
	global_load_u8 v4, v[0:1], off
	s_mov_b32 s13, 0
	s_mov_b32 s17, exec_lo
                                        ; implicit-def: $sgpr14
	s_waitcnt vmcnt(0)
	v_cmpx_lt_i16_e32 0x7f, v4
	s_xor_b32 s17, exec_lo, s17
	s_cbranch_execz .LBB134_1661
; %bb.1640:
	s_mov_b32 s13, -1
	s_mov_b32 s18, exec_lo
                                        ; implicit-def: $sgpr14
	v_cmpx_eq_u16_e32 0x80, v4
; %bb.1641:
	s_movk_i32 s14, 0x7e00
	s_xor_b32 s13, exec_lo, -1
; %bb.1642:
	s_or_b32 exec_lo, exec_lo, s18
	s_delay_alu instid0(SALU_CYCLE_1)
	s_and_b32 s13, s13, exec_lo
	s_or_saveexec_b32 s17, s17
	v_mov_b32_e32 v3, s14
	s_xor_b32 exec_lo, exec_lo, s17
	s_cbranch_execnz .LBB134_1662
.LBB134_1643:
	s_or_b32 exec_lo, exec_lo, s17
	s_and_saveexec_b32 s14, s13
	s_cbranch_execz .LBB134_1645
.LBB134_1644:
	v_and_b32_e32 v3, 0xffff, v4
	s_delay_alu instid0(VALU_DEP_1) | instskip(NEXT) | instid1(VALU_DEP_1)
	v_and_b32_e32 v7, 3, v3
	v_clz_i32_u32_e32 v8, v7
	s_delay_alu instid0(VALU_DEP_1) | instskip(NEXT) | instid1(VALU_DEP_1)
	v_min_u32_e32 v8, 32, v8
	v_subrev_nc_u32_e32 v9, 29, v8
	v_sub_nc_u32_e32 v8, 30, v8
	s_delay_alu instid0(VALU_DEP_2) | instskip(SKIP_1) | instid1(VALU_DEP_2)
	v_lshlrev_b32_e32 v9, v9, v3
	v_bfe_u32 v3, v3, 2, 5
	v_and_b32_e32 v9, 3, v9
	s_delay_alu instid0(VALU_DEP_2) | instskip(NEXT) | instid1(VALU_DEP_2)
	v_cmp_eq_u32_e32 vcc_lo, 0, v3
	v_dual_cndmask_b32 v7, v7, v9 :: v_dual_lshlrev_b32 v4, 24, v4
	v_cndmask_b32_e32 v3, v3, v8, vcc_lo
	s_delay_alu instid0(VALU_DEP_2) | instskip(NEXT) | instid1(VALU_DEP_3)
	v_and_b32_e32 v4, 0x80000000, v4
	v_lshlrev_b32_e32 v7, 21, v7
	s_delay_alu instid0(VALU_DEP_3) | instskip(NEXT) | instid1(VALU_DEP_1)
	v_lshl_add_u32 v3, v3, 23, 0x37800000
	v_or3_b32 v3, v4, v3, v7
	s_delay_alu instid0(VALU_DEP_1)
	v_cvt_f16_f32_e32 v3, v3
.LBB134_1645:
	s_or_b32 exec_lo, exec_lo, s14
	s_mov_b32 s13, 0
	s_branch .LBB134_1651
.LBB134_1646:
                                        ; implicit-def: $vgpr3
	s_mov_b32 s14, 0
	s_branch .LBB134_1657
.LBB134_1647:
	s_or_saveexec_b32 s18, s18
	v_mov_b32_e32 v3, s17
	s_xor_b32 exec_lo, exec_lo, s18
	s_cbranch_execz .LBB134_1631
.LBB134_1648:
	v_cmp_ne_u16_e32 vcc_lo, 0, v4
	v_mov_b32_e32 v3, v4
	s_and_not1_b32 s13, s13, exec_lo
	s_and_b32 s17, vcc_lo, exec_lo
	s_delay_alu instid0(SALU_CYCLE_1)
	s_or_b32 s13, s13, s17
	s_or_b32 exec_lo, exec_lo, s18
	s_and_saveexec_b32 s17, s13
	s_cbranch_execnz .LBB134_1632
	s_branch .LBB134_1633
.LBB134_1649:
	s_mov_b32 s13, -1
                                        ; implicit-def: $vgpr3
	s_branch .LBB134_1654
.LBB134_1650:
	s_mov_b32 s13, -1
                                        ; implicit-def: $vgpr3
.LBB134_1651:
	s_delay_alu instid0(SALU_CYCLE_1)
	s_and_b32 vcc_lo, exec_lo, s13
	s_cbranch_vccz .LBB134_1653
; %bb.1652:
	global_load_u8 v3, v[0:1], off
	s_waitcnt vmcnt(0)
	v_lshlrev_b32_e32 v3, 24, v3
	s_delay_alu instid0(VALU_DEP_1) | instskip(NEXT) | instid1(VALU_DEP_1)
	v_and_b32_e32 v4, 0x7f000000, v3
	v_clz_i32_u32_e32 v7, v4
	v_cmp_ne_u32_e32 vcc_lo, 0, v4
	v_add_nc_u32_e32 v9, 0x1000000, v4
	s_delay_alu instid0(VALU_DEP_3) | instskip(NEXT) | instid1(VALU_DEP_1)
	v_min_u32_e32 v7, 32, v7
	v_sub_nc_u32_e64 v7, v7, 4 clamp
	s_delay_alu instid0(VALU_DEP_1) | instskip(SKIP_1) | instid1(VALU_DEP_2)
	v_lshlrev_b32_e32 v8, v7, v4
	v_lshlrev_b32_e32 v7, 23, v7
	v_lshrrev_b32_e32 v8, 4, v8
	s_delay_alu instid0(VALU_DEP_1) | instskip(SKIP_1) | instid1(VALU_DEP_2)
	v_sub_nc_u32_e32 v7, v8, v7
	v_ashrrev_i32_e32 v8, 8, v9
	v_add_nc_u32_e32 v7, 0x3c000000, v7
	s_delay_alu instid0(VALU_DEP_1) | instskip(NEXT) | instid1(VALU_DEP_1)
	v_and_or_b32 v7, 0x7f800000, v8, v7
	v_cndmask_b32_e32 v4, 0, v7, vcc_lo
	s_delay_alu instid0(VALU_DEP_1) | instskip(NEXT) | instid1(VALU_DEP_1)
	v_and_or_b32 v3, 0x80000000, v3, v4
	v_cvt_f16_f32_e32 v3, v3
.LBB134_1653:
	s_mov_b32 s13, 0
.LBB134_1654:
	s_delay_alu instid0(SALU_CYCLE_1)
	s_and_not1_b32 vcc_lo, exec_lo, s13
	s_cbranch_vccnz .LBB134_1656
; %bb.1655:
	global_load_u8 v3, v[0:1], off
	s_waitcnt vmcnt(0)
	v_lshlrev_b32_e32 v4, 25, v3
	v_lshlrev_b16 v3, 8, v3
	s_delay_alu instid0(VALU_DEP_2) | instskip(NEXT) | instid1(VALU_DEP_2)
	v_lshrrev_b32_e32 v7, 4, v4
	v_and_or_b32 v8, 0x7f00, v3, 0.5
	v_cmp_gt_u32_e32 vcc_lo, 0x8000000, v4
	v_bfe_i32 v3, v3, 0, 16
	s_delay_alu instid0(VALU_DEP_4) | instskip(NEXT) | instid1(VALU_DEP_1)
	v_or_b32_e32 v7, 0x70000000, v7
	v_dual_add_f32 v8, -0.5, v8 :: v_dual_mul_f32 v7, 0x7800000, v7
	s_delay_alu instid0(VALU_DEP_1) | instskip(NEXT) | instid1(VALU_DEP_1)
	v_cndmask_b32_e32 v4, v7, v8, vcc_lo
	v_and_or_b32 v3, 0x80000000, v3, v4
	s_delay_alu instid0(VALU_DEP_1)
	v_cvt_f16_f32_e32 v3, v3
.LBB134_1656:
	s_mov_b32 s17, -1
	s_mov_b32 s14, 0
	s_cbranch_execnz .LBB134_1667
.LBB134_1657:
	v_cmp_lt_i16_e32 vcc_lo, 14, v5
	s_cbranch_vccz .LBB134_1660
; %bb.1658:
	v_cmp_eq_u16_e32 vcc_lo, 15, v5
	s_cbranch_vccz .LBB134_1663
; %bb.1659:
	global_load_u16 v3, v[0:1], off
	s_mov_b32 s0, 0
	s_mov_b32 s17, -1
	s_waitcnt vmcnt(0)
	v_lshlrev_b32_e32 v3, 16, v3
	s_delay_alu instid0(VALU_DEP_1)
	v_cvt_f16_f32_e32 v3, v3
	s_branch .LBB134_1664
.LBB134_1660:
	s_mov_b32 s13, -1
                                        ; implicit-def: $vgpr3
	s_branch .LBB134_1665
.LBB134_1661:
	s_or_saveexec_b32 s17, s17
	v_mov_b32_e32 v3, s14
	s_xor_b32 exec_lo, exec_lo, s17
	s_cbranch_execz .LBB134_1643
.LBB134_1662:
	v_cmp_ne_u16_e32 vcc_lo, 0, v4
	v_mov_b32_e32 v3, v4
	s_and_not1_b32 s13, s13, exec_lo
	s_and_b32 s14, vcc_lo, exec_lo
	s_delay_alu instid0(SALU_CYCLE_1)
	s_or_b32 s13, s13, s14
	s_or_b32 exec_lo, exec_lo, s17
	s_and_saveexec_b32 s14, s13
	s_cbranch_execnz .LBB134_1644
	s_branch .LBB134_1645
.LBB134_1663:
	s_mov_b32 s0, -1
                                        ; implicit-def: $vgpr3
.LBB134_1664:
	s_mov_b32 s13, 0
.LBB134_1665:
	s_delay_alu instid0(SALU_CYCLE_1)
	s_and_b32 vcc_lo, exec_lo, s13
	s_cbranch_vccz .LBB134_1667
; %bb.1666:
	v_cmp_ne_u16_e64 s0, 11, v5
	s_mov_b32 s14, -1
                                        ; implicit-def: $vgpr3
.LBB134_1667:
	s_delay_alu instid0(VALU_DEP_1)
	s_and_b32 vcc_lo, exec_lo, s0
	s_mov_b32 s13, s16
	s_cbranch_vccnz .LBB134_1691
; %bb.1668:
	s_and_not1_b32 vcc_lo, exec_lo, s14
	s_cbranch_vccnz .LBB134_1670
.LBB134_1669:
	global_load_u8 v3, v[0:1], off
	s_mov_b32 s17, -1
	s_waitcnt vmcnt(0)
	v_cmp_ne_u16_e32 vcc_lo, 0, v3
	v_cndmask_b32_e64 v3, 0, 0x3c00, vcc_lo
.LBB134_1670:
.LBB134_1671:
	s_and_not1_b32 vcc_lo, exec_lo, s17
	s_cbranch_vccnz .LBB134_3037
.LBB134_1672:
	v_mul_lo_u32 v7, s10, v2
	v_and_b32_e64 v4, 0xff, s1
	s_delay_alu instid0(VALU_DEP_1) | instskip(NEXT) | instid1(VALU_DEP_3)
	v_cmp_gt_i16_e32 vcc_lo, 11, v4
	v_ashrrev_i32_e32 v1, 31, v7
	v_add_co_u32 v0, s0, s2, v7
	s_delay_alu instid0(VALU_DEP_1)
	v_add_co_ci_u32_e64 v1, s0, s3, v1, s0
	s_cbranch_vccnz .LBB134_1679
; %bb.1673:
	v_cmp_lt_i16_e32 vcc_lo, 25, v4
	s_mov_b32 s0, 0
	s_cbranch_vccz .LBB134_1685
; %bb.1674:
	v_cmp_lt_i16_e32 vcc_lo, 28, v4
	s_cbranch_vccz .LBB134_1687
; %bb.1675:
	v_cmp_lt_i16_e32 vcc_lo, 43, v4
	;; [unrolled: 3-line block ×3, first 2 shown]
	s_cbranch_vccz .LBB134_1693
; %bb.1677:
	v_cmp_eq_u16_e32 vcc_lo, 46, v4
	s_mov_b32 s18, 0
	s_cbranch_vccz .LBB134_1737
; %bb.1678:
	global_load_b32 v8, v[0:1], off
	s_mov_b32 s14, 0
	s_mov_b32 s17, -1
	s_waitcnt vmcnt(0)
	v_and_b32_e32 v8, 0x7fff7fff, v8
	s_delay_alu instid0(VALU_DEP_1)
	v_cmp_ne_u32_e32 vcc_lo, 0, v8
	s_and_b32 s1, vcc_lo, exec_lo
	s_branch .LBB134_1739
.LBB134_1679:
	s_mov_b32 s17, 0
                                        ; implicit-def: $sgpr1
	s_cbranch_execz .LBB134_1802
; %bb.1680:
	v_cmp_gt_i16_e32 vcc_lo, 5, v4
	s_cbranch_vccnz .LBB134_1686
; %bb.1681:
	v_cmp_gt_i16_e32 vcc_lo, 8, v4
	s_cbranch_vccnz .LBB134_1688
	;; [unrolled: 3-line block ×3, first 2 shown]
; %bb.1683:
	v_cmp_lt_i16_e32 vcc_lo, 9, v4
	s_cbranch_vccz .LBB134_1696
; %bb.1684:
	global_load_b128 v[8:11], v[0:1], off
	s_waitcnt vmcnt(0)
	v_cmp_neq_f64_e32 vcc_lo, 0, v[8:9]
	v_cmp_neq_f64_e64 s0, 0, v[10:11]
	s_delay_alu instid0(VALU_DEP_1)
	s_or_b32 s1, vcc_lo, s0
	s_mov_b32 s0, 0
	s_and_b32 s1, s1, exec_lo
	s_branch .LBB134_1697
.LBB134_1685:
	s_mov_b32 s17, 0
	s_mov_b32 s14, 0
                                        ; implicit-def: $sgpr1
	s_cbranch_execnz .LBB134_1766
	s_branch .LBB134_1798
.LBB134_1686:
                                        ; implicit-def: $sgpr1
	s_branch .LBB134_1715
.LBB134_1687:
	s_mov_b32 s18, -1
	s_mov_b32 s17, 0
	s_mov_b32 s14, 0
                                        ; implicit-def: $sgpr1
	s_branch .LBB134_1747
.LBB134_1688:
	s_mov_b32 s0, -1
                                        ; implicit-def: $sgpr1
	s_branch .LBB134_1703
.LBB134_1689:
	s_mov_b32 s18, -1
	s_mov_b32 s17, 0
	s_mov_b32 s14, 0
                                        ; implicit-def: $sgpr1
	s_branch .LBB134_1742
.LBB134_1690:
	s_mov_b32 s0, -1
                                        ; implicit-def: $sgpr1
	s_branch .LBB134_1700
.LBB134_1691:
	s_cbranch_execnz .LBB134_1735
; %bb.1692:
	s_or_b32 s13, s16, exec_lo
                                        ; implicit-def: $vgpr3
	s_cbranch_execz .LBB134_1669
	s_branch .LBB134_1670
.LBB134_1693:
	s_mov_b32 s18, -1
	s_mov_b32 s17, 0
	s_mov_b32 s14, 0
	s_branch .LBB134_1738
.LBB134_1694:
	s_or_saveexec_b32 s21, s21
                                        ; implicit-def: $sgpr22
	s_delay_alu instid0(SALU_CYCLE_1)
	s_xor_b32 exec_lo, exec_lo, s21
	s_cbranch_execz .LBB134_1455
.LBB134_1695:
	v_add_f32_e64 v3, 0x46000000, |v2|
	s_and_not1_b32 s20, s20, exec_lo
	s_mov_b32 s22, 0
	s_delay_alu instid0(VALU_DEP_1) | instskip(NEXT) | instid1(VALU_DEP_1)
	v_and_b32_e32 v3, 0xff, v3
	v_cmp_ne_u32_e32 vcc_lo, 0, v3
	s_and_b32 s23, vcc_lo, exec_lo
	s_delay_alu instid0(SALU_CYCLE_1)
	s_or_b32 s20, s20, s23
	s_or_b32 exec_lo, exec_lo, s21
	v_mov_b32_e32 v6, s22
	s_and_saveexec_b32 s21, s20
	s_cbranch_execnz .LBB134_1456
	s_branch .LBB134_1457
.LBB134_1696:
	s_mov_b32 s0, -1
                                        ; implicit-def: $sgpr1
.LBB134_1697:
	s_delay_alu instid0(SALU_CYCLE_1)
	s_and_not1_b32 vcc_lo, exec_lo, s0
	s_cbranch_vccnz .LBB134_1699
; %bb.1698:
	global_load_b64 v[8:9], v[0:1], off
	s_and_not1_b32 s0, s1, exec_lo
	s_waitcnt vmcnt(0)
	v_or_b32_e32 v8, v8, v9
	s_delay_alu instid0(VALU_DEP_1) | instskip(NEXT) | instid1(VALU_DEP_1)
	v_and_b32_e32 v8, 0x7fffffff, v8
	v_cmp_ne_u32_e32 vcc_lo, 0, v8
	s_and_b32 s1, vcc_lo, exec_lo
	s_delay_alu instid0(SALU_CYCLE_1)
	s_or_b32 s1, s0, s1
.LBB134_1699:
	s_mov_b32 s0, 0
.LBB134_1700:
	s_delay_alu instid0(SALU_CYCLE_1)
	s_and_not1_b32 vcc_lo, exec_lo, s0
	s_cbranch_vccnz .LBB134_1702
; %bb.1701:
	global_load_b32 v8, v[0:1], off
	s_and_not1_b32 s0, s1, exec_lo
	s_waitcnt vmcnt(0)
	v_and_b32_e32 v8, 0x7fff7fff, v8
	s_delay_alu instid0(VALU_DEP_1) | instskip(SKIP_1) | instid1(SALU_CYCLE_1)
	v_cmp_ne_u32_e32 vcc_lo, 0, v8
	s_and_b32 s1, vcc_lo, exec_lo
	s_or_b32 s1, s0, s1
.LBB134_1702:
	s_mov_b32 s0, 0
.LBB134_1703:
	s_delay_alu instid0(SALU_CYCLE_1)
	s_and_not1_b32 vcc_lo, exec_lo, s0
	s_cbranch_vccnz .LBB134_1714
; %bb.1704:
	v_cmp_gt_i16_e32 vcc_lo, 6, v4
	s_cbranch_vccnz .LBB134_1707
; %bb.1705:
	v_cmp_lt_i16_e32 vcc_lo, 6, v4
	s_cbranch_vccz .LBB134_1708
; %bb.1706:
	global_load_b64 v[8:9], v[0:1], off
	s_mov_b32 s0, 0
	s_waitcnt vmcnt(0)
	v_cmp_neq_f64_e32 vcc_lo, 0, v[8:9]
	s_and_b32 s1, vcc_lo, exec_lo
	s_branch .LBB134_1709
.LBB134_1707:
	s_mov_b32 s0, -1
                                        ; implicit-def: $sgpr1
	s_branch .LBB134_1712
.LBB134_1708:
	s_mov_b32 s0, -1
                                        ; implicit-def: $sgpr1
.LBB134_1709:
	s_delay_alu instid0(SALU_CYCLE_1)
	s_and_not1_b32 vcc_lo, exec_lo, s0
	s_cbranch_vccnz .LBB134_1711
; %bb.1710:
	global_load_b32 v8, v[0:1], off
	s_and_not1_b32 s0, s1, exec_lo
	s_waitcnt vmcnt(0)
	v_cmp_neq_f32_e32 vcc_lo, 0, v8
	s_and_b32 s1, vcc_lo, exec_lo
	s_delay_alu instid0(SALU_CYCLE_1)
	s_or_b32 s1, s0, s1
.LBB134_1711:
	s_mov_b32 s0, 0
.LBB134_1712:
	s_delay_alu instid0(SALU_CYCLE_1)
	s_and_not1_b32 vcc_lo, exec_lo, s0
	s_cbranch_vccnz .LBB134_1714
; %bb.1713:
	global_load_u16 v8, v[0:1], off
	s_and_not1_b32 s0, s1, exec_lo
	s_waitcnt vmcnt(0)
	v_and_b32_e32 v8, 0x7fff, v8
	s_delay_alu instid0(VALU_DEP_1) | instskip(SKIP_1) | instid1(SALU_CYCLE_1)
	v_cmp_ne_u16_e32 vcc_lo, 0, v8
	s_and_b32 s1, vcc_lo, exec_lo
	s_or_b32 s1, s0, s1
.LBB134_1714:
	s_cbranch_execnz .LBB134_1734
.LBB134_1715:
	v_cmp_gt_i16_e32 vcc_lo, 2, v4
	s_cbranch_vccnz .LBB134_1719
; %bb.1716:
	v_cmp_gt_i16_e32 vcc_lo, 3, v4
	s_cbranch_vccnz .LBB134_1720
; %bb.1717:
	v_cmp_lt_i16_e32 vcc_lo, 3, v4
	s_cbranch_vccz .LBB134_1721
; %bb.1718:
	global_load_b64 v[8:9], v[0:1], off
	s_mov_b32 s0, 0
	s_waitcnt vmcnt(0)
	v_cmp_ne_u64_e32 vcc_lo, 0, v[8:9]
	s_and_b32 s1, vcc_lo, exec_lo
	s_branch .LBB134_1722
.LBB134_1719:
	s_mov_b32 s0, -1
                                        ; implicit-def: $sgpr1
	s_branch .LBB134_1728
.LBB134_1720:
	s_mov_b32 s0, -1
                                        ; implicit-def: $sgpr1
	s_branch .LBB134_1725
.LBB134_1721:
	s_mov_b32 s0, -1
                                        ; implicit-def: $sgpr1
.LBB134_1722:
	s_delay_alu instid0(SALU_CYCLE_1)
	s_and_not1_b32 vcc_lo, exec_lo, s0
	s_cbranch_vccnz .LBB134_1724
; %bb.1723:
	global_load_b32 v8, v[0:1], off
	s_and_not1_b32 s0, s1, exec_lo
	s_waitcnt vmcnt(0)
	v_cmp_ne_u32_e32 vcc_lo, 0, v8
	s_and_b32 s1, vcc_lo, exec_lo
	s_delay_alu instid0(SALU_CYCLE_1)
	s_or_b32 s1, s0, s1
.LBB134_1724:
	s_mov_b32 s0, 0
.LBB134_1725:
	s_delay_alu instid0(SALU_CYCLE_1)
	s_and_not1_b32 vcc_lo, exec_lo, s0
	s_cbranch_vccnz .LBB134_1727
; %bb.1726:
	global_load_u16 v8, v[0:1], off
	s_and_not1_b32 s0, s1, exec_lo
	s_waitcnt vmcnt(0)
	v_cmp_ne_u16_e32 vcc_lo, 0, v8
	s_and_b32 s1, vcc_lo, exec_lo
	s_delay_alu instid0(SALU_CYCLE_1)
	s_or_b32 s1, s0, s1
.LBB134_1727:
	s_mov_b32 s0, 0
.LBB134_1728:
	s_delay_alu instid0(SALU_CYCLE_1)
	s_and_not1_b32 vcc_lo, exec_lo, s0
	s_cbranch_vccnz .LBB134_1734
; %bb.1729:
	v_cmp_lt_i16_e32 vcc_lo, 0, v4
	s_mov_b32 s0, 0
	s_cbranch_vccz .LBB134_1731
; %bb.1730:
	global_load_u8 v8, v[0:1], off
	s_waitcnt vmcnt(0)
	v_cmp_ne_u16_e32 vcc_lo, 0, v8
	s_and_b32 s1, vcc_lo, exec_lo
	s_branch .LBB134_1732
.LBB134_1731:
	s_mov_b32 s0, -1
                                        ; implicit-def: $sgpr1
.LBB134_1732:
	s_delay_alu instid0(SALU_CYCLE_1)
	s_and_not1_b32 vcc_lo, exec_lo, s0
	s_cbranch_vccnz .LBB134_1734
; %bb.1733:
	global_load_u8 v0, v[0:1], off
	s_and_not1_b32 s0, s1, exec_lo
	s_waitcnt vmcnt(0)
	v_cmp_ne_u16_e32 vcc_lo, 0, v0
	s_and_b32 s1, vcc_lo, exec_lo
	s_delay_alu instid0(SALU_CYCLE_1)
	s_or_b32 s1, s0, s1
.LBB134_1734:
	s_branch .LBB134_1803
.LBB134_1735:
	s_trap 2
	s_sendmsg_rtn_b32 s0, sendmsg(MSG_RTN_GET_DOORBELL)
	s_mov_b32 ttmp2, m0
	s_waitcnt lgkmcnt(0)
	s_and_b32 s0, s0, 0x3ff
	s_delay_alu instid0(SALU_CYCLE_1) | instskip(NEXT) | instid1(SALU_CYCLE_1)
	s_bitset1_b32 s0, 10
	s_mov_b32 m0, s0
	s_sendmsg sendmsg(MSG_INTERRUPT)
	s_mov_b32 m0, ttmp2
.LBB134_1736:                           ; =>This Inner Loop Header: Depth=1
	s_sethalt 5
	s_branch .LBB134_1736
.LBB134_1737:
	s_mov_b32 s14, -1
	s_mov_b32 s17, 0
.LBB134_1738:
                                        ; implicit-def: $sgpr1
.LBB134_1739:
	s_and_b32 vcc_lo, exec_lo, s18
	s_cbranch_vccz .LBB134_1741
; %bb.1740:
	v_cmp_ne_u16_e64 s14, 44, v4
	s_mov_b32 s17, -1
	s_or_b32 s1, s1, exec_lo
.LBB134_1741:
	s_mov_b32 s18, 0
.LBB134_1742:
	s_delay_alu instid0(SALU_CYCLE_1)
	s_and_b32 vcc_lo, exec_lo, s18
	s_cbranch_vccz .LBB134_1746
; %bb.1743:
	v_cmp_eq_u16_e32 vcc_lo, 29, v4
	s_cbranch_vccz .LBB134_1745
; %bb.1744:
	global_load_b64 v[8:9], v[0:1], off
	s_mov_b32 s14, 0
	s_mov_b32 s17, -1
	s_mov_b32 s18, 0
	s_waitcnt vmcnt(0)
	v_cmp_ne_u64_e32 vcc_lo, 0, v[8:9]
	s_and_b32 s1, vcc_lo, exec_lo
	s_branch .LBB134_1747
.LBB134_1745:
	s_mov_b32 s14, -1
                                        ; implicit-def: $sgpr1
.LBB134_1746:
	s_mov_b32 s18, 0
.LBB134_1747:
	s_delay_alu instid0(SALU_CYCLE_1)
	s_and_b32 vcc_lo, exec_lo, s18
	s_cbranch_vccz .LBB134_1765
; %bb.1748:
	v_cmp_gt_i16_e32 vcc_lo, 27, v4
	s_cbranch_vccnz .LBB134_1751
; %bb.1749:
	v_cmp_lt_i16_e32 vcc_lo, 27, v4
	s_cbranch_vccz .LBB134_1752
; %bb.1750:
	global_load_b32 v8, v[0:1], off
	s_mov_b32 s17, 0
	s_waitcnt vmcnt(0)
	v_cmp_ne_u32_e32 vcc_lo, 0, v8
	s_and_b32 s1, vcc_lo, exec_lo
	s_branch .LBB134_1753
.LBB134_1751:
	s_mov_b32 s17, -1
                                        ; implicit-def: $sgpr1
	s_branch .LBB134_1756
.LBB134_1752:
	s_mov_b32 s17, -1
                                        ; implicit-def: $sgpr1
.LBB134_1753:
	s_delay_alu instid0(SALU_CYCLE_1)
	s_and_not1_b32 vcc_lo, exec_lo, s17
	s_cbranch_vccnz .LBB134_1755
; %bb.1754:
	global_load_u16 v8, v[0:1], off
	s_and_not1_b32 s1, s1, exec_lo
	s_waitcnt vmcnt(0)
	v_cmp_ne_u16_e32 vcc_lo, 0, v8
	s_and_b32 s17, vcc_lo, exec_lo
	s_delay_alu instid0(SALU_CYCLE_1)
	s_or_b32 s1, s1, s17
.LBB134_1755:
	s_mov_b32 s17, 0
.LBB134_1756:
	s_delay_alu instid0(SALU_CYCLE_1)
	s_and_not1_b32 vcc_lo, exec_lo, s17
	s_cbranch_vccnz .LBB134_1764
; %bb.1757:
	global_load_u8 v8, v[0:1], off
	s_mov_b32 s17, 0
	s_mov_b32 s18, exec_lo
                                        ; implicit-def: $sgpr1
	s_waitcnt vmcnt(0)
	v_cmpx_lt_i16_e32 0x7f, v8
	s_xor_b32 s18, exec_lo, s18
	s_cbranch_execz .LBB134_1777
; %bb.1758:
	s_mov_b32 s17, -1
	s_mov_b32 s19, exec_lo
                                        ; implicit-def: $sgpr1
	v_cmpx_eq_u16_e32 0x80, v8
; %bb.1759:
	s_mov_b32 s1, -1
	s_xor_b32 s17, exec_lo, -1
; %bb.1760:
	s_or_b32 exec_lo, exec_lo, s19
	s_delay_alu instid0(SALU_CYCLE_1)
	s_and_b32 s17, s17, exec_lo
	s_and_not1_saveexec_b32 s18, s18
	s_cbranch_execnz .LBB134_1778
.LBB134_1761:
	s_or_b32 exec_lo, exec_lo, s18
	s_and_saveexec_b32 s18, s17
	s_cbranch_execz .LBB134_1763
.LBB134_1762:
	v_and_b32_e32 v8, 0xffff, v8
	s_and_not1_b32 s1, s1, exec_lo
	s_delay_alu instid0(VALU_DEP_1) | instskip(NEXT) | instid1(VALU_DEP_1)
	v_and_b32_e32 v9, 7, v8
	v_clz_i32_u32_e32 v10, v9
	s_delay_alu instid0(VALU_DEP_1) | instskip(NEXT) | instid1(VALU_DEP_1)
	v_min_u32_e32 v10, 32, v10
	v_subrev_nc_u32_e32 v11, 28, v10
	v_sub_nc_u32_e32 v10, 29, v10
	s_delay_alu instid0(VALU_DEP_2) | instskip(SKIP_1) | instid1(VALU_DEP_2)
	v_lshlrev_b32_e32 v11, v11, v8
	v_bfe_u32 v8, v8, 3, 4
	v_and_b32_e32 v11, 7, v11
	s_delay_alu instid0(VALU_DEP_2) | instskip(NEXT) | instid1(VALU_DEP_2)
	v_cmp_eq_u32_e32 vcc_lo, 0, v8
	v_dual_cndmask_b32 v8, v8, v10 :: v_dual_cndmask_b32 v9, v9, v11
	s_delay_alu instid0(VALU_DEP_1) | instskip(NEXT) | instid1(VALU_DEP_2)
	v_lshl_add_u32 v8, v8, 23, 0x3b800000
	v_lshlrev_b32_e32 v9, 20, v9
	s_delay_alu instid0(VALU_DEP_1) | instskip(NEXT) | instid1(VALU_DEP_1)
	v_and_or_b32 v8, 0x7f800000, v8, v9
	v_cmp_ne_u32_e32 vcc_lo, 0, v8
	s_and_b32 s17, vcc_lo, exec_lo
	s_delay_alu instid0(SALU_CYCLE_1)
	s_or_b32 s1, s1, s17
.LBB134_1763:
	s_or_b32 exec_lo, exec_lo, s18
.LBB134_1764:
	s_mov_b32 s17, -1
.LBB134_1765:
	s_branch .LBB134_1798
.LBB134_1766:
	v_cmp_lt_i16_e32 vcc_lo, 22, v4
	s_cbranch_vccz .LBB134_1776
; %bb.1767:
	v_cmp_gt_i16_e32 vcc_lo, 24, v4
	s_cbranch_vccnz .LBB134_1779
; %bb.1768:
	v_cmp_lt_i16_e32 vcc_lo, 24, v4
	s_cbranch_vccz .LBB134_1780
; %bb.1769:
	global_load_u8 v8, v[0:1], off
	s_mov_b32 s17, exec_lo
                                        ; implicit-def: $sgpr1
	s_waitcnt vmcnt(0)
	v_cmpx_lt_i16_e32 0x7f, v8
	s_xor_b32 s17, exec_lo, s17
	s_cbranch_execz .LBB134_1792
; %bb.1770:
	s_mov_b32 s0, -1
	s_mov_b32 s18, exec_lo
                                        ; implicit-def: $sgpr1
	v_cmpx_eq_u16_e32 0x80, v8
; %bb.1771:
	s_mov_b32 s1, -1
	s_xor_b32 s0, exec_lo, -1
; %bb.1772:
	s_or_b32 exec_lo, exec_lo, s18
	s_delay_alu instid0(SALU_CYCLE_1)
	s_and_b32 s0, s0, exec_lo
	s_and_not1_saveexec_b32 s17, s17
	s_cbranch_execnz .LBB134_1793
.LBB134_1773:
	s_or_b32 exec_lo, exec_lo, s17
	s_and_saveexec_b32 s17, s0
	s_cbranch_execz .LBB134_1775
.LBB134_1774:
	v_and_b32_e32 v8, 0xffff, v8
	s_and_not1_b32 s0, s1, exec_lo
	s_delay_alu instid0(VALU_DEP_1) | instskip(NEXT) | instid1(VALU_DEP_1)
	v_and_b32_e32 v9, 3, v8
	v_clz_i32_u32_e32 v10, v9
	s_delay_alu instid0(VALU_DEP_1) | instskip(NEXT) | instid1(VALU_DEP_1)
	v_min_u32_e32 v10, 32, v10
	v_subrev_nc_u32_e32 v11, 29, v10
	v_sub_nc_u32_e32 v10, 30, v10
	s_delay_alu instid0(VALU_DEP_2) | instskip(SKIP_1) | instid1(VALU_DEP_2)
	v_lshlrev_b32_e32 v11, v11, v8
	v_bfe_u32 v8, v8, 2, 5
	v_and_b32_e32 v11, 3, v11
	s_delay_alu instid0(VALU_DEP_2) | instskip(NEXT) | instid1(VALU_DEP_2)
	v_cmp_eq_u32_e32 vcc_lo, 0, v8
	v_dual_cndmask_b32 v8, v8, v10 :: v_dual_cndmask_b32 v9, v9, v11
	s_delay_alu instid0(VALU_DEP_1) | instskip(NEXT) | instid1(VALU_DEP_2)
	v_lshl_add_u32 v8, v8, 23, 0x37800000
	v_lshlrev_b32_e32 v9, 21, v9
	s_delay_alu instid0(VALU_DEP_1) | instskip(NEXT) | instid1(VALU_DEP_1)
	v_and_or_b32 v8, 0x7f800000, v8, v9
	v_cmp_ne_u32_e32 vcc_lo, 0, v8
	s_and_b32 s1, vcc_lo, exec_lo
	s_delay_alu instid0(SALU_CYCLE_1)
	s_or_b32 s1, s0, s1
.LBB134_1775:
	s_or_b32 exec_lo, exec_lo, s17
	s_mov_b32 s0, 0
	s_branch .LBB134_1781
.LBB134_1776:
	s_mov_b32 s0, -1
                                        ; implicit-def: $sgpr1
	s_branch .LBB134_1787
.LBB134_1777:
	s_and_not1_saveexec_b32 s18, s18
	s_cbranch_execz .LBB134_1761
.LBB134_1778:
	v_cmp_ne_u16_e32 vcc_lo, 0, v8
	s_and_not1_b32 s17, s17, exec_lo
	s_and_not1_b32 s1, s1, exec_lo
	s_and_b32 s19, vcc_lo, exec_lo
	s_delay_alu instid0(SALU_CYCLE_1)
	s_or_b32 s17, s17, s19
	s_or_b32 exec_lo, exec_lo, s18
	s_and_saveexec_b32 s18, s17
	s_cbranch_execnz .LBB134_1762
	s_branch .LBB134_1763
.LBB134_1779:
	s_mov_b32 s0, -1
                                        ; implicit-def: $sgpr1
	s_branch .LBB134_1784
.LBB134_1780:
	s_mov_b32 s0, -1
                                        ; implicit-def: $sgpr1
.LBB134_1781:
	s_delay_alu instid0(SALU_CYCLE_1)
	s_and_b32 vcc_lo, exec_lo, s0
	s_cbranch_vccz .LBB134_1783
; %bb.1782:
	global_load_u8 v8, v[0:1], off
	s_and_not1_b32 s1, s1, exec_lo
	s_waitcnt vmcnt(0)
	v_lshlrev_b32_e32 v8, 24, v8
	s_delay_alu instid0(VALU_DEP_1) | instskip(NEXT) | instid1(VALU_DEP_1)
	v_and_b32_e32 v8, 0x7f000000, v8
	v_clz_i32_u32_e32 v9, v8
	v_add_nc_u32_e32 v11, 0x1000000, v8
	v_cmp_ne_u32_e32 vcc_lo, 0, v8
	s_delay_alu instid0(VALU_DEP_3) | instskip(NEXT) | instid1(VALU_DEP_3)
	v_min_u32_e32 v9, 32, v9
	v_ashrrev_i32_e32 v11, 8, v11
	s_delay_alu instid0(VALU_DEP_2) | instskip(NEXT) | instid1(VALU_DEP_1)
	v_sub_nc_u32_e64 v9, v9, 4 clamp
	v_lshlrev_b32_e32 v10, v9, v8
	v_lshlrev_b32_e32 v9, 23, v9
	s_delay_alu instid0(VALU_DEP_2) | instskip(NEXT) | instid1(VALU_DEP_1)
	v_lshrrev_b32_e32 v10, 4, v10
	v_sub_nc_u32_e32 v9, v10, v9
	v_and_b32_e32 v10, 0x7f800000, v11
	s_delay_alu instid0(VALU_DEP_2) | instskip(NEXT) | instid1(VALU_DEP_1)
	v_add_nc_u32_e32 v9, 0x3c000000, v9
	v_and_or_b32 v9, 0x7ff00000, v9, v10
	s_delay_alu instid0(VALU_DEP_1) | instskip(NEXT) | instid1(VALU_DEP_1)
	v_cmp_ne_u32_e64 s0, 0, v9
	s_and_b32 s0, vcc_lo, s0
	s_delay_alu instid0(SALU_CYCLE_1) | instskip(NEXT) | instid1(SALU_CYCLE_1)
	s_and_b32 s0, s0, exec_lo
	s_or_b32 s1, s1, s0
.LBB134_1783:
	s_mov_b32 s0, 0
.LBB134_1784:
	s_delay_alu instid0(SALU_CYCLE_1)
	s_and_not1_b32 vcc_lo, exec_lo, s0
	s_cbranch_vccnz .LBB134_1786
; %bb.1785:
	global_load_u8 v8, v[0:1], off
	s_and_not1_b32 s0, s1, exec_lo
	s_waitcnt vmcnt(0)
	v_lshlrev_b32_e32 v9, 25, v8
	v_lshlrev_b32_e32 v8, 8, v8
	s_delay_alu instid0(VALU_DEP_2) | instskip(NEXT) | instid1(VALU_DEP_2)
	v_lshrrev_b32_e32 v10, 4, v9
	v_and_or_b32 v8, 0x7f00, v8, 0.5
	s_delay_alu instid0(VALU_DEP_2) | instskip(NEXT) | instid1(VALU_DEP_2)
	v_or_b32_e32 v10, 0x70000000, v10
	v_add_f32_e32 v8, -0.5, v8
	s_delay_alu instid0(VALU_DEP_2) | instskip(SKIP_1) | instid1(VALU_DEP_2)
	v_mul_f32_e32 v10, 0x7800000, v10
	v_cmp_gt_u32_e32 vcc_lo, 0x8000000, v9
	v_cndmask_b32_e32 v8, v10, v8, vcc_lo
	s_delay_alu instid0(VALU_DEP_1) | instskip(SKIP_1) | instid1(SALU_CYCLE_1)
	v_cmp_neq_f32_e32 vcc_lo, 0, v8
	s_and_b32 s1, vcc_lo, exec_lo
	s_or_b32 s1, s0, s1
.LBB134_1786:
	s_mov_b32 s0, 0
	s_mov_b32 s17, -1
.LBB134_1787:
	s_and_not1_b32 vcc_lo, exec_lo, s0
	s_mov_b32 s0, 0
	s_cbranch_vccnz .LBB134_1798
; %bb.1788:
	v_cmp_lt_i16_e32 vcc_lo, 14, v4
	s_cbranch_vccz .LBB134_1791
; %bb.1789:
	v_cmp_eq_u16_e32 vcc_lo, 15, v4
	s_cbranch_vccz .LBB134_1794
; %bb.1790:
	global_load_u16 v8, v[0:1], off
	s_mov_b32 s14, 0
	s_mov_b32 s17, -1
	s_waitcnt vmcnt(0)
	v_and_b32_e32 v8, 0x7fff, v8
	s_delay_alu instid0(VALU_DEP_1)
	v_cmp_ne_u16_e32 vcc_lo, 0, v8
	s_and_b32 s1, vcc_lo, exec_lo
	s_branch .LBB134_1796
.LBB134_1791:
	s_mov_b32 s0, -1
	s_branch .LBB134_1795
.LBB134_1792:
	s_and_not1_saveexec_b32 s17, s17
	s_cbranch_execz .LBB134_1773
.LBB134_1793:
	v_cmp_ne_u16_e32 vcc_lo, 0, v8
	s_and_not1_b32 s0, s0, exec_lo
	s_and_not1_b32 s1, s1, exec_lo
	s_and_b32 s18, vcc_lo, exec_lo
	s_delay_alu instid0(SALU_CYCLE_1)
	s_or_b32 s0, s0, s18
	s_or_b32 exec_lo, exec_lo, s17
	s_and_saveexec_b32 s17, s0
	s_cbranch_execnz .LBB134_1774
	s_branch .LBB134_1775
.LBB134_1794:
	s_mov_b32 s14, -1
.LBB134_1795:
                                        ; implicit-def: $sgpr1
.LBB134_1796:
	s_and_b32 vcc_lo, exec_lo, s0
	s_mov_b32 s0, 0
	s_cbranch_vccz .LBB134_1798
; %bb.1797:
	v_cmp_ne_u16_e64 s14, 11, v4
	s_mov_b32 s0, -1
	s_and_not1_b32 s1, s1, exec_lo
.LBB134_1798:
	s_delay_alu instid0(VALU_DEP_1)
	s_and_b32 vcc_lo, exec_lo, s14
	s_cbranch_vccnz .LBB134_1822
; %bb.1799:
	s_and_not1_b32 vcc_lo, exec_lo, s0
	s_cbranch_vccnz .LBB134_1801
.LBB134_1800:
	global_load_u8 v8, v[0:1], off
	s_and_not1_b32 s0, s1, exec_lo
	s_mov_b32 s17, -1
	s_waitcnt vmcnt(0)
	v_cmp_ne_u16_e32 vcc_lo, 0, v8
	s_and_b32 s1, vcc_lo, exec_lo
	s_delay_alu instid0(SALU_CYCLE_1)
	s_or_b32 s1, s0, s1
.LBB134_1801:
.LBB134_1802:
	s_and_not1_b32 vcc_lo, exec_lo, s17
	s_cbranch_vccnz .LBB134_3037
.LBB134_1803:
	s_lshl_b32 s14, s9, 7
	v_cmp_gt_i16_e32 vcc_lo, 11, v5
	v_add_nc_u32_e32 v8, s14, v6
	s_delay_alu instid0(VALU_DEP_1) | instskip(SKIP_1) | instid1(VALU_DEP_1)
	v_ashrrev_i32_e32 v1, 31, v8
	v_add_co_u32 v0, s0, s6, v8
	v_add_co_ci_u32_e64 v1, s0, s7, v1, s0
	s_cbranch_vccnz .LBB134_1810
; %bb.1804:
	v_cmp_lt_i16_e32 vcc_lo, 25, v5
	s_mov_b32 s9, 0
	s_cbranch_vccz .LBB134_1816
; %bb.1805:
	v_cmp_lt_i16_e32 vcc_lo, 28, v5
	s_cbranch_vccz .LBB134_1818
; %bb.1806:
	v_cmp_lt_i16_e32 vcc_lo, 43, v5
	;; [unrolled: 3-line block ×3, first 2 shown]
	s_cbranch_vccz .LBB134_1826
; %bb.1808:
	v_cmp_eq_u16_e32 vcc_lo, 46, v5
	s_mov_b32 s18, 0
	s_cbranch_vccz .LBB134_1869
; %bb.1809:
	global_load_b32 v6, v[0:1], off
	s_mov_b32 s0, 0
	s_mov_b32 s17, -1
	s_waitcnt vmcnt(0)
	v_lshlrev_b32_e32 v6, 16, v6
	s_delay_alu instid0(VALU_DEP_1)
	v_cvt_f16_f32_e32 v6, v6
	s_branch .LBB134_1871
.LBB134_1810:
	s_mov_b32 s17, 0
                                        ; implicit-def: $vgpr6
	s_cbranch_execz .LBB134_1937
; %bb.1811:
	v_cmp_gt_i16_e32 vcc_lo, 5, v5
	s_cbranch_vccnz .LBB134_1817
; %bb.1812:
	v_cmp_gt_i16_e32 vcc_lo, 8, v5
	s_cbranch_vccnz .LBB134_1819
	;; [unrolled: 3-line block ×3, first 2 shown]
; %bb.1814:
	v_cmp_lt_i16_e32 vcc_lo, 9, v5
	s_cbranch_vccz .LBB134_1827
; %bb.1815:
	global_load_b64 v[9:10], v[0:1], off
	s_mov_b32 s0, 0
	s_waitcnt vmcnt(0)
	v_cvt_f32_f64_e32 v6, v[9:10]
	s_delay_alu instid0(VALU_DEP_1)
	v_cvt_f16_f32_e32 v6, v6
	s_branch .LBB134_1828
.LBB134_1816:
	s_mov_b32 s18, -1
	s_mov_b32 s17, 0
	s_mov_b32 s0, 0
                                        ; implicit-def: $vgpr6
	s_branch .LBB134_1900
.LBB134_1817:
	s_mov_b32 s0, -1
                                        ; implicit-def: $vgpr6
	s_branch .LBB134_1846
.LBB134_1818:
	s_mov_b32 s18, -1
	s_mov_b32 s17, 0
	s_mov_b32 s0, 0
                                        ; implicit-def: $vgpr6
	s_branch .LBB134_1881
.LBB134_1819:
	s_mov_b32 s0, -1
                                        ; implicit-def: $vgpr6
	s_branch .LBB134_1834
.LBB134_1820:
	s_mov_b32 s18, -1
	s_mov_b32 s17, 0
	s_mov_b32 s0, 0
                                        ; implicit-def: $vgpr6
	s_branch .LBB134_1876
.LBB134_1821:
	s_mov_b32 s0, -1
                                        ; implicit-def: $vgpr6
	s_branch .LBB134_1831
.LBB134_1822:
	s_cbranch_execnz .LBB134_1867
; %bb.1823:
	s_mov_b32 s17, 0
	s_and_not1_b32 s1, s1, exec_lo
	s_or_b32 s13, s13, exec_lo
	s_cbranch_execz .LBB134_1800
	s_branch .LBB134_1801
.LBB134_1824:
	s_or_saveexec_b32 s22, s22
                                        ; implicit-def: $sgpr23
	s_delay_alu instid0(SALU_CYCLE_1)
	s_xor_b32 exec_lo, exec_lo, s22
	s_cbranch_execz .LBB134_1467
.LBB134_1825:
	v_add_f32_e64 v3, 0x42800000, |v2|
	s_and_not1_b32 s21, s21, exec_lo
	s_mov_b32 s23, 0
	s_delay_alu instid0(VALU_DEP_1) | instskip(NEXT) | instid1(VALU_DEP_1)
	v_and_b32_e32 v3, 0xff, v3
	v_cmp_ne_u32_e32 vcc_lo, 0, v3
	s_and_b32 s24, vcc_lo, exec_lo
	s_delay_alu instid0(SALU_CYCLE_1)
	s_or_b32 s21, s21, s24
	s_or_b32 exec_lo, exec_lo, s22
	v_mov_b32_e32 v6, s23
	s_and_saveexec_b32 s22, s21
	s_cbranch_execnz .LBB134_1468
	s_branch .LBB134_1469
.LBB134_1826:
	s_mov_b32 s18, -1
	s_mov_b32 s17, 0
	s_mov_b32 s0, 0
	s_branch .LBB134_1870
.LBB134_1827:
	s_mov_b32 s0, -1
                                        ; implicit-def: $vgpr6
.LBB134_1828:
	s_delay_alu instid0(SALU_CYCLE_1)
	s_and_not1_b32 vcc_lo, exec_lo, s0
	s_cbranch_vccnz .LBB134_1830
; %bb.1829:
	global_load_b32 v6, v[0:1], off
	s_waitcnt vmcnt(0)
	v_cvt_f16_f32_e32 v6, v6
.LBB134_1830:
	s_mov_b32 s0, 0
.LBB134_1831:
	s_delay_alu instid0(SALU_CYCLE_1)
	s_and_not1_b32 vcc_lo, exec_lo, s0
	s_cbranch_vccnz .LBB134_1833
; %bb.1832:
	global_load_b32 v6, v[0:1], off
.LBB134_1833:
	s_mov_b32 s0, 0
.LBB134_1834:
	s_delay_alu instid0(SALU_CYCLE_1)
	s_and_not1_b32 vcc_lo, exec_lo, s0
	s_cbranch_vccnz .LBB134_1845
; %bb.1835:
	v_cmp_gt_i16_e32 vcc_lo, 6, v5
	s_cbranch_vccnz .LBB134_1838
; %bb.1836:
	v_cmp_lt_i16_e32 vcc_lo, 6, v5
	s_cbranch_vccz .LBB134_1839
; %bb.1837:
	global_load_b64 v[9:10], v[0:1], off
	s_mov_b32 s0, 0
	s_waitcnt vmcnt(0)
	v_cvt_f32_f64_e32 v6, v[9:10]
	s_delay_alu instid0(VALU_DEP_1)
	v_cvt_f16_f32_e32 v6, v6
	s_branch .LBB134_1840
.LBB134_1838:
	s_mov_b32 s0, -1
                                        ; implicit-def: $vgpr6
	s_branch .LBB134_1843
.LBB134_1839:
	s_mov_b32 s0, -1
                                        ; implicit-def: $vgpr6
.LBB134_1840:
	s_delay_alu instid0(SALU_CYCLE_1)
	s_and_not1_b32 vcc_lo, exec_lo, s0
	s_cbranch_vccnz .LBB134_1842
; %bb.1841:
	global_load_b32 v6, v[0:1], off
	s_waitcnt vmcnt(0)
	v_cvt_f16_f32_e32 v6, v6
.LBB134_1842:
	s_mov_b32 s0, 0
.LBB134_1843:
	s_delay_alu instid0(SALU_CYCLE_1)
	s_and_not1_b32 vcc_lo, exec_lo, s0
	s_cbranch_vccnz .LBB134_1845
; %bb.1844:
	global_load_u16 v6, v[0:1], off
.LBB134_1845:
	s_mov_b32 s0, 0
.LBB134_1846:
	s_delay_alu instid0(SALU_CYCLE_1)
	s_and_not1_b32 vcc_lo, exec_lo, s0
	s_cbranch_vccnz .LBB134_1866
; %bb.1847:
	v_cmp_gt_i16_e32 vcc_lo, 2, v5
	s_cbranch_vccnz .LBB134_1851
; %bb.1848:
	v_cmp_gt_i16_e32 vcc_lo, 3, v5
	s_cbranch_vccnz .LBB134_1852
; %bb.1849:
	v_cmp_lt_i16_e32 vcc_lo, 3, v5
	s_cbranch_vccz .LBB134_1853
; %bb.1850:
	global_load_b64 v[9:10], v[0:1], off
	s_mov_b32 s0, 0
	s_waitcnt vmcnt(0)
	v_xor_b32_e32 v6, v9, v10
	v_cls_i32_e32 v11, v10
	s_delay_alu instid0(VALU_DEP_2) | instskip(NEXT) | instid1(VALU_DEP_2)
	v_ashrrev_i32_e32 v6, 31, v6
	v_add_nc_u32_e32 v11, -1, v11
	s_delay_alu instid0(VALU_DEP_2) | instskip(NEXT) | instid1(VALU_DEP_1)
	v_add_nc_u32_e32 v6, 32, v6
	v_min_u32_e32 v6, v11, v6
	s_delay_alu instid0(VALU_DEP_1) | instskip(SKIP_1) | instid1(VALU_DEP_2)
	v_lshlrev_b64 v[9:10], v6, v[9:10]
	v_sub_nc_u32_e32 v6, 32, v6
	v_min_u32_e32 v9, 1, v9
	s_delay_alu instid0(VALU_DEP_1) | instskip(NEXT) | instid1(VALU_DEP_1)
	v_or_b32_e32 v9, v10, v9
	v_cvt_f32_i32_e32 v9, v9
	s_delay_alu instid0(VALU_DEP_1) | instskip(NEXT) | instid1(VALU_DEP_1)
	v_ldexp_f32 v6, v9, v6
	v_cvt_f16_f32_e32 v6, v6
	s_branch .LBB134_1854
.LBB134_1851:
	s_mov_b32 s0, -1
                                        ; implicit-def: $vgpr6
	s_branch .LBB134_1860
.LBB134_1852:
	s_mov_b32 s0, -1
                                        ; implicit-def: $vgpr6
	s_branch .LBB134_1857
.LBB134_1853:
	s_mov_b32 s0, -1
                                        ; implicit-def: $vgpr6
.LBB134_1854:
	s_delay_alu instid0(SALU_CYCLE_1)
	s_and_not1_b32 vcc_lo, exec_lo, s0
	s_cbranch_vccnz .LBB134_1856
; %bb.1855:
	global_load_b32 v6, v[0:1], off
	s_waitcnt vmcnt(0)
	v_cvt_f32_i32_e32 v6, v6
	s_delay_alu instid0(VALU_DEP_1)
	v_cvt_f16_f32_e32 v6, v6
.LBB134_1856:
	s_mov_b32 s0, 0
.LBB134_1857:
	s_delay_alu instid0(SALU_CYCLE_1)
	s_and_not1_b32 vcc_lo, exec_lo, s0
	s_cbranch_vccnz .LBB134_1859
; %bb.1858:
	global_load_u16 v6, v[0:1], off
	s_waitcnt vmcnt(0)
	v_cvt_f16_i16_e32 v6, v6
.LBB134_1859:
	s_mov_b32 s0, 0
.LBB134_1860:
	s_delay_alu instid0(SALU_CYCLE_1)
	s_and_not1_b32 vcc_lo, exec_lo, s0
	s_cbranch_vccnz .LBB134_1866
; %bb.1861:
	v_cmp_lt_i16_e32 vcc_lo, 0, v5
	s_mov_b32 s0, 0
	s_cbranch_vccz .LBB134_1863
; %bb.1862:
	global_load_i8 v6, v[0:1], off
	s_waitcnt vmcnt(0)
	v_cvt_f16_i16_e32 v6, v6
	s_branch .LBB134_1864
.LBB134_1863:
	s_mov_b32 s0, -1
                                        ; implicit-def: $vgpr6
.LBB134_1864:
	s_delay_alu instid0(SALU_CYCLE_1)
	s_and_not1_b32 vcc_lo, exec_lo, s0
	s_cbranch_vccnz .LBB134_1866
; %bb.1865:
	global_load_u8 v0, v[0:1], off
	s_waitcnt vmcnt(0)
	v_cvt_f16_u16_e32 v6, v0
.LBB134_1866:
	s_branch .LBB134_1938
.LBB134_1867:
	s_trap 2
	s_sendmsg_rtn_b32 s0, sendmsg(MSG_RTN_GET_DOORBELL)
	s_mov_b32 ttmp2, m0
	s_waitcnt lgkmcnt(0)
	s_and_b32 s0, s0, 0x3ff
	s_delay_alu instid0(SALU_CYCLE_1) | instskip(NEXT) | instid1(SALU_CYCLE_1)
	s_bitset1_b32 s0, 10
	s_mov_b32 m0, s0
	s_sendmsg sendmsg(MSG_INTERRUPT)
	s_mov_b32 m0, ttmp2
.LBB134_1868:                           ; =>This Inner Loop Header: Depth=1
	s_sethalt 5
	s_branch .LBB134_1868
.LBB134_1869:
	s_mov_b32 s0, -1
	s_mov_b32 s17, 0
.LBB134_1870:
                                        ; implicit-def: $vgpr6
.LBB134_1871:
	s_and_b32 vcc_lo, exec_lo, s18
	s_cbranch_vccz .LBB134_1875
; %bb.1872:
	v_cmp_eq_u16_e32 vcc_lo, 44, v5
	s_cbranch_vccz .LBB134_1874
; %bb.1873:
	global_load_u8 v6, v[0:1], off
	s_mov_b32 s0, 0
	s_mov_b32 s17, -1
	s_waitcnt vmcnt(0)
	v_lshlrev_b32_e32 v9, 23, v6
	v_cmp_ne_u32_e32 vcc_lo, 0xff, v6
	s_delay_alu instid0(VALU_DEP_2) | instskip(NEXT) | instid1(VALU_DEP_1)
	v_cvt_f16_f32_e32 v9, v9
	v_cndmask_b32_e32 v9, 0x7e00, v9, vcc_lo
	v_cmp_ne_u32_e32 vcc_lo, 0, v6
	s_delay_alu instid0(VALU_DEP_2)
	v_cndmask_b32_e32 v6, 0, v9, vcc_lo
	s_branch .LBB134_1875
.LBB134_1874:
	s_mov_b32 s0, -1
                                        ; implicit-def: $vgpr6
.LBB134_1875:
	s_mov_b32 s18, 0
.LBB134_1876:
	s_delay_alu instid0(SALU_CYCLE_1)
	s_and_b32 vcc_lo, exec_lo, s18
	s_cbranch_vccz .LBB134_1880
; %bb.1877:
	v_cmp_eq_u16_e32 vcc_lo, 29, v5
	s_cbranch_vccz .LBB134_1879
; %bb.1878:
	global_load_b64 v[9:10], v[0:1], off
	s_mov_b32 s0, 0
	s_mov_b32 s17, -1
	s_mov_b32 s18, 0
	s_waitcnt vmcnt(0)
	v_clz_i32_u32_e32 v6, v10
	s_delay_alu instid0(VALU_DEP_1) | instskip(NEXT) | instid1(VALU_DEP_1)
	v_min_u32_e32 v6, 32, v6
	v_lshlrev_b64 v[9:10], v6, v[9:10]
	v_sub_nc_u32_e32 v6, 32, v6
	s_delay_alu instid0(VALU_DEP_2) | instskip(NEXT) | instid1(VALU_DEP_1)
	v_min_u32_e32 v9, 1, v9
	v_or_b32_e32 v9, v10, v9
	s_delay_alu instid0(VALU_DEP_1) | instskip(NEXT) | instid1(VALU_DEP_1)
	v_cvt_f32_u32_e32 v9, v9
	v_ldexp_f32 v6, v9, v6
	s_delay_alu instid0(VALU_DEP_1)
	v_cvt_f16_f32_e32 v6, v6
	s_branch .LBB134_1881
.LBB134_1879:
	s_mov_b32 s0, -1
                                        ; implicit-def: $vgpr6
.LBB134_1880:
	s_mov_b32 s18, 0
.LBB134_1881:
	s_delay_alu instid0(SALU_CYCLE_1)
	s_and_b32 vcc_lo, exec_lo, s18
	s_cbranch_vccz .LBB134_1899
; %bb.1882:
	v_cmp_gt_i16_e32 vcc_lo, 27, v5
	s_cbranch_vccnz .LBB134_1885
; %bb.1883:
	v_cmp_lt_i16_e32 vcc_lo, 27, v5
	s_cbranch_vccz .LBB134_1886
; %bb.1884:
	global_load_b32 v6, v[0:1], off
	s_mov_b32 s17, 0
	s_waitcnt vmcnt(0)
	v_cvt_f32_u32_e32 v6, v6
	s_delay_alu instid0(VALU_DEP_1)
	v_cvt_f16_f32_e32 v6, v6
	s_branch .LBB134_1887
.LBB134_1885:
	s_mov_b32 s17, -1
                                        ; implicit-def: $vgpr6
	s_branch .LBB134_1890
.LBB134_1886:
	s_mov_b32 s17, -1
                                        ; implicit-def: $vgpr6
.LBB134_1887:
	s_delay_alu instid0(SALU_CYCLE_1)
	s_and_not1_b32 vcc_lo, exec_lo, s17
	s_cbranch_vccnz .LBB134_1889
; %bb.1888:
	global_load_u16 v6, v[0:1], off
	s_waitcnt vmcnt(0)
	v_cvt_f16_u16_e32 v6, v6
.LBB134_1889:
	s_mov_b32 s17, 0
.LBB134_1890:
	s_delay_alu instid0(SALU_CYCLE_1)
	s_and_not1_b32 vcc_lo, exec_lo, s17
	s_cbranch_vccnz .LBB134_1898
; %bb.1891:
	global_load_u8 v9, v[0:1], off
	s_mov_b32 s17, 0
	s_mov_b32 s19, exec_lo
                                        ; implicit-def: $sgpr18
	s_waitcnt vmcnt(0)
	v_cmpx_lt_i16_e32 0x7f, v9
	s_xor_b32 s19, exec_lo, s19
	s_cbranch_execz .LBB134_1912
; %bb.1892:
	s_mov_b32 s17, -1
	s_mov_b32 s20, exec_lo
                                        ; implicit-def: $sgpr18
	v_cmpx_eq_u16_e32 0x80, v9
; %bb.1893:
	s_movk_i32 s18, 0x7e00
	s_xor_b32 s17, exec_lo, -1
; %bb.1894:
	s_or_b32 exec_lo, exec_lo, s20
	s_delay_alu instid0(SALU_CYCLE_1)
	s_and_b32 s17, s17, exec_lo
	s_or_saveexec_b32 s19, s19
	v_mov_b32_e32 v6, s18
	s_xor_b32 exec_lo, exec_lo, s19
	s_cbranch_execnz .LBB134_1913
.LBB134_1895:
	s_or_b32 exec_lo, exec_lo, s19
	s_and_saveexec_b32 s18, s17
	s_cbranch_execz .LBB134_1897
.LBB134_1896:
	v_and_b32_e32 v6, 0xffff, v9
	s_delay_alu instid0(VALU_DEP_1) | instskip(NEXT) | instid1(VALU_DEP_1)
	v_and_b32_e32 v10, 7, v6
	v_clz_i32_u32_e32 v11, v10
	s_delay_alu instid0(VALU_DEP_1) | instskip(NEXT) | instid1(VALU_DEP_1)
	v_min_u32_e32 v11, 32, v11
	v_subrev_nc_u32_e32 v12, 28, v11
	v_sub_nc_u32_e32 v11, 29, v11
	s_delay_alu instid0(VALU_DEP_2) | instskip(SKIP_1) | instid1(VALU_DEP_2)
	v_lshlrev_b32_e32 v12, v12, v6
	v_bfe_u32 v6, v6, 3, 4
	v_and_b32_e32 v12, 7, v12
	s_delay_alu instid0(VALU_DEP_2) | instskip(SKIP_1) | instid1(VALU_DEP_1)
	v_cmp_eq_u32_e32 vcc_lo, 0, v6
	v_dual_cndmask_b32 v6, v6, v11 :: v_dual_lshlrev_b32 v9, 24, v9
	v_dual_cndmask_b32 v10, v10, v12 :: v_dual_and_b32 v9, 0x80000000, v9
	s_delay_alu instid0(VALU_DEP_2) | instskip(NEXT) | instid1(VALU_DEP_2)
	v_lshl_add_u32 v6, v6, 23, 0x3b800000
	v_lshlrev_b32_e32 v10, 20, v10
	s_delay_alu instid0(VALU_DEP_1) | instskip(NEXT) | instid1(VALU_DEP_1)
	v_or3_b32 v6, v9, v6, v10
	v_cvt_f16_f32_e32 v6, v6
.LBB134_1897:
	s_or_b32 exec_lo, exec_lo, s18
.LBB134_1898:
	s_mov_b32 s17, -1
.LBB134_1899:
	s_mov_b32 s18, 0
.LBB134_1900:
	s_delay_alu instid0(SALU_CYCLE_1)
	s_and_b32 vcc_lo, exec_lo, s18
	s_cbranch_vccz .LBB134_1933
; %bb.1901:
	v_cmp_lt_i16_e32 vcc_lo, 22, v5
	s_cbranch_vccz .LBB134_1911
; %bb.1902:
	v_cmp_gt_i16_e32 vcc_lo, 24, v5
	s_cbranch_vccnz .LBB134_1914
; %bb.1903:
	v_cmp_lt_i16_e32 vcc_lo, 24, v5
	s_cbranch_vccz .LBB134_1915
; %bb.1904:
	global_load_u8 v9, v[0:1], off
	s_mov_b32 s18, exec_lo
                                        ; implicit-def: $sgpr17
	s_waitcnt vmcnt(0)
	v_cmpx_lt_i16_e32 0x7f, v9
	s_xor_b32 s18, exec_lo, s18
	s_cbranch_execz .LBB134_1927
; %bb.1905:
	s_mov_b32 s9, -1
	s_mov_b32 s19, exec_lo
                                        ; implicit-def: $sgpr17
	v_cmpx_eq_u16_e32 0x80, v9
; %bb.1906:
	s_movk_i32 s17, 0x7e00
	s_xor_b32 s9, exec_lo, -1
; %bb.1907:
	s_or_b32 exec_lo, exec_lo, s19
	s_delay_alu instid0(SALU_CYCLE_1)
	s_and_b32 s9, s9, exec_lo
	s_or_saveexec_b32 s18, s18
	v_mov_b32_e32 v6, s17
	s_xor_b32 exec_lo, exec_lo, s18
	s_cbranch_execnz .LBB134_1928
.LBB134_1908:
	s_or_b32 exec_lo, exec_lo, s18
	s_and_saveexec_b32 s17, s9
	s_cbranch_execz .LBB134_1910
.LBB134_1909:
	v_and_b32_e32 v6, 0xffff, v9
	s_delay_alu instid0(VALU_DEP_1) | instskip(NEXT) | instid1(VALU_DEP_1)
	v_and_b32_e32 v10, 3, v6
	v_clz_i32_u32_e32 v11, v10
	s_delay_alu instid0(VALU_DEP_1) | instskip(NEXT) | instid1(VALU_DEP_1)
	v_min_u32_e32 v11, 32, v11
	v_subrev_nc_u32_e32 v12, 29, v11
	v_sub_nc_u32_e32 v11, 30, v11
	s_delay_alu instid0(VALU_DEP_2) | instskip(SKIP_1) | instid1(VALU_DEP_2)
	v_lshlrev_b32_e32 v12, v12, v6
	v_bfe_u32 v6, v6, 2, 5
	v_and_b32_e32 v12, 3, v12
	s_delay_alu instid0(VALU_DEP_2) | instskip(SKIP_1) | instid1(VALU_DEP_1)
	v_cmp_eq_u32_e32 vcc_lo, 0, v6
	v_dual_cndmask_b32 v6, v6, v11 :: v_dual_lshlrev_b32 v9, 24, v9
	v_dual_cndmask_b32 v10, v10, v12 :: v_dual_and_b32 v9, 0x80000000, v9
	s_delay_alu instid0(VALU_DEP_2) | instskip(NEXT) | instid1(VALU_DEP_2)
	v_lshl_add_u32 v6, v6, 23, 0x37800000
	v_lshlrev_b32_e32 v10, 21, v10
	s_delay_alu instid0(VALU_DEP_1) | instskip(NEXT) | instid1(VALU_DEP_1)
	v_or3_b32 v6, v9, v6, v10
	v_cvt_f16_f32_e32 v6, v6
.LBB134_1910:
	s_or_b32 exec_lo, exec_lo, s17
	s_mov_b32 s9, 0
	s_branch .LBB134_1916
.LBB134_1911:
	s_mov_b32 s9, -1
                                        ; implicit-def: $vgpr6
	s_branch .LBB134_1922
.LBB134_1912:
	s_or_saveexec_b32 s19, s19
	v_mov_b32_e32 v6, s18
	s_xor_b32 exec_lo, exec_lo, s19
	s_cbranch_execz .LBB134_1895
.LBB134_1913:
	v_cmp_ne_u16_e32 vcc_lo, 0, v9
	v_mov_b32_e32 v6, v9
	s_and_not1_b32 s17, s17, exec_lo
	s_and_b32 s18, vcc_lo, exec_lo
	s_delay_alu instid0(SALU_CYCLE_1)
	s_or_b32 s17, s17, s18
	s_or_b32 exec_lo, exec_lo, s19
	s_and_saveexec_b32 s18, s17
	s_cbranch_execnz .LBB134_1896
	s_branch .LBB134_1897
.LBB134_1914:
	s_mov_b32 s9, -1
                                        ; implicit-def: $vgpr6
	s_branch .LBB134_1919
.LBB134_1915:
	s_mov_b32 s9, -1
                                        ; implicit-def: $vgpr6
.LBB134_1916:
	s_delay_alu instid0(SALU_CYCLE_1)
	s_and_b32 vcc_lo, exec_lo, s9
	s_cbranch_vccz .LBB134_1918
; %bb.1917:
	global_load_u8 v6, v[0:1], off
	s_waitcnt vmcnt(0)
	v_lshlrev_b32_e32 v6, 24, v6
	s_delay_alu instid0(VALU_DEP_1) | instskip(NEXT) | instid1(VALU_DEP_1)
	v_and_b32_e32 v9, 0x7f000000, v6
	v_clz_i32_u32_e32 v10, v9
	v_cmp_ne_u32_e32 vcc_lo, 0, v9
	v_add_nc_u32_e32 v12, 0x1000000, v9
	s_delay_alu instid0(VALU_DEP_3) | instskip(NEXT) | instid1(VALU_DEP_1)
	v_min_u32_e32 v10, 32, v10
	v_sub_nc_u32_e64 v10, v10, 4 clamp
	s_delay_alu instid0(VALU_DEP_1) | instskip(SKIP_1) | instid1(VALU_DEP_2)
	v_lshlrev_b32_e32 v11, v10, v9
	v_lshlrev_b32_e32 v10, 23, v10
	v_lshrrev_b32_e32 v11, 4, v11
	s_delay_alu instid0(VALU_DEP_1) | instskip(SKIP_1) | instid1(VALU_DEP_2)
	v_sub_nc_u32_e32 v10, v11, v10
	v_ashrrev_i32_e32 v11, 8, v12
	v_add_nc_u32_e32 v10, 0x3c000000, v10
	s_delay_alu instid0(VALU_DEP_1) | instskip(NEXT) | instid1(VALU_DEP_1)
	v_and_or_b32 v10, 0x7f800000, v11, v10
	v_cndmask_b32_e32 v9, 0, v10, vcc_lo
	s_delay_alu instid0(VALU_DEP_1) | instskip(NEXT) | instid1(VALU_DEP_1)
	v_and_or_b32 v6, 0x80000000, v6, v9
	v_cvt_f16_f32_e32 v6, v6
.LBB134_1918:
	s_mov_b32 s9, 0
.LBB134_1919:
	s_delay_alu instid0(SALU_CYCLE_1)
	s_and_not1_b32 vcc_lo, exec_lo, s9
	s_cbranch_vccnz .LBB134_1921
; %bb.1920:
	global_load_u8 v6, v[0:1], off
	s_waitcnt vmcnt(0)
	v_lshlrev_b32_e32 v9, 25, v6
	v_lshlrev_b16 v6, 8, v6
	s_delay_alu instid0(VALU_DEP_2) | instskip(NEXT) | instid1(VALU_DEP_2)
	v_lshrrev_b32_e32 v10, 4, v9
	v_and_or_b32 v11, 0x7f00, v6, 0.5
	v_cmp_gt_u32_e32 vcc_lo, 0x8000000, v9
	v_bfe_i32 v6, v6, 0, 16
	s_delay_alu instid0(VALU_DEP_4) | instskip(NEXT) | instid1(VALU_DEP_1)
	v_or_b32_e32 v10, 0x70000000, v10
	v_dual_add_f32 v11, -0.5, v11 :: v_dual_mul_f32 v10, 0x7800000, v10
	s_delay_alu instid0(VALU_DEP_1) | instskip(NEXT) | instid1(VALU_DEP_1)
	v_cndmask_b32_e32 v9, v10, v11, vcc_lo
	v_and_or_b32 v6, 0x80000000, v6, v9
	s_delay_alu instid0(VALU_DEP_1)
	v_cvt_f16_f32_e32 v6, v6
.LBB134_1921:
	s_mov_b32 s9, 0
	s_mov_b32 s17, -1
.LBB134_1922:
	s_and_not1_b32 vcc_lo, exec_lo, s9
	s_mov_b32 s9, 0
	s_cbranch_vccnz .LBB134_1933
; %bb.1923:
	v_cmp_lt_i16_e32 vcc_lo, 14, v5
	s_cbranch_vccz .LBB134_1926
; %bb.1924:
	v_cmp_eq_u16_e32 vcc_lo, 15, v5
	s_cbranch_vccz .LBB134_1929
; %bb.1925:
	global_load_u16 v6, v[0:1], off
	s_mov_b32 s0, 0
	s_mov_b32 s17, -1
	s_waitcnt vmcnt(0)
	v_lshlrev_b32_e32 v6, 16, v6
	s_delay_alu instid0(VALU_DEP_1)
	v_cvt_f16_f32_e32 v6, v6
	s_branch .LBB134_1931
.LBB134_1926:
	s_mov_b32 s9, -1
	s_branch .LBB134_1930
.LBB134_1927:
	s_or_saveexec_b32 s18, s18
	v_mov_b32_e32 v6, s17
	s_xor_b32 exec_lo, exec_lo, s18
	s_cbranch_execz .LBB134_1908
.LBB134_1928:
	v_cmp_ne_u16_e32 vcc_lo, 0, v9
	v_mov_b32_e32 v6, v9
	s_and_not1_b32 s9, s9, exec_lo
	s_and_b32 s17, vcc_lo, exec_lo
	s_delay_alu instid0(SALU_CYCLE_1)
	s_or_b32 s9, s9, s17
	s_or_b32 exec_lo, exec_lo, s18
	s_and_saveexec_b32 s17, s9
	s_cbranch_execnz .LBB134_1909
	s_branch .LBB134_1910
.LBB134_1929:
	s_mov_b32 s0, -1
.LBB134_1930:
                                        ; implicit-def: $vgpr6
.LBB134_1931:
	s_and_b32 vcc_lo, exec_lo, s9
	s_mov_b32 s9, 0
	s_cbranch_vccz .LBB134_1933
; %bb.1932:
	v_cmp_ne_u16_e64 s0, 11, v5
	s_mov_b32 s9, -1
                                        ; implicit-def: $vgpr6
.LBB134_1933:
	s_delay_alu instid0(VALU_DEP_1)
	s_and_b32 vcc_lo, exec_lo, s0
	s_cbranch_vccnz .LBB134_1949
; %bb.1934:
	s_and_not1_b32 vcc_lo, exec_lo, s9
	s_cbranch_vccnz .LBB134_1936
.LBB134_1935:
	global_load_u8 v6, v[0:1], off
	s_mov_b32 s17, -1
	s_waitcnt vmcnt(0)
	v_cmp_ne_u16_e32 vcc_lo, 0, v6
	v_cndmask_b32_e64 v6, 0, 0x3c00, vcc_lo
.LBB134_1936:
.LBB134_1937:
	s_and_not1_b32 vcc_lo, exec_lo, s17
	s_cbranch_vccnz .LBB134_3037
.LBB134_1938:
	s_lshl_b32 s17, s10, 7
	v_cmp_gt_i16_e32 vcc_lo, 11, v4
	v_add_nc_u32_e32 v9, s17, v7
	s_delay_alu instid0(VALU_DEP_1) | instskip(SKIP_1) | instid1(VALU_DEP_1)
	v_ashrrev_i32_e32 v1, 31, v9
	v_add_co_u32 v0, s0, s2, v9
	v_add_co_ci_u32_e64 v1, s0, s3, v1, s0
	s_cbranch_vccnz .LBB134_1945
; %bb.1939:
	v_cmp_lt_i16_e32 vcc_lo, 25, v4
	s_mov_b32 s0, 0
	s_cbranch_vccz .LBB134_1946
; %bb.1940:
	v_cmp_lt_i16_e32 vcc_lo, 28, v4
	s_cbranch_vccz .LBB134_1947
; %bb.1941:
	v_cmp_lt_i16_e32 vcc_lo, 43, v4
	;; [unrolled: 3-line block ×3, first 2 shown]
	s_cbranch_vccz .LBB134_1951
; %bb.1943:
	v_cmp_eq_u16_e32 vcc_lo, 46, v4
	s_mov_b32 s19, 0
	s_cbranch_vccz .LBB134_1954
; %bb.1944:
	global_load_b32 v7, v[0:1], off
	s_mov_b32 s10, 0
	s_mov_b32 s18, -1
	s_waitcnt vmcnt(0)
	v_and_b32_e32 v7, 0x7fff7fff, v7
	s_delay_alu instid0(VALU_DEP_1)
	v_cmp_ne_u32_e32 vcc_lo, 0, v7
	s_and_b32 s9, vcc_lo, exec_lo
	s_branch .LBB134_1956
.LBB134_1945:
	s_mov_b32 s0, -1
	s_mov_b32 s18, 0
                                        ; implicit-def: $sgpr9
	s_branch .LBB134_2020
.LBB134_1946:
	s_mov_b32 s19, -1
	s_mov_b32 s18, 0
	s_mov_b32 s10, 0
                                        ; implicit-def: $sgpr9
	s_branch .LBB134_1983
.LBB134_1947:
	s_mov_b32 s19, -1
	s_mov_b32 s18, 0
	s_mov_b32 s10, 0
                                        ; implicit-def: $sgpr9
	s_branch .LBB134_1964
.LBB134_1948:
	s_mov_b32 s19, -1
	s_mov_b32 s18, 0
	s_mov_b32 s10, 0
                                        ; implicit-def: $sgpr9
	s_branch .LBB134_1959
.LBB134_1949:
	s_cbranch_execnz .LBB134_1952
; %bb.1950:
	s_or_b32 s13, s13, exec_lo
                                        ; implicit-def: $vgpr6
	s_cbranch_execz .LBB134_1935
	s_branch .LBB134_1936
.LBB134_1951:
	s_mov_b32 s19, -1
	s_mov_b32 s18, 0
	s_mov_b32 s10, 0
	s_branch .LBB134_1955
.LBB134_1952:
	s_trap 2
	s_sendmsg_rtn_b32 s0, sendmsg(MSG_RTN_GET_DOORBELL)
	s_mov_b32 ttmp2, m0
	s_waitcnt lgkmcnt(0)
	s_and_b32 s0, s0, 0x3ff
	s_delay_alu instid0(SALU_CYCLE_1) | instskip(NEXT) | instid1(SALU_CYCLE_1)
	s_bitset1_b32 s0, 10
	s_mov_b32 m0, s0
	s_sendmsg sendmsg(MSG_INTERRUPT)
	s_mov_b32 m0, ttmp2
.LBB134_1953:                           ; =>This Inner Loop Header: Depth=1
	s_sethalt 5
	s_branch .LBB134_1953
.LBB134_1954:
	s_mov_b32 s10, -1
	s_mov_b32 s18, 0
.LBB134_1955:
                                        ; implicit-def: $sgpr9
.LBB134_1956:
	s_and_b32 vcc_lo, exec_lo, s19
	s_cbranch_vccz .LBB134_1958
; %bb.1957:
	v_cmp_ne_u16_e64 s10, 44, v4
	s_mov_b32 s18, -1
	s_or_b32 s9, s9, exec_lo
.LBB134_1958:
	s_mov_b32 s19, 0
.LBB134_1959:
	s_delay_alu instid0(SALU_CYCLE_1)
	s_and_b32 vcc_lo, exec_lo, s19
	s_cbranch_vccz .LBB134_1963
; %bb.1960:
	v_cmp_eq_u16_e32 vcc_lo, 29, v4
	s_cbranch_vccz .LBB134_1962
; %bb.1961:
	global_load_b64 v[10:11], v[0:1], off
	s_mov_b32 s10, 0
	s_mov_b32 s18, -1
	s_mov_b32 s19, 0
	s_waitcnt vmcnt(0)
	v_cmp_ne_u64_e32 vcc_lo, 0, v[10:11]
	s_and_b32 s9, vcc_lo, exec_lo
	s_branch .LBB134_1964
.LBB134_1962:
	s_mov_b32 s10, -1
                                        ; implicit-def: $sgpr9
.LBB134_1963:
	s_mov_b32 s19, 0
.LBB134_1964:
	s_delay_alu instid0(SALU_CYCLE_1)
	s_and_b32 vcc_lo, exec_lo, s19
	s_cbranch_vccz .LBB134_1982
; %bb.1965:
	v_cmp_gt_i16_e32 vcc_lo, 27, v4
	s_cbranch_vccnz .LBB134_1968
; %bb.1966:
	v_cmp_lt_i16_e32 vcc_lo, 27, v4
	s_cbranch_vccz .LBB134_1969
; %bb.1967:
	global_load_b32 v7, v[0:1], off
	s_mov_b32 s18, 0
	s_waitcnt vmcnt(0)
	v_cmp_ne_u32_e32 vcc_lo, 0, v7
	s_and_b32 s9, vcc_lo, exec_lo
	s_branch .LBB134_1970
.LBB134_1968:
	s_mov_b32 s18, -1
                                        ; implicit-def: $sgpr9
	s_branch .LBB134_1973
.LBB134_1969:
	s_mov_b32 s18, -1
                                        ; implicit-def: $sgpr9
.LBB134_1970:
	s_delay_alu instid0(SALU_CYCLE_1)
	s_and_not1_b32 vcc_lo, exec_lo, s18
	s_cbranch_vccnz .LBB134_1972
; %bb.1971:
	global_load_u16 v7, v[0:1], off
	s_and_not1_b32 s9, s9, exec_lo
	s_waitcnt vmcnt(0)
	v_cmp_ne_u16_e32 vcc_lo, 0, v7
	s_and_b32 s18, vcc_lo, exec_lo
	s_delay_alu instid0(SALU_CYCLE_1)
	s_or_b32 s9, s9, s18
.LBB134_1972:
	s_mov_b32 s18, 0
.LBB134_1973:
	s_delay_alu instid0(SALU_CYCLE_1)
	s_and_not1_b32 vcc_lo, exec_lo, s18
	s_cbranch_vccnz .LBB134_1981
; %bb.1974:
	global_load_u8 v7, v[0:1], off
	s_mov_b32 s18, 0
	s_mov_b32 s19, exec_lo
                                        ; implicit-def: $sgpr9
	s_waitcnt vmcnt(0)
	v_cmpx_lt_i16_e32 0x7f, v7
	s_xor_b32 s19, exec_lo, s19
	s_cbranch_execz .LBB134_1995
; %bb.1975:
	s_mov_b32 s18, -1
	s_mov_b32 s20, exec_lo
                                        ; implicit-def: $sgpr9
	v_cmpx_eq_u16_e32 0x80, v7
; %bb.1976:
	s_mov_b32 s9, -1
	s_xor_b32 s18, exec_lo, -1
; %bb.1977:
	s_or_b32 exec_lo, exec_lo, s20
	s_delay_alu instid0(SALU_CYCLE_1)
	s_and_b32 s18, s18, exec_lo
	s_and_not1_saveexec_b32 s19, s19
	s_cbranch_execnz .LBB134_1996
.LBB134_1978:
	s_or_b32 exec_lo, exec_lo, s19
	s_and_saveexec_b32 s19, s18
	s_cbranch_execz .LBB134_1980
.LBB134_1979:
	v_and_b32_e32 v7, 0xffff, v7
	s_and_not1_b32 s9, s9, exec_lo
	s_delay_alu instid0(VALU_DEP_1) | instskip(NEXT) | instid1(VALU_DEP_1)
	v_and_b32_e32 v10, 7, v7
	v_clz_i32_u32_e32 v11, v10
	s_delay_alu instid0(VALU_DEP_1) | instskip(NEXT) | instid1(VALU_DEP_1)
	v_min_u32_e32 v11, 32, v11
	v_subrev_nc_u32_e32 v12, 28, v11
	v_sub_nc_u32_e32 v11, 29, v11
	s_delay_alu instid0(VALU_DEP_2) | instskip(SKIP_1) | instid1(VALU_DEP_1)
	v_lshlrev_b32_e32 v12, v12, v7
	v_bfe_u32 v7, v7, 3, 4
	v_cmp_eq_u32_e32 vcc_lo, 0, v7
	s_delay_alu instid0(VALU_DEP_3) | instskip(NEXT) | instid1(VALU_DEP_1)
	v_dual_cndmask_b32 v7, v7, v11 :: v_dual_and_b32 v12, 7, v12
	v_cndmask_b32_e32 v10, v10, v12, vcc_lo
	s_delay_alu instid0(VALU_DEP_2) | instskip(NEXT) | instid1(VALU_DEP_2)
	v_lshl_add_u32 v7, v7, 23, 0x3b800000
	v_lshlrev_b32_e32 v10, 20, v10
	s_delay_alu instid0(VALU_DEP_1) | instskip(NEXT) | instid1(VALU_DEP_1)
	v_and_or_b32 v7, 0x7f800000, v7, v10
	v_cmp_ne_u32_e32 vcc_lo, 0, v7
	s_and_b32 s18, vcc_lo, exec_lo
	s_delay_alu instid0(SALU_CYCLE_1)
	s_or_b32 s9, s9, s18
.LBB134_1980:
	s_or_b32 exec_lo, exec_lo, s19
.LBB134_1981:
	s_mov_b32 s18, -1
.LBB134_1982:
	s_mov_b32 s19, 0
.LBB134_1983:
	s_delay_alu instid0(SALU_CYCLE_1)
	s_and_b32 vcc_lo, exec_lo, s19
	s_cbranch_vccz .LBB134_2016
; %bb.1984:
	v_cmp_lt_i16_e32 vcc_lo, 22, v4
	s_cbranch_vccz .LBB134_1994
; %bb.1985:
	v_cmp_gt_i16_e32 vcc_lo, 24, v4
	s_cbranch_vccnz .LBB134_1997
; %bb.1986:
	v_cmp_lt_i16_e32 vcc_lo, 24, v4
	s_cbranch_vccz .LBB134_1998
; %bb.1987:
	global_load_u8 v7, v[0:1], off
	s_mov_b32 s18, exec_lo
                                        ; implicit-def: $sgpr9
	s_waitcnt vmcnt(0)
	v_cmpx_lt_i16_e32 0x7f, v7
	s_xor_b32 s18, exec_lo, s18
	s_cbranch_execz .LBB134_2010
; %bb.1988:
	s_mov_b32 s0, -1
	s_mov_b32 s19, exec_lo
                                        ; implicit-def: $sgpr9
	v_cmpx_eq_u16_e32 0x80, v7
; %bb.1989:
	s_mov_b32 s9, -1
	s_xor_b32 s0, exec_lo, -1
; %bb.1990:
	s_or_b32 exec_lo, exec_lo, s19
	s_delay_alu instid0(SALU_CYCLE_1)
	s_and_b32 s0, s0, exec_lo
	s_and_not1_saveexec_b32 s18, s18
	s_cbranch_execnz .LBB134_2011
.LBB134_1991:
	s_or_b32 exec_lo, exec_lo, s18
	s_and_saveexec_b32 s18, s0
	s_cbranch_execz .LBB134_1993
.LBB134_1992:
	v_and_b32_e32 v7, 0xffff, v7
	s_and_not1_b32 s0, s9, exec_lo
	s_delay_alu instid0(VALU_DEP_1) | instskip(NEXT) | instid1(VALU_DEP_1)
	v_and_b32_e32 v10, 3, v7
	v_clz_i32_u32_e32 v11, v10
	s_delay_alu instid0(VALU_DEP_1) | instskip(NEXT) | instid1(VALU_DEP_1)
	v_min_u32_e32 v11, 32, v11
	v_subrev_nc_u32_e32 v12, 29, v11
	v_sub_nc_u32_e32 v11, 30, v11
	s_delay_alu instid0(VALU_DEP_2) | instskip(SKIP_1) | instid1(VALU_DEP_1)
	v_lshlrev_b32_e32 v12, v12, v7
	v_bfe_u32 v7, v7, 2, 5
	v_cmp_eq_u32_e32 vcc_lo, 0, v7
	s_delay_alu instid0(VALU_DEP_3) | instskip(NEXT) | instid1(VALU_DEP_1)
	v_dual_cndmask_b32 v7, v7, v11 :: v_dual_and_b32 v12, 3, v12
	v_cndmask_b32_e32 v10, v10, v12, vcc_lo
	s_delay_alu instid0(VALU_DEP_2) | instskip(NEXT) | instid1(VALU_DEP_2)
	v_lshl_add_u32 v7, v7, 23, 0x37800000
	v_lshlrev_b32_e32 v10, 21, v10
	s_delay_alu instid0(VALU_DEP_1) | instskip(NEXT) | instid1(VALU_DEP_1)
	v_and_or_b32 v7, 0x7f800000, v7, v10
	v_cmp_ne_u32_e32 vcc_lo, 0, v7
	s_and_b32 s9, vcc_lo, exec_lo
	s_delay_alu instid0(SALU_CYCLE_1)
	s_or_b32 s9, s0, s9
.LBB134_1993:
	s_or_b32 exec_lo, exec_lo, s18
	s_mov_b32 s0, 0
	s_branch .LBB134_1999
.LBB134_1994:
	s_mov_b32 s0, -1
                                        ; implicit-def: $sgpr9
	s_branch .LBB134_2005
.LBB134_1995:
	s_and_not1_saveexec_b32 s19, s19
	s_cbranch_execz .LBB134_1978
.LBB134_1996:
	v_cmp_ne_u16_e32 vcc_lo, 0, v7
	s_and_not1_b32 s18, s18, exec_lo
	s_and_not1_b32 s9, s9, exec_lo
	s_and_b32 s20, vcc_lo, exec_lo
	s_delay_alu instid0(SALU_CYCLE_1)
	s_or_b32 s18, s18, s20
	s_or_b32 exec_lo, exec_lo, s19
	s_and_saveexec_b32 s19, s18
	s_cbranch_execnz .LBB134_1979
	s_branch .LBB134_1980
.LBB134_1997:
	s_mov_b32 s0, -1
                                        ; implicit-def: $sgpr9
	s_branch .LBB134_2002
.LBB134_1998:
	s_mov_b32 s0, -1
                                        ; implicit-def: $sgpr9
.LBB134_1999:
	s_delay_alu instid0(SALU_CYCLE_1)
	s_and_b32 vcc_lo, exec_lo, s0
	s_cbranch_vccz .LBB134_2001
; %bb.2000:
	global_load_u8 v7, v[0:1], off
	s_and_not1_b32 s9, s9, exec_lo
	s_waitcnt vmcnt(0)
	v_lshlrev_b32_e32 v7, 24, v7
	s_delay_alu instid0(VALU_DEP_1) | instskip(NEXT) | instid1(VALU_DEP_1)
	v_and_b32_e32 v7, 0x7f000000, v7
	v_clz_i32_u32_e32 v10, v7
	v_add_nc_u32_e32 v12, 0x1000000, v7
	v_cmp_ne_u32_e32 vcc_lo, 0, v7
	s_delay_alu instid0(VALU_DEP_3) | instskip(NEXT) | instid1(VALU_DEP_3)
	v_min_u32_e32 v10, 32, v10
	v_ashrrev_i32_e32 v12, 8, v12
	s_delay_alu instid0(VALU_DEP_2) | instskip(NEXT) | instid1(VALU_DEP_1)
	v_sub_nc_u32_e64 v10, v10, 4 clamp
	v_lshlrev_b32_e32 v11, v10, v7
	v_lshlrev_b32_e32 v10, 23, v10
	s_delay_alu instid0(VALU_DEP_2) | instskip(NEXT) | instid1(VALU_DEP_1)
	v_lshrrev_b32_e32 v11, 4, v11
	v_sub_nc_u32_e32 v10, v11, v10
	v_and_b32_e32 v11, 0x7f800000, v12
	s_delay_alu instid0(VALU_DEP_2) | instskip(NEXT) | instid1(VALU_DEP_1)
	v_add_nc_u32_e32 v10, 0x3c000000, v10
	v_and_or_b32 v10, 0x7ff00000, v10, v11
	s_delay_alu instid0(VALU_DEP_1) | instskip(NEXT) | instid1(VALU_DEP_1)
	v_cmp_ne_u32_e64 s0, 0, v10
	s_and_b32 s0, vcc_lo, s0
	s_delay_alu instid0(SALU_CYCLE_1) | instskip(NEXT) | instid1(SALU_CYCLE_1)
	s_and_b32 s0, s0, exec_lo
	s_or_b32 s9, s9, s0
.LBB134_2001:
	s_mov_b32 s0, 0
.LBB134_2002:
	s_delay_alu instid0(SALU_CYCLE_1)
	s_and_not1_b32 vcc_lo, exec_lo, s0
	s_cbranch_vccnz .LBB134_2004
; %bb.2003:
	global_load_u8 v7, v[0:1], off
	s_and_not1_b32 s0, s9, exec_lo
	s_waitcnt vmcnt(0)
	v_lshlrev_b32_e32 v10, 25, v7
	v_lshlrev_b32_e32 v7, 8, v7
	s_delay_alu instid0(VALU_DEP_2) | instskip(NEXT) | instid1(VALU_DEP_2)
	v_lshrrev_b32_e32 v11, 4, v10
	v_and_or_b32 v7, 0x7f00, v7, 0.5
	v_cmp_gt_u32_e32 vcc_lo, 0x8000000, v10
	s_delay_alu instid0(VALU_DEP_3) | instskip(NEXT) | instid1(VALU_DEP_3)
	v_or_b32_e32 v11, 0x70000000, v11
	v_add_f32_e32 v7, -0.5, v7
	s_delay_alu instid0(VALU_DEP_2) | instskip(NEXT) | instid1(VALU_DEP_1)
	v_mul_f32_e32 v11, 0x7800000, v11
	v_cndmask_b32_e32 v7, v11, v7, vcc_lo
	s_delay_alu instid0(VALU_DEP_1) | instskip(SKIP_1) | instid1(SALU_CYCLE_1)
	v_cmp_neq_f32_e32 vcc_lo, 0, v7
	s_and_b32 s9, vcc_lo, exec_lo
	s_or_b32 s9, s0, s9
.LBB134_2004:
	s_mov_b32 s0, 0
	s_mov_b32 s18, -1
.LBB134_2005:
	s_and_not1_b32 vcc_lo, exec_lo, s0
	s_mov_b32 s0, 0
	s_cbranch_vccnz .LBB134_2016
; %bb.2006:
	v_cmp_lt_i16_e32 vcc_lo, 14, v4
	s_cbranch_vccz .LBB134_2009
; %bb.2007:
	v_cmp_eq_u16_e32 vcc_lo, 15, v4
	s_cbranch_vccz .LBB134_2012
; %bb.2008:
	global_load_u16 v7, v[0:1], off
	s_mov_b32 s10, 0
	s_mov_b32 s18, -1
	s_waitcnt vmcnt(0)
	v_and_b32_e32 v7, 0x7fff, v7
	s_delay_alu instid0(VALU_DEP_1)
	v_cmp_ne_u16_e32 vcc_lo, 0, v7
	s_and_b32 s9, vcc_lo, exec_lo
	s_branch .LBB134_2014
.LBB134_2009:
	s_mov_b32 s0, -1
	s_branch .LBB134_2013
.LBB134_2010:
	s_and_not1_saveexec_b32 s18, s18
	s_cbranch_execz .LBB134_1991
.LBB134_2011:
	v_cmp_ne_u16_e32 vcc_lo, 0, v7
	s_and_not1_b32 s0, s0, exec_lo
	s_and_not1_b32 s9, s9, exec_lo
	s_and_b32 s19, vcc_lo, exec_lo
	s_delay_alu instid0(SALU_CYCLE_1)
	s_or_b32 s0, s0, s19
	s_or_b32 exec_lo, exec_lo, s18
	s_and_saveexec_b32 s18, s0
	s_cbranch_execnz .LBB134_1992
	s_branch .LBB134_1993
.LBB134_2012:
	s_mov_b32 s10, -1
.LBB134_2013:
                                        ; implicit-def: $sgpr9
.LBB134_2014:
	s_and_b32 vcc_lo, exec_lo, s0
	s_mov_b32 s0, 0
	s_cbranch_vccz .LBB134_2016
; %bb.2015:
	v_cmp_ne_u16_e64 s10, 11, v4
	s_mov_b32 s0, -1
	s_and_not1_b32 s9, s9, exec_lo
.LBB134_2016:
	s_delay_alu instid0(VALU_DEP_1)
	s_and_b32 vcc_lo, exec_lo, s10
	s_cbranch_vccnz .LBB134_2081
; %bb.2017:
	s_and_not1_b32 vcc_lo, exec_lo, s0
	s_cbranch_vccnz .LBB134_2019
.LBB134_2018:
	global_load_u8 v7, v[0:1], off
	s_and_not1_b32 s0, s9, exec_lo
	s_mov_b32 s18, -1
	s_waitcnt vmcnt(0)
	v_cmp_ne_u16_e32 vcc_lo, 0, v7
	s_and_b32 s9, vcc_lo, exec_lo
	s_delay_alu instid0(SALU_CYCLE_1)
	s_or_b32 s9, s0, s9
.LBB134_2019:
	s_mov_b32 s0, 0
.LBB134_2020:
	s_delay_alu instid0(SALU_CYCLE_1)
	s_and_b32 vcc_lo, exec_lo, s0
	s_cbranch_vccz .LBB134_2069
; %bb.2021:
	v_cmp_gt_i16_e32 vcc_lo, 5, v4
	s_cbranch_vccnz .LBB134_2026
; %bb.2022:
	v_cmp_gt_i16_e32 vcc_lo, 8, v4
	s_cbranch_vccnz .LBB134_2027
	;; [unrolled: 3-line block ×3, first 2 shown]
; %bb.2024:
	v_cmp_lt_i16_e32 vcc_lo, 9, v4
	s_cbranch_vccz .LBB134_2029
; %bb.2025:
	global_load_b128 v[10:13], v[0:1], off
	s_waitcnt vmcnt(0)
	v_cmp_neq_f64_e32 vcc_lo, 0, v[10:11]
	v_cmp_neq_f64_e64 s0, 0, v[12:13]
	s_delay_alu instid0(VALU_DEP_1)
	s_or_b32 s9, vcc_lo, s0
	s_mov_b32 s0, 0
	s_and_b32 s9, s9, exec_lo
	s_branch .LBB134_2030
.LBB134_2026:
	s_mov_b32 s0, -1
                                        ; implicit-def: $sgpr9
	s_branch .LBB134_2048
.LBB134_2027:
	s_mov_b32 s0, -1
                                        ; implicit-def: $sgpr9
	s_branch .LBB134_2036
.LBB134_2028:
	s_mov_b32 s0, -1
                                        ; implicit-def: $sgpr9
	s_branch .LBB134_2033
.LBB134_2029:
	s_mov_b32 s0, -1
                                        ; implicit-def: $sgpr9
.LBB134_2030:
	s_delay_alu instid0(SALU_CYCLE_1)
	s_and_not1_b32 vcc_lo, exec_lo, s0
	s_cbranch_vccnz .LBB134_2032
; %bb.2031:
	global_load_b64 v[10:11], v[0:1], off
	s_and_not1_b32 s0, s9, exec_lo
	s_waitcnt vmcnt(0)
	v_or_b32_e32 v7, v10, v11
	s_delay_alu instid0(VALU_DEP_1) | instskip(NEXT) | instid1(VALU_DEP_1)
	v_and_b32_e32 v7, 0x7fffffff, v7
	v_cmp_ne_u32_e32 vcc_lo, 0, v7
	s_and_b32 s9, vcc_lo, exec_lo
	s_delay_alu instid0(SALU_CYCLE_1)
	s_or_b32 s9, s0, s9
.LBB134_2032:
	s_mov_b32 s0, 0
.LBB134_2033:
	s_delay_alu instid0(SALU_CYCLE_1)
	s_and_not1_b32 vcc_lo, exec_lo, s0
	s_cbranch_vccnz .LBB134_2035
; %bb.2034:
	global_load_b32 v7, v[0:1], off
	s_and_not1_b32 s0, s9, exec_lo
	s_waitcnt vmcnt(0)
	v_and_b32_e32 v7, 0x7fff7fff, v7
	s_delay_alu instid0(VALU_DEP_1) | instskip(SKIP_1) | instid1(SALU_CYCLE_1)
	v_cmp_ne_u32_e32 vcc_lo, 0, v7
	s_and_b32 s9, vcc_lo, exec_lo
	s_or_b32 s9, s0, s9
.LBB134_2035:
	s_mov_b32 s0, 0
.LBB134_2036:
	s_delay_alu instid0(SALU_CYCLE_1)
	s_and_not1_b32 vcc_lo, exec_lo, s0
	s_cbranch_vccnz .LBB134_2047
; %bb.2037:
	v_cmp_gt_i16_e32 vcc_lo, 6, v4
	s_cbranch_vccnz .LBB134_2040
; %bb.2038:
	v_cmp_lt_i16_e32 vcc_lo, 6, v4
	s_cbranch_vccz .LBB134_2041
; %bb.2039:
	global_load_b64 v[10:11], v[0:1], off
	s_mov_b32 s0, 0
	s_waitcnt vmcnt(0)
	v_cmp_neq_f64_e32 vcc_lo, 0, v[10:11]
	s_and_b32 s9, vcc_lo, exec_lo
	s_branch .LBB134_2042
.LBB134_2040:
	s_mov_b32 s0, -1
                                        ; implicit-def: $sgpr9
	s_branch .LBB134_2045
.LBB134_2041:
	s_mov_b32 s0, -1
                                        ; implicit-def: $sgpr9
.LBB134_2042:
	s_delay_alu instid0(SALU_CYCLE_1)
	s_and_not1_b32 vcc_lo, exec_lo, s0
	s_cbranch_vccnz .LBB134_2044
; %bb.2043:
	global_load_b32 v7, v[0:1], off
	s_and_not1_b32 s0, s9, exec_lo
	s_waitcnt vmcnt(0)
	v_cmp_neq_f32_e32 vcc_lo, 0, v7
	s_and_b32 s9, vcc_lo, exec_lo
	s_delay_alu instid0(SALU_CYCLE_1)
	s_or_b32 s9, s0, s9
.LBB134_2044:
	s_mov_b32 s0, 0
.LBB134_2045:
	s_delay_alu instid0(SALU_CYCLE_1)
	s_and_not1_b32 vcc_lo, exec_lo, s0
	s_cbranch_vccnz .LBB134_2047
; %bb.2046:
	global_load_u16 v7, v[0:1], off
	s_and_not1_b32 s0, s9, exec_lo
	s_waitcnt vmcnt(0)
	v_and_b32_e32 v7, 0x7fff, v7
	s_delay_alu instid0(VALU_DEP_1) | instskip(SKIP_1) | instid1(SALU_CYCLE_1)
	v_cmp_ne_u16_e32 vcc_lo, 0, v7
	s_and_b32 s9, vcc_lo, exec_lo
	s_or_b32 s9, s0, s9
.LBB134_2047:
	s_mov_b32 s0, 0
.LBB134_2048:
	s_delay_alu instid0(SALU_CYCLE_1)
	s_and_not1_b32 vcc_lo, exec_lo, s0
	s_cbranch_vccnz .LBB134_2068
; %bb.2049:
	v_cmp_gt_i16_e32 vcc_lo, 2, v4
	s_cbranch_vccnz .LBB134_2053
; %bb.2050:
	v_cmp_gt_i16_e32 vcc_lo, 3, v4
	s_cbranch_vccnz .LBB134_2054
; %bb.2051:
	v_cmp_lt_i16_e32 vcc_lo, 3, v4
	s_cbranch_vccz .LBB134_2055
; %bb.2052:
	global_load_b64 v[10:11], v[0:1], off
	s_mov_b32 s0, 0
	s_waitcnt vmcnt(0)
	v_cmp_ne_u64_e32 vcc_lo, 0, v[10:11]
	s_and_b32 s9, vcc_lo, exec_lo
	s_branch .LBB134_2056
.LBB134_2053:
	s_mov_b32 s0, -1
                                        ; implicit-def: $sgpr9
	s_branch .LBB134_2062
.LBB134_2054:
	s_mov_b32 s0, -1
                                        ; implicit-def: $sgpr9
	s_branch .LBB134_2059
.LBB134_2055:
	s_mov_b32 s0, -1
                                        ; implicit-def: $sgpr9
.LBB134_2056:
	s_delay_alu instid0(SALU_CYCLE_1)
	s_and_not1_b32 vcc_lo, exec_lo, s0
	s_cbranch_vccnz .LBB134_2058
; %bb.2057:
	global_load_b32 v7, v[0:1], off
	s_and_not1_b32 s0, s9, exec_lo
	s_waitcnt vmcnt(0)
	v_cmp_ne_u32_e32 vcc_lo, 0, v7
	s_and_b32 s9, vcc_lo, exec_lo
	s_delay_alu instid0(SALU_CYCLE_1)
	s_or_b32 s9, s0, s9
.LBB134_2058:
	s_mov_b32 s0, 0
.LBB134_2059:
	s_delay_alu instid0(SALU_CYCLE_1)
	s_and_not1_b32 vcc_lo, exec_lo, s0
	s_cbranch_vccnz .LBB134_2061
; %bb.2060:
	global_load_u16 v7, v[0:1], off
	s_and_not1_b32 s0, s9, exec_lo
	s_waitcnt vmcnt(0)
	v_cmp_ne_u16_e32 vcc_lo, 0, v7
	s_and_b32 s9, vcc_lo, exec_lo
	s_delay_alu instid0(SALU_CYCLE_1)
	s_or_b32 s9, s0, s9
.LBB134_2061:
	s_mov_b32 s0, 0
.LBB134_2062:
	s_delay_alu instid0(SALU_CYCLE_1)
	s_and_not1_b32 vcc_lo, exec_lo, s0
	s_cbranch_vccnz .LBB134_2068
; %bb.2063:
	v_cmp_lt_i16_e32 vcc_lo, 0, v4
	s_mov_b32 s0, 0
	s_cbranch_vccz .LBB134_2065
; %bb.2064:
	global_load_u8 v7, v[0:1], off
	s_waitcnt vmcnt(0)
	v_cmp_ne_u16_e32 vcc_lo, 0, v7
	s_and_b32 s9, vcc_lo, exec_lo
	s_branch .LBB134_2066
.LBB134_2065:
	s_mov_b32 s0, -1
                                        ; implicit-def: $sgpr9
.LBB134_2066:
	s_delay_alu instid0(SALU_CYCLE_1)
	s_and_not1_b32 vcc_lo, exec_lo, s0
	s_cbranch_vccnz .LBB134_2068
; %bb.2067:
	global_load_u8 v0, v[0:1], off
	s_and_not1_b32 s0, s9, exec_lo
	s_waitcnt vmcnt(0)
	v_cmp_ne_u16_e32 vcc_lo, 0, v0
	s_and_b32 s9, vcc_lo, exec_lo
	s_delay_alu instid0(SALU_CYCLE_1)
	s_or_b32 s9, s0, s9
.LBB134_2068:
	s_mov_b32 s18, -1
.LBB134_2069:
	s_delay_alu instid0(SALU_CYCLE_1)
	s_and_not1_b32 vcc_lo, exec_lo, s18
	s_cbranch_vccnz .LBB134_3037
; %bb.2070:
	v_add_nc_u32_e32 v8, s14, v8
	v_cmp_gt_i16_e32 vcc_lo, 11, v5
	s_delay_alu instid0(VALU_DEP_2) | instskip(SKIP_1) | instid1(VALU_DEP_1)
	v_ashrrev_i32_e32 v1, 31, v8
	v_add_co_u32 v0, s0, s6, v8
	v_add_co_ci_u32_e64 v1, s0, s7, v1, s0
	s_cbranch_vccnz .LBB134_2077
; %bb.2071:
	v_cmp_lt_i16_e32 vcc_lo, 25, v5
	s_mov_b32 s10, 0
	s_cbranch_vccz .LBB134_2078
; %bb.2072:
	v_cmp_lt_i16_e32 vcc_lo, 28, v5
	s_cbranch_vccz .LBB134_2079
; %bb.2073:
	v_cmp_lt_i16_e32 vcc_lo, 43, v5
	;; [unrolled: 3-line block ×3, first 2 shown]
	s_cbranch_vccz .LBB134_2083
; %bb.2075:
	v_cmp_eq_u16_e32 vcc_lo, 46, v5
	s_mov_b32 s19, 0
	s_cbranch_vccz .LBB134_2086
; %bb.2076:
	global_load_b32 v7, v[0:1], off
	s_mov_b32 s0, 0
	s_mov_b32 s18, -1
	s_waitcnt vmcnt(0)
	v_lshlrev_b32_e32 v7, 16, v7
	s_delay_alu instid0(VALU_DEP_1)
	v_cvt_f16_f32_e32 v7, v7
	s_branch .LBB134_2088
.LBB134_2077:
	s_mov_b32 s0, -1
	s_mov_b32 s18, 0
                                        ; implicit-def: $vgpr7
	s_branch .LBB134_2154
.LBB134_2078:
	s_mov_b32 s19, -1
	s_mov_b32 s18, 0
	s_mov_b32 s0, 0
                                        ; implicit-def: $vgpr7
	s_branch .LBB134_2117
.LBB134_2079:
	s_mov_b32 s19, -1
	s_mov_b32 s18, 0
	s_mov_b32 s0, 0
                                        ; implicit-def: $vgpr7
	s_branch .LBB134_2098
.LBB134_2080:
	s_mov_b32 s19, -1
	s_mov_b32 s18, 0
	s_mov_b32 s0, 0
                                        ; implicit-def: $vgpr7
	s_branch .LBB134_2093
.LBB134_2081:
	s_cbranch_execnz .LBB134_2084
; %bb.2082:
	s_mov_b32 s18, 0
	s_and_not1_b32 s9, s9, exec_lo
	s_or_b32 s13, s13, exec_lo
	s_cbranch_execz .LBB134_2018
	s_branch .LBB134_2019
.LBB134_2083:
	s_mov_b32 s19, -1
	s_mov_b32 s18, 0
	s_mov_b32 s0, 0
	s_branch .LBB134_2087
.LBB134_2084:
	s_trap 2
	s_sendmsg_rtn_b32 s0, sendmsg(MSG_RTN_GET_DOORBELL)
	s_mov_b32 ttmp2, m0
	s_waitcnt lgkmcnt(0)
	s_and_b32 s0, s0, 0x3ff
	s_delay_alu instid0(SALU_CYCLE_1) | instskip(NEXT) | instid1(SALU_CYCLE_1)
	s_bitset1_b32 s0, 10
	s_mov_b32 m0, s0
	s_sendmsg sendmsg(MSG_INTERRUPT)
	s_mov_b32 m0, ttmp2
.LBB134_2085:                           ; =>This Inner Loop Header: Depth=1
	s_sethalt 5
	s_branch .LBB134_2085
.LBB134_2086:
	s_mov_b32 s0, -1
	s_mov_b32 s18, 0
.LBB134_2087:
                                        ; implicit-def: $vgpr7
.LBB134_2088:
	s_and_b32 vcc_lo, exec_lo, s19
	s_cbranch_vccz .LBB134_2092
; %bb.2089:
	v_cmp_eq_u16_e32 vcc_lo, 44, v5
	s_cbranch_vccz .LBB134_2091
; %bb.2090:
	global_load_u8 v7, v[0:1], off
	s_mov_b32 s0, 0
	s_mov_b32 s18, -1
	s_waitcnt vmcnt(0)
	v_lshlrev_b32_e32 v10, 23, v7
	v_cmp_ne_u32_e32 vcc_lo, 0xff, v7
	s_delay_alu instid0(VALU_DEP_2) | instskip(NEXT) | instid1(VALU_DEP_1)
	v_cvt_f16_f32_e32 v10, v10
	v_cndmask_b32_e32 v10, 0x7e00, v10, vcc_lo
	v_cmp_ne_u32_e32 vcc_lo, 0, v7
	s_delay_alu instid0(VALU_DEP_2)
	v_cndmask_b32_e32 v7, 0, v10, vcc_lo
	s_branch .LBB134_2092
.LBB134_2091:
	s_mov_b32 s0, -1
                                        ; implicit-def: $vgpr7
.LBB134_2092:
	s_mov_b32 s19, 0
.LBB134_2093:
	s_delay_alu instid0(SALU_CYCLE_1)
	s_and_b32 vcc_lo, exec_lo, s19
	s_cbranch_vccz .LBB134_2097
; %bb.2094:
	v_cmp_eq_u16_e32 vcc_lo, 29, v5
	s_cbranch_vccz .LBB134_2096
; %bb.2095:
	global_load_b64 v[10:11], v[0:1], off
	s_mov_b32 s0, 0
	s_mov_b32 s18, -1
	s_mov_b32 s19, 0
	s_waitcnt vmcnt(0)
	v_clz_i32_u32_e32 v7, v11
	s_delay_alu instid0(VALU_DEP_1) | instskip(NEXT) | instid1(VALU_DEP_1)
	v_min_u32_e32 v7, 32, v7
	v_lshlrev_b64 v[10:11], v7, v[10:11]
	v_sub_nc_u32_e32 v7, 32, v7
	s_delay_alu instid0(VALU_DEP_2) | instskip(NEXT) | instid1(VALU_DEP_1)
	v_min_u32_e32 v10, 1, v10
	v_or_b32_e32 v10, v11, v10
	s_delay_alu instid0(VALU_DEP_1) | instskip(NEXT) | instid1(VALU_DEP_1)
	v_cvt_f32_u32_e32 v10, v10
	v_ldexp_f32 v7, v10, v7
	s_delay_alu instid0(VALU_DEP_1)
	v_cvt_f16_f32_e32 v7, v7
	s_branch .LBB134_2098
.LBB134_2096:
	s_mov_b32 s0, -1
                                        ; implicit-def: $vgpr7
.LBB134_2097:
	s_mov_b32 s19, 0
.LBB134_2098:
	s_delay_alu instid0(SALU_CYCLE_1)
	s_and_b32 vcc_lo, exec_lo, s19
	s_cbranch_vccz .LBB134_2116
; %bb.2099:
	v_cmp_gt_i16_e32 vcc_lo, 27, v5
	s_cbranch_vccnz .LBB134_2102
; %bb.2100:
	v_cmp_lt_i16_e32 vcc_lo, 27, v5
	s_cbranch_vccz .LBB134_2103
; %bb.2101:
	global_load_b32 v7, v[0:1], off
	s_mov_b32 s18, 0
	s_waitcnt vmcnt(0)
	v_cvt_f32_u32_e32 v7, v7
	s_delay_alu instid0(VALU_DEP_1)
	v_cvt_f16_f32_e32 v7, v7
	s_branch .LBB134_2104
.LBB134_2102:
	s_mov_b32 s18, -1
                                        ; implicit-def: $vgpr7
	s_branch .LBB134_2107
.LBB134_2103:
	s_mov_b32 s18, -1
                                        ; implicit-def: $vgpr7
.LBB134_2104:
	s_delay_alu instid0(SALU_CYCLE_1)
	s_and_not1_b32 vcc_lo, exec_lo, s18
	s_cbranch_vccnz .LBB134_2106
; %bb.2105:
	global_load_u16 v7, v[0:1], off
	s_waitcnt vmcnt(0)
	v_cvt_f16_u16_e32 v7, v7
.LBB134_2106:
	s_mov_b32 s18, 0
.LBB134_2107:
	s_delay_alu instid0(SALU_CYCLE_1)
	s_and_not1_b32 vcc_lo, exec_lo, s18
	s_cbranch_vccnz .LBB134_2115
; %bb.2108:
	global_load_u8 v10, v[0:1], off
	s_mov_b32 s18, 0
	s_mov_b32 s20, exec_lo
                                        ; implicit-def: $sgpr19
	s_waitcnt vmcnt(0)
	v_cmpx_lt_i16_e32 0x7f, v10
	s_xor_b32 s20, exec_lo, s20
	s_cbranch_execz .LBB134_2129
; %bb.2109:
	s_mov_b32 s18, -1
	s_mov_b32 s21, exec_lo
                                        ; implicit-def: $sgpr19
	v_cmpx_eq_u16_e32 0x80, v10
; %bb.2110:
	s_movk_i32 s19, 0x7e00
	s_xor_b32 s18, exec_lo, -1
; %bb.2111:
	s_or_b32 exec_lo, exec_lo, s21
	s_delay_alu instid0(SALU_CYCLE_1)
	s_and_b32 s18, s18, exec_lo
	s_or_saveexec_b32 s20, s20
	v_mov_b32_e32 v7, s19
	s_xor_b32 exec_lo, exec_lo, s20
	s_cbranch_execnz .LBB134_2130
.LBB134_2112:
	s_or_b32 exec_lo, exec_lo, s20
	s_and_saveexec_b32 s19, s18
	s_cbranch_execz .LBB134_2114
.LBB134_2113:
	v_and_b32_e32 v7, 0xffff, v10
	s_delay_alu instid0(VALU_DEP_1) | instskip(NEXT) | instid1(VALU_DEP_1)
	v_and_b32_e32 v11, 7, v7
	v_clz_i32_u32_e32 v12, v11
	s_delay_alu instid0(VALU_DEP_1) | instskip(NEXT) | instid1(VALU_DEP_1)
	v_min_u32_e32 v12, 32, v12
	v_subrev_nc_u32_e32 v13, 28, v12
	v_sub_nc_u32_e32 v12, 29, v12
	s_delay_alu instid0(VALU_DEP_2) | instskip(SKIP_1) | instid1(VALU_DEP_2)
	v_lshlrev_b32_e32 v13, v13, v7
	v_bfe_u32 v7, v7, 3, 4
	v_and_b32_e32 v13, 7, v13
	s_delay_alu instid0(VALU_DEP_2) | instskip(SKIP_1) | instid1(VALU_DEP_1)
	v_cmp_eq_u32_e32 vcc_lo, 0, v7
	v_dual_cndmask_b32 v7, v7, v12 :: v_dual_lshlrev_b32 v10, 24, v10
	v_dual_cndmask_b32 v11, v11, v13 :: v_dual_and_b32 v10, 0x80000000, v10
	s_delay_alu instid0(VALU_DEP_2) | instskip(NEXT) | instid1(VALU_DEP_2)
	v_lshl_add_u32 v7, v7, 23, 0x3b800000
	v_lshlrev_b32_e32 v11, 20, v11
	s_delay_alu instid0(VALU_DEP_1) | instskip(NEXT) | instid1(VALU_DEP_1)
	v_or3_b32 v7, v10, v7, v11
	v_cvt_f16_f32_e32 v7, v7
.LBB134_2114:
	s_or_b32 exec_lo, exec_lo, s19
.LBB134_2115:
	s_mov_b32 s18, -1
.LBB134_2116:
	s_mov_b32 s19, 0
.LBB134_2117:
	s_delay_alu instid0(SALU_CYCLE_1)
	s_and_b32 vcc_lo, exec_lo, s19
	s_cbranch_vccz .LBB134_2150
; %bb.2118:
	v_cmp_lt_i16_e32 vcc_lo, 22, v5
	s_cbranch_vccz .LBB134_2128
; %bb.2119:
	v_cmp_gt_i16_e32 vcc_lo, 24, v5
	s_cbranch_vccnz .LBB134_2131
; %bb.2120:
	v_cmp_lt_i16_e32 vcc_lo, 24, v5
	s_cbranch_vccz .LBB134_2132
; %bb.2121:
	global_load_u8 v10, v[0:1], off
	s_mov_b32 s19, exec_lo
                                        ; implicit-def: $sgpr18
	s_waitcnt vmcnt(0)
	v_cmpx_lt_i16_e32 0x7f, v10
	s_xor_b32 s19, exec_lo, s19
	s_cbranch_execz .LBB134_2144
; %bb.2122:
	s_mov_b32 s10, -1
	s_mov_b32 s20, exec_lo
                                        ; implicit-def: $sgpr18
	v_cmpx_eq_u16_e32 0x80, v10
; %bb.2123:
	s_movk_i32 s18, 0x7e00
	s_xor_b32 s10, exec_lo, -1
; %bb.2124:
	s_or_b32 exec_lo, exec_lo, s20
	s_delay_alu instid0(SALU_CYCLE_1)
	s_and_b32 s10, s10, exec_lo
	s_or_saveexec_b32 s19, s19
	v_mov_b32_e32 v7, s18
	s_xor_b32 exec_lo, exec_lo, s19
	s_cbranch_execnz .LBB134_2145
.LBB134_2125:
	s_or_b32 exec_lo, exec_lo, s19
	s_and_saveexec_b32 s18, s10
	s_cbranch_execz .LBB134_2127
.LBB134_2126:
	v_and_b32_e32 v7, 0xffff, v10
	s_delay_alu instid0(VALU_DEP_1) | instskip(NEXT) | instid1(VALU_DEP_1)
	v_and_b32_e32 v11, 3, v7
	v_clz_i32_u32_e32 v12, v11
	s_delay_alu instid0(VALU_DEP_1) | instskip(NEXT) | instid1(VALU_DEP_1)
	v_min_u32_e32 v12, 32, v12
	v_subrev_nc_u32_e32 v13, 29, v12
	v_sub_nc_u32_e32 v12, 30, v12
	s_delay_alu instid0(VALU_DEP_2) | instskip(SKIP_1) | instid1(VALU_DEP_2)
	v_lshlrev_b32_e32 v13, v13, v7
	v_bfe_u32 v7, v7, 2, 5
	v_and_b32_e32 v13, 3, v13
	s_delay_alu instid0(VALU_DEP_2) | instskip(SKIP_1) | instid1(VALU_DEP_1)
	v_cmp_eq_u32_e32 vcc_lo, 0, v7
	v_dual_cndmask_b32 v7, v7, v12 :: v_dual_lshlrev_b32 v10, 24, v10
	v_dual_cndmask_b32 v11, v11, v13 :: v_dual_and_b32 v10, 0x80000000, v10
	s_delay_alu instid0(VALU_DEP_2) | instskip(NEXT) | instid1(VALU_DEP_2)
	v_lshl_add_u32 v7, v7, 23, 0x37800000
	v_lshlrev_b32_e32 v11, 21, v11
	s_delay_alu instid0(VALU_DEP_1) | instskip(NEXT) | instid1(VALU_DEP_1)
	v_or3_b32 v7, v10, v7, v11
	v_cvt_f16_f32_e32 v7, v7
.LBB134_2127:
	s_or_b32 exec_lo, exec_lo, s18
	s_mov_b32 s10, 0
	s_branch .LBB134_2133
.LBB134_2128:
	s_mov_b32 s10, -1
                                        ; implicit-def: $vgpr7
	s_branch .LBB134_2139
.LBB134_2129:
	s_or_saveexec_b32 s20, s20
	v_mov_b32_e32 v7, s19
	s_xor_b32 exec_lo, exec_lo, s20
	s_cbranch_execz .LBB134_2112
.LBB134_2130:
	v_cmp_ne_u16_e32 vcc_lo, 0, v10
	v_mov_b32_e32 v7, v10
	s_and_not1_b32 s18, s18, exec_lo
	s_and_b32 s19, vcc_lo, exec_lo
	s_delay_alu instid0(SALU_CYCLE_1)
	s_or_b32 s18, s18, s19
	s_or_b32 exec_lo, exec_lo, s20
	s_and_saveexec_b32 s19, s18
	s_cbranch_execnz .LBB134_2113
	s_branch .LBB134_2114
.LBB134_2131:
	s_mov_b32 s10, -1
                                        ; implicit-def: $vgpr7
	s_branch .LBB134_2136
.LBB134_2132:
	s_mov_b32 s10, -1
                                        ; implicit-def: $vgpr7
.LBB134_2133:
	s_delay_alu instid0(SALU_CYCLE_1)
	s_and_b32 vcc_lo, exec_lo, s10
	s_cbranch_vccz .LBB134_2135
; %bb.2134:
	global_load_u8 v7, v[0:1], off
	s_waitcnt vmcnt(0)
	v_lshlrev_b32_e32 v7, 24, v7
	s_delay_alu instid0(VALU_DEP_1) | instskip(NEXT) | instid1(VALU_DEP_1)
	v_and_b32_e32 v10, 0x7f000000, v7
	v_clz_i32_u32_e32 v11, v10
	v_cmp_ne_u32_e32 vcc_lo, 0, v10
	v_add_nc_u32_e32 v13, 0x1000000, v10
	s_delay_alu instid0(VALU_DEP_3) | instskip(NEXT) | instid1(VALU_DEP_1)
	v_min_u32_e32 v11, 32, v11
	v_sub_nc_u32_e64 v11, v11, 4 clamp
	s_delay_alu instid0(VALU_DEP_1) | instskip(SKIP_1) | instid1(VALU_DEP_2)
	v_lshlrev_b32_e32 v12, v11, v10
	v_lshlrev_b32_e32 v11, 23, v11
	v_lshrrev_b32_e32 v12, 4, v12
	s_delay_alu instid0(VALU_DEP_1) | instskip(SKIP_1) | instid1(VALU_DEP_2)
	v_sub_nc_u32_e32 v11, v12, v11
	v_ashrrev_i32_e32 v12, 8, v13
	v_add_nc_u32_e32 v11, 0x3c000000, v11
	s_delay_alu instid0(VALU_DEP_1) | instskip(NEXT) | instid1(VALU_DEP_1)
	v_and_or_b32 v11, 0x7f800000, v12, v11
	v_cndmask_b32_e32 v10, 0, v11, vcc_lo
	s_delay_alu instid0(VALU_DEP_1) | instskip(NEXT) | instid1(VALU_DEP_1)
	v_and_or_b32 v7, 0x80000000, v7, v10
	v_cvt_f16_f32_e32 v7, v7
.LBB134_2135:
	s_mov_b32 s10, 0
.LBB134_2136:
	s_delay_alu instid0(SALU_CYCLE_1)
	s_and_not1_b32 vcc_lo, exec_lo, s10
	s_cbranch_vccnz .LBB134_2138
; %bb.2137:
	global_load_u8 v7, v[0:1], off
	s_waitcnt vmcnt(0)
	v_lshlrev_b32_e32 v10, 25, v7
	v_lshlrev_b16 v7, 8, v7
	s_delay_alu instid0(VALU_DEP_2) | instskip(NEXT) | instid1(VALU_DEP_2)
	v_lshrrev_b32_e32 v11, 4, v10
	v_and_or_b32 v12, 0x7f00, v7, 0.5
	v_cmp_gt_u32_e32 vcc_lo, 0x8000000, v10
	v_bfe_i32 v7, v7, 0, 16
	s_delay_alu instid0(VALU_DEP_4) | instskip(NEXT) | instid1(VALU_DEP_1)
	v_or_b32_e32 v11, 0x70000000, v11
	v_dual_add_f32 v12, -0.5, v12 :: v_dual_mul_f32 v11, 0x7800000, v11
	s_delay_alu instid0(VALU_DEP_1) | instskip(NEXT) | instid1(VALU_DEP_1)
	v_cndmask_b32_e32 v10, v11, v12, vcc_lo
	v_and_or_b32 v7, 0x80000000, v7, v10
	s_delay_alu instid0(VALU_DEP_1)
	v_cvt_f16_f32_e32 v7, v7
.LBB134_2138:
	s_mov_b32 s10, 0
	s_mov_b32 s18, -1
.LBB134_2139:
	s_and_not1_b32 vcc_lo, exec_lo, s10
	s_mov_b32 s10, 0
	s_cbranch_vccnz .LBB134_2150
; %bb.2140:
	v_cmp_lt_i16_e32 vcc_lo, 14, v5
	s_cbranch_vccz .LBB134_2143
; %bb.2141:
	v_cmp_eq_u16_e32 vcc_lo, 15, v5
	s_cbranch_vccz .LBB134_2146
; %bb.2142:
	global_load_u16 v7, v[0:1], off
	s_mov_b32 s0, 0
	s_mov_b32 s18, -1
	s_waitcnt vmcnt(0)
	v_lshlrev_b32_e32 v7, 16, v7
	s_delay_alu instid0(VALU_DEP_1)
	v_cvt_f16_f32_e32 v7, v7
	s_branch .LBB134_2148
.LBB134_2143:
	s_mov_b32 s10, -1
	s_branch .LBB134_2147
.LBB134_2144:
	s_or_saveexec_b32 s19, s19
	v_mov_b32_e32 v7, s18
	s_xor_b32 exec_lo, exec_lo, s19
	s_cbranch_execz .LBB134_2125
.LBB134_2145:
	v_cmp_ne_u16_e32 vcc_lo, 0, v10
	v_mov_b32_e32 v7, v10
	s_and_not1_b32 s10, s10, exec_lo
	s_and_b32 s18, vcc_lo, exec_lo
	s_delay_alu instid0(SALU_CYCLE_1)
	s_or_b32 s10, s10, s18
	s_or_b32 exec_lo, exec_lo, s19
	s_and_saveexec_b32 s18, s10
	s_cbranch_execnz .LBB134_2126
	s_branch .LBB134_2127
.LBB134_2146:
	s_mov_b32 s0, -1
.LBB134_2147:
                                        ; implicit-def: $vgpr7
.LBB134_2148:
	s_and_b32 vcc_lo, exec_lo, s10
	s_mov_b32 s10, 0
	s_cbranch_vccz .LBB134_2150
; %bb.2149:
	v_cmp_ne_u16_e64 s0, 11, v5
	s_mov_b32 s10, -1
                                        ; implicit-def: $vgpr7
.LBB134_2150:
	s_delay_alu instid0(VALU_DEP_1)
	s_and_b32 vcc_lo, exec_lo, s0
	s_cbranch_vccnz .LBB134_2215
; %bb.2151:
	s_and_not1_b32 vcc_lo, exec_lo, s10
	s_cbranch_vccnz .LBB134_2153
.LBB134_2152:
	global_load_u8 v7, v[0:1], off
	s_mov_b32 s18, -1
	s_waitcnt vmcnt(0)
	v_cmp_ne_u16_e32 vcc_lo, 0, v7
	v_cndmask_b32_e64 v7, 0, 0x3c00, vcc_lo
.LBB134_2153:
	s_mov_b32 s0, 0
.LBB134_2154:
	s_delay_alu instid0(SALU_CYCLE_1)
	s_and_b32 vcc_lo, exec_lo, s0
	s_cbranch_vccz .LBB134_2203
; %bb.2155:
	v_cmp_gt_i16_e32 vcc_lo, 5, v5
	s_cbranch_vccnz .LBB134_2160
; %bb.2156:
	v_cmp_gt_i16_e32 vcc_lo, 8, v5
	s_cbranch_vccnz .LBB134_2161
	;; [unrolled: 3-line block ×3, first 2 shown]
; %bb.2158:
	v_cmp_lt_i16_e32 vcc_lo, 9, v5
	s_cbranch_vccz .LBB134_2163
; %bb.2159:
	global_load_b64 v[10:11], v[0:1], off
	s_mov_b32 s0, 0
	s_waitcnt vmcnt(0)
	v_cvt_f32_f64_e32 v7, v[10:11]
	s_delay_alu instid0(VALU_DEP_1)
	v_cvt_f16_f32_e32 v7, v7
	s_branch .LBB134_2164
.LBB134_2160:
	s_mov_b32 s0, -1
                                        ; implicit-def: $vgpr7
	s_branch .LBB134_2182
.LBB134_2161:
	s_mov_b32 s0, -1
                                        ; implicit-def: $vgpr7
	s_branch .LBB134_2170
.LBB134_2162:
	s_mov_b32 s0, -1
                                        ; implicit-def: $vgpr7
	s_branch .LBB134_2167
.LBB134_2163:
	s_mov_b32 s0, -1
                                        ; implicit-def: $vgpr7
.LBB134_2164:
	s_delay_alu instid0(SALU_CYCLE_1)
	s_and_not1_b32 vcc_lo, exec_lo, s0
	s_cbranch_vccnz .LBB134_2166
; %bb.2165:
	global_load_b32 v7, v[0:1], off
	s_waitcnt vmcnt(0)
	v_cvt_f16_f32_e32 v7, v7
.LBB134_2166:
	s_mov_b32 s0, 0
.LBB134_2167:
	s_delay_alu instid0(SALU_CYCLE_1)
	s_and_not1_b32 vcc_lo, exec_lo, s0
	s_cbranch_vccnz .LBB134_2169
; %bb.2168:
	global_load_b32 v7, v[0:1], off
.LBB134_2169:
	s_mov_b32 s0, 0
.LBB134_2170:
	s_delay_alu instid0(SALU_CYCLE_1)
	s_and_not1_b32 vcc_lo, exec_lo, s0
	s_cbranch_vccnz .LBB134_2181
; %bb.2171:
	v_cmp_gt_i16_e32 vcc_lo, 6, v5
	s_cbranch_vccnz .LBB134_2174
; %bb.2172:
	v_cmp_lt_i16_e32 vcc_lo, 6, v5
	s_cbranch_vccz .LBB134_2175
; %bb.2173:
	global_load_b64 v[10:11], v[0:1], off
	s_mov_b32 s0, 0
	s_waitcnt vmcnt(0)
	v_cvt_f32_f64_e32 v7, v[10:11]
	s_delay_alu instid0(VALU_DEP_1)
	v_cvt_f16_f32_e32 v7, v7
	s_branch .LBB134_2176
.LBB134_2174:
	s_mov_b32 s0, -1
                                        ; implicit-def: $vgpr7
	s_branch .LBB134_2179
.LBB134_2175:
	s_mov_b32 s0, -1
                                        ; implicit-def: $vgpr7
.LBB134_2176:
	s_delay_alu instid0(SALU_CYCLE_1)
	s_and_not1_b32 vcc_lo, exec_lo, s0
	s_cbranch_vccnz .LBB134_2178
; %bb.2177:
	global_load_b32 v7, v[0:1], off
	s_waitcnt vmcnt(0)
	v_cvt_f16_f32_e32 v7, v7
.LBB134_2178:
	s_mov_b32 s0, 0
.LBB134_2179:
	s_delay_alu instid0(SALU_CYCLE_1)
	s_and_not1_b32 vcc_lo, exec_lo, s0
	s_cbranch_vccnz .LBB134_2181
; %bb.2180:
	global_load_u16 v7, v[0:1], off
.LBB134_2181:
	s_mov_b32 s0, 0
.LBB134_2182:
	s_delay_alu instid0(SALU_CYCLE_1)
	s_and_not1_b32 vcc_lo, exec_lo, s0
	s_cbranch_vccnz .LBB134_2202
; %bb.2183:
	v_cmp_gt_i16_e32 vcc_lo, 2, v5
	s_cbranch_vccnz .LBB134_2187
; %bb.2184:
	v_cmp_gt_i16_e32 vcc_lo, 3, v5
	s_cbranch_vccnz .LBB134_2188
; %bb.2185:
	v_cmp_lt_i16_e32 vcc_lo, 3, v5
	s_cbranch_vccz .LBB134_2189
; %bb.2186:
	global_load_b64 v[10:11], v[0:1], off
	s_mov_b32 s0, 0
	s_waitcnt vmcnt(0)
	v_xor_b32_e32 v7, v10, v11
	v_cls_i32_e32 v12, v11
	s_delay_alu instid0(VALU_DEP_2) | instskip(NEXT) | instid1(VALU_DEP_2)
	v_ashrrev_i32_e32 v7, 31, v7
	v_add_nc_u32_e32 v12, -1, v12
	s_delay_alu instid0(VALU_DEP_2) | instskip(NEXT) | instid1(VALU_DEP_1)
	v_add_nc_u32_e32 v7, 32, v7
	v_min_u32_e32 v7, v12, v7
	s_delay_alu instid0(VALU_DEP_1) | instskip(SKIP_1) | instid1(VALU_DEP_2)
	v_lshlrev_b64 v[10:11], v7, v[10:11]
	v_sub_nc_u32_e32 v7, 32, v7
	v_min_u32_e32 v10, 1, v10
	s_delay_alu instid0(VALU_DEP_1) | instskip(NEXT) | instid1(VALU_DEP_1)
	v_or_b32_e32 v10, v11, v10
	v_cvt_f32_i32_e32 v10, v10
	s_delay_alu instid0(VALU_DEP_1) | instskip(NEXT) | instid1(VALU_DEP_1)
	v_ldexp_f32 v7, v10, v7
	v_cvt_f16_f32_e32 v7, v7
	s_branch .LBB134_2190
.LBB134_2187:
	s_mov_b32 s0, -1
                                        ; implicit-def: $vgpr7
	s_branch .LBB134_2196
.LBB134_2188:
	s_mov_b32 s0, -1
                                        ; implicit-def: $vgpr7
	s_branch .LBB134_2193
.LBB134_2189:
	s_mov_b32 s0, -1
                                        ; implicit-def: $vgpr7
.LBB134_2190:
	s_delay_alu instid0(SALU_CYCLE_1)
	s_and_not1_b32 vcc_lo, exec_lo, s0
	s_cbranch_vccnz .LBB134_2192
; %bb.2191:
	global_load_b32 v7, v[0:1], off
	s_waitcnt vmcnt(0)
	v_cvt_f32_i32_e32 v7, v7
	s_delay_alu instid0(VALU_DEP_1)
	v_cvt_f16_f32_e32 v7, v7
.LBB134_2192:
	s_mov_b32 s0, 0
.LBB134_2193:
	s_delay_alu instid0(SALU_CYCLE_1)
	s_and_not1_b32 vcc_lo, exec_lo, s0
	s_cbranch_vccnz .LBB134_2195
; %bb.2194:
	global_load_u16 v7, v[0:1], off
	s_waitcnt vmcnt(0)
	v_cvt_f16_i16_e32 v7, v7
.LBB134_2195:
	s_mov_b32 s0, 0
.LBB134_2196:
	s_delay_alu instid0(SALU_CYCLE_1)
	s_and_not1_b32 vcc_lo, exec_lo, s0
	s_cbranch_vccnz .LBB134_2202
; %bb.2197:
	v_cmp_lt_i16_e32 vcc_lo, 0, v5
	s_mov_b32 s0, 0
	s_cbranch_vccz .LBB134_2199
; %bb.2198:
	global_load_i8 v7, v[0:1], off
	s_waitcnt vmcnt(0)
	v_cvt_f16_i16_e32 v7, v7
	s_branch .LBB134_2200
.LBB134_2199:
	s_mov_b32 s0, -1
                                        ; implicit-def: $vgpr7
.LBB134_2200:
	s_delay_alu instid0(SALU_CYCLE_1)
	s_and_not1_b32 vcc_lo, exec_lo, s0
	s_cbranch_vccnz .LBB134_2202
; %bb.2201:
	global_load_u8 v0, v[0:1], off
	s_waitcnt vmcnt(0)
	v_cvt_f16_u16_e32 v7, v0
.LBB134_2202:
	s_mov_b32 s18, -1
.LBB134_2203:
	s_delay_alu instid0(SALU_CYCLE_1)
	s_and_not1_b32 vcc_lo, exec_lo, s18
	s_cbranch_vccnz .LBB134_3037
; %bb.2204:
	v_add_nc_u32_e32 v9, s17, v9
	v_cmp_gt_i16_e32 vcc_lo, 11, v4
	s_delay_alu instid0(VALU_DEP_2) | instskip(SKIP_1) | instid1(VALU_DEP_1)
	v_ashrrev_i32_e32 v1, 31, v9
	v_add_co_u32 v0, s0, s2, v9
	v_add_co_ci_u32_e64 v1, s0, s3, v1, s0
	s_cbranch_vccnz .LBB134_2211
; %bb.2205:
	v_cmp_lt_i16_e32 vcc_lo, 25, v4
	s_mov_b32 s0, 0
	s_cbranch_vccz .LBB134_2212
; %bb.2206:
	v_cmp_lt_i16_e32 vcc_lo, 28, v4
	s_cbranch_vccz .LBB134_2213
; %bb.2207:
	v_cmp_lt_i16_e32 vcc_lo, 43, v4
	;; [unrolled: 3-line block ×3, first 2 shown]
	s_cbranch_vccz .LBB134_2217
; %bb.2209:
	v_cmp_eq_u16_e32 vcc_lo, 46, v4
	s_mov_b32 s20, 0
	s_cbranch_vccz .LBB134_2222
; %bb.2210:
	global_load_b32 v10, v[0:1], off
	s_mov_b32 s18, 0
	s_mov_b32 s19, -1
	s_waitcnt vmcnt(0)
	v_and_b32_e32 v10, 0x7fff7fff, v10
	s_delay_alu instid0(VALU_DEP_1)
	v_cmp_ne_u32_e32 vcc_lo, 0, v10
	s_and_b32 s10, vcc_lo, exec_lo
	s_branch .LBB134_2224
.LBB134_2211:
	s_mov_b32 s0, -1
	s_mov_b32 s19, 0
                                        ; implicit-def: $sgpr10
	s_branch .LBB134_2288
.LBB134_2212:
	s_mov_b32 s20, -1
	s_mov_b32 s19, 0
	s_mov_b32 s18, 0
                                        ; implicit-def: $sgpr10
	s_branch .LBB134_2251
.LBB134_2213:
	s_mov_b32 s20, -1
	s_mov_b32 s19, 0
	s_mov_b32 s18, 0
                                        ; implicit-def: $sgpr10
	s_branch .LBB134_2232
.LBB134_2214:
	s_mov_b32 s20, -1
	s_mov_b32 s19, 0
	s_mov_b32 s18, 0
                                        ; implicit-def: $sgpr10
	s_branch .LBB134_2227
.LBB134_2215:
	s_cbranch_execnz .LBB134_2218
; %bb.2216:
	s_or_b32 s13, s13, exec_lo
                                        ; implicit-def: $vgpr7
	s_cbranch_execz .LBB134_2152
	s_branch .LBB134_2153
.LBB134_2217:
	s_mov_b32 s20, -1
	s_mov_b32 s19, 0
	s_mov_b32 s18, 0
	s_branch .LBB134_2223
.LBB134_2218:
	s_trap 2
	s_sendmsg_rtn_b32 s0, sendmsg(MSG_RTN_GET_DOORBELL)
	s_mov_b32 ttmp2, m0
	s_waitcnt lgkmcnt(0)
	s_and_b32 s0, s0, 0x3ff
	s_delay_alu instid0(SALU_CYCLE_1) | instskip(NEXT) | instid1(SALU_CYCLE_1)
	s_bitset1_b32 s0, 10
	s_mov_b32 m0, s0
	s_sendmsg sendmsg(MSG_INTERRUPT)
	s_mov_b32 m0, ttmp2
.LBB134_2219:                           ; =>This Inner Loop Header: Depth=1
	s_sethalt 5
	s_branch .LBB134_2219
.LBB134_2220:
	s_or_saveexec_b32 s29, s29
                                        ; implicit-def: $sgpr30
	s_delay_alu instid0(SALU_CYCLE_1)
	s_xor_b32 exec_lo, exec_lo, s29
	s_cbranch_execz .LBB134_1078
.LBB134_2221:
	v_add_f32_e64 v6, 0x42800000, |v5|
	s_and_not1_b32 s28, s28, exec_lo
	s_mov_b32 s30, 0
	s_delay_alu instid0(VALU_DEP_1) | instskip(NEXT) | instid1(VALU_DEP_1)
	v_and_b32_e32 v6, 0xff, v6
	v_cmp_ne_u32_e32 vcc_lo, 0, v6
	s_and_b32 s31, vcc_lo, exec_lo
	s_delay_alu instid0(SALU_CYCLE_1)
	s_or_b32 s28, s28, s31
	s_or_b32 exec_lo, exec_lo, s29
	v_mov_b32_e32 v7, s30
	s_and_saveexec_b32 s29, s28
	s_cbranch_execnz .LBB134_1079
	s_branch .LBB134_1080
.LBB134_2222:
	s_mov_b32 s18, -1
	s_mov_b32 s19, 0
.LBB134_2223:
                                        ; implicit-def: $sgpr10
.LBB134_2224:
	s_and_b32 vcc_lo, exec_lo, s20
	s_cbranch_vccz .LBB134_2226
; %bb.2225:
	v_cmp_ne_u16_e64 s18, 44, v4
	s_mov_b32 s19, -1
	s_or_b32 s10, s10, exec_lo
.LBB134_2226:
	s_mov_b32 s20, 0
.LBB134_2227:
	s_delay_alu instid0(SALU_CYCLE_1)
	s_and_b32 vcc_lo, exec_lo, s20
	s_cbranch_vccz .LBB134_2231
; %bb.2228:
	v_cmp_eq_u16_e32 vcc_lo, 29, v4
	s_cbranch_vccz .LBB134_2230
; %bb.2229:
	global_load_b64 v[10:11], v[0:1], off
	s_mov_b32 s18, 0
	s_mov_b32 s19, -1
	s_mov_b32 s20, 0
	s_waitcnt vmcnt(0)
	v_cmp_ne_u64_e32 vcc_lo, 0, v[10:11]
	s_and_b32 s10, vcc_lo, exec_lo
	s_branch .LBB134_2232
.LBB134_2230:
	s_mov_b32 s18, -1
                                        ; implicit-def: $sgpr10
.LBB134_2231:
	s_mov_b32 s20, 0
.LBB134_2232:
	s_delay_alu instid0(SALU_CYCLE_1)
	s_and_b32 vcc_lo, exec_lo, s20
	s_cbranch_vccz .LBB134_2250
; %bb.2233:
	v_cmp_gt_i16_e32 vcc_lo, 27, v4
	s_cbranch_vccnz .LBB134_2236
; %bb.2234:
	v_cmp_lt_i16_e32 vcc_lo, 27, v4
	s_cbranch_vccz .LBB134_2237
; %bb.2235:
	global_load_b32 v10, v[0:1], off
	s_mov_b32 s19, 0
	s_waitcnt vmcnt(0)
	v_cmp_ne_u32_e32 vcc_lo, 0, v10
	s_and_b32 s10, vcc_lo, exec_lo
	s_branch .LBB134_2238
.LBB134_2236:
	s_mov_b32 s19, -1
                                        ; implicit-def: $sgpr10
	s_branch .LBB134_2241
.LBB134_2237:
	s_mov_b32 s19, -1
                                        ; implicit-def: $sgpr10
.LBB134_2238:
	s_delay_alu instid0(SALU_CYCLE_1)
	s_and_not1_b32 vcc_lo, exec_lo, s19
	s_cbranch_vccnz .LBB134_2240
; %bb.2239:
	global_load_u16 v10, v[0:1], off
	s_and_not1_b32 s10, s10, exec_lo
	s_waitcnt vmcnt(0)
	v_cmp_ne_u16_e32 vcc_lo, 0, v10
	s_and_b32 s19, vcc_lo, exec_lo
	s_delay_alu instid0(SALU_CYCLE_1)
	s_or_b32 s10, s10, s19
.LBB134_2240:
	s_mov_b32 s19, 0
.LBB134_2241:
	s_delay_alu instid0(SALU_CYCLE_1)
	s_and_not1_b32 vcc_lo, exec_lo, s19
	s_cbranch_vccnz .LBB134_2249
; %bb.2242:
	global_load_u8 v10, v[0:1], off
	s_mov_b32 s19, 0
	s_mov_b32 s20, exec_lo
                                        ; implicit-def: $sgpr10
	s_waitcnt vmcnt(0)
	v_cmpx_lt_i16_e32 0x7f, v10
	s_xor_b32 s20, exec_lo, s20
	s_cbranch_execz .LBB134_2263
; %bb.2243:
	s_mov_b32 s19, -1
	s_mov_b32 s21, exec_lo
                                        ; implicit-def: $sgpr10
	v_cmpx_eq_u16_e32 0x80, v10
; %bb.2244:
	s_mov_b32 s10, -1
	s_xor_b32 s19, exec_lo, -1
; %bb.2245:
	s_or_b32 exec_lo, exec_lo, s21
	s_delay_alu instid0(SALU_CYCLE_1)
	s_and_b32 s19, s19, exec_lo
	s_and_not1_saveexec_b32 s20, s20
	s_cbranch_execnz .LBB134_2264
.LBB134_2246:
	s_or_b32 exec_lo, exec_lo, s20
	s_and_saveexec_b32 s20, s19
	s_cbranch_execz .LBB134_2248
.LBB134_2247:
	v_and_b32_e32 v10, 0xffff, v10
	s_and_not1_b32 s10, s10, exec_lo
	s_delay_alu instid0(VALU_DEP_1) | instskip(NEXT) | instid1(VALU_DEP_1)
	v_and_b32_e32 v11, 7, v10
	v_clz_i32_u32_e32 v12, v11
	s_delay_alu instid0(VALU_DEP_1) | instskip(NEXT) | instid1(VALU_DEP_1)
	v_min_u32_e32 v12, 32, v12
	v_subrev_nc_u32_e32 v13, 28, v12
	v_sub_nc_u32_e32 v12, 29, v12
	s_delay_alu instid0(VALU_DEP_2) | instskip(SKIP_1) | instid1(VALU_DEP_2)
	v_lshlrev_b32_e32 v13, v13, v10
	v_bfe_u32 v10, v10, 3, 4
	v_and_b32_e32 v13, 7, v13
	s_delay_alu instid0(VALU_DEP_2) | instskip(NEXT) | instid1(VALU_DEP_2)
	v_cmp_eq_u32_e32 vcc_lo, 0, v10
	v_dual_cndmask_b32 v10, v10, v12 :: v_dual_cndmask_b32 v11, v11, v13
	s_delay_alu instid0(VALU_DEP_1) | instskip(NEXT) | instid1(VALU_DEP_2)
	v_lshl_add_u32 v10, v10, 23, 0x3b800000
	v_lshlrev_b32_e32 v11, 20, v11
	s_delay_alu instid0(VALU_DEP_1) | instskip(NEXT) | instid1(VALU_DEP_1)
	v_and_or_b32 v10, 0x7f800000, v10, v11
	v_cmp_ne_u32_e32 vcc_lo, 0, v10
	s_and_b32 s19, vcc_lo, exec_lo
	s_delay_alu instid0(SALU_CYCLE_1)
	s_or_b32 s10, s10, s19
.LBB134_2248:
	s_or_b32 exec_lo, exec_lo, s20
.LBB134_2249:
	s_mov_b32 s19, -1
.LBB134_2250:
	s_mov_b32 s20, 0
.LBB134_2251:
	s_delay_alu instid0(SALU_CYCLE_1)
	s_and_b32 vcc_lo, exec_lo, s20
	s_cbranch_vccz .LBB134_2284
; %bb.2252:
	v_cmp_lt_i16_e32 vcc_lo, 22, v4
	s_cbranch_vccz .LBB134_2262
; %bb.2253:
	v_cmp_gt_i16_e32 vcc_lo, 24, v4
	s_cbranch_vccnz .LBB134_2265
; %bb.2254:
	v_cmp_lt_i16_e32 vcc_lo, 24, v4
	s_cbranch_vccz .LBB134_2266
; %bb.2255:
	global_load_u8 v10, v[0:1], off
	s_mov_b32 s19, exec_lo
                                        ; implicit-def: $sgpr10
	s_waitcnt vmcnt(0)
	v_cmpx_lt_i16_e32 0x7f, v10
	s_xor_b32 s19, exec_lo, s19
	s_cbranch_execz .LBB134_2278
; %bb.2256:
	s_mov_b32 s0, -1
	s_mov_b32 s20, exec_lo
                                        ; implicit-def: $sgpr10
	v_cmpx_eq_u16_e32 0x80, v10
; %bb.2257:
	s_mov_b32 s10, -1
	s_xor_b32 s0, exec_lo, -1
; %bb.2258:
	s_or_b32 exec_lo, exec_lo, s20
	s_delay_alu instid0(SALU_CYCLE_1)
	s_and_b32 s0, s0, exec_lo
	s_and_not1_saveexec_b32 s19, s19
	s_cbranch_execnz .LBB134_2279
.LBB134_2259:
	s_or_b32 exec_lo, exec_lo, s19
	s_and_saveexec_b32 s19, s0
	s_cbranch_execz .LBB134_2261
.LBB134_2260:
	v_and_b32_e32 v10, 0xffff, v10
	s_and_not1_b32 s0, s10, exec_lo
	s_delay_alu instid0(VALU_DEP_1) | instskip(NEXT) | instid1(VALU_DEP_1)
	v_and_b32_e32 v11, 3, v10
	v_clz_i32_u32_e32 v12, v11
	s_delay_alu instid0(VALU_DEP_1) | instskip(NEXT) | instid1(VALU_DEP_1)
	v_min_u32_e32 v12, 32, v12
	v_subrev_nc_u32_e32 v13, 29, v12
	v_sub_nc_u32_e32 v12, 30, v12
	s_delay_alu instid0(VALU_DEP_2) | instskip(SKIP_1) | instid1(VALU_DEP_2)
	v_lshlrev_b32_e32 v13, v13, v10
	v_bfe_u32 v10, v10, 2, 5
	v_and_b32_e32 v13, 3, v13
	s_delay_alu instid0(VALU_DEP_2) | instskip(NEXT) | instid1(VALU_DEP_2)
	v_cmp_eq_u32_e32 vcc_lo, 0, v10
	v_dual_cndmask_b32 v10, v10, v12 :: v_dual_cndmask_b32 v11, v11, v13
	s_delay_alu instid0(VALU_DEP_1) | instskip(NEXT) | instid1(VALU_DEP_2)
	v_lshl_add_u32 v10, v10, 23, 0x37800000
	v_lshlrev_b32_e32 v11, 21, v11
	s_delay_alu instid0(VALU_DEP_1) | instskip(NEXT) | instid1(VALU_DEP_1)
	v_and_or_b32 v10, 0x7f800000, v10, v11
	v_cmp_ne_u32_e32 vcc_lo, 0, v10
	s_and_b32 s10, vcc_lo, exec_lo
	s_delay_alu instid0(SALU_CYCLE_1)
	s_or_b32 s10, s0, s10
.LBB134_2261:
	s_or_b32 exec_lo, exec_lo, s19
	s_mov_b32 s0, 0
	s_branch .LBB134_2267
.LBB134_2262:
	s_mov_b32 s0, -1
                                        ; implicit-def: $sgpr10
	s_branch .LBB134_2273
.LBB134_2263:
	s_and_not1_saveexec_b32 s20, s20
	s_cbranch_execz .LBB134_2246
.LBB134_2264:
	v_cmp_ne_u16_e32 vcc_lo, 0, v10
	s_and_not1_b32 s19, s19, exec_lo
	s_and_not1_b32 s10, s10, exec_lo
	s_and_b32 s21, vcc_lo, exec_lo
	s_delay_alu instid0(SALU_CYCLE_1)
	s_or_b32 s19, s19, s21
	s_or_b32 exec_lo, exec_lo, s20
	s_and_saveexec_b32 s20, s19
	s_cbranch_execnz .LBB134_2247
	s_branch .LBB134_2248
.LBB134_2265:
	s_mov_b32 s0, -1
                                        ; implicit-def: $sgpr10
	s_branch .LBB134_2270
.LBB134_2266:
	s_mov_b32 s0, -1
                                        ; implicit-def: $sgpr10
.LBB134_2267:
	s_delay_alu instid0(SALU_CYCLE_1)
	s_and_b32 vcc_lo, exec_lo, s0
	s_cbranch_vccz .LBB134_2269
; %bb.2268:
	global_load_u8 v10, v[0:1], off
	s_and_not1_b32 s10, s10, exec_lo
	s_waitcnt vmcnt(0)
	v_lshlrev_b32_e32 v10, 24, v10
	s_delay_alu instid0(VALU_DEP_1) | instskip(NEXT) | instid1(VALU_DEP_1)
	v_and_b32_e32 v10, 0x7f000000, v10
	v_clz_i32_u32_e32 v11, v10
	v_add_nc_u32_e32 v13, 0x1000000, v10
	v_cmp_ne_u32_e32 vcc_lo, 0, v10
	s_delay_alu instid0(VALU_DEP_3) | instskip(NEXT) | instid1(VALU_DEP_3)
	v_min_u32_e32 v11, 32, v11
	v_ashrrev_i32_e32 v13, 8, v13
	s_delay_alu instid0(VALU_DEP_2) | instskip(NEXT) | instid1(VALU_DEP_1)
	v_sub_nc_u32_e64 v11, v11, 4 clamp
	v_lshlrev_b32_e32 v12, v11, v10
	v_lshlrev_b32_e32 v11, 23, v11
	s_delay_alu instid0(VALU_DEP_2) | instskip(NEXT) | instid1(VALU_DEP_1)
	v_lshrrev_b32_e32 v12, 4, v12
	v_sub_nc_u32_e32 v11, v12, v11
	v_and_b32_e32 v12, 0x7f800000, v13
	s_delay_alu instid0(VALU_DEP_2) | instskip(NEXT) | instid1(VALU_DEP_1)
	v_add_nc_u32_e32 v11, 0x3c000000, v11
	v_and_or_b32 v11, 0x7ff00000, v11, v12
	s_delay_alu instid0(VALU_DEP_1) | instskip(NEXT) | instid1(VALU_DEP_1)
	v_cmp_ne_u32_e64 s0, 0, v11
	s_and_b32 s0, vcc_lo, s0
	s_delay_alu instid0(SALU_CYCLE_1) | instskip(NEXT) | instid1(SALU_CYCLE_1)
	s_and_b32 s0, s0, exec_lo
	s_or_b32 s10, s10, s0
.LBB134_2269:
	s_mov_b32 s0, 0
.LBB134_2270:
	s_delay_alu instid0(SALU_CYCLE_1)
	s_and_not1_b32 vcc_lo, exec_lo, s0
	s_cbranch_vccnz .LBB134_2272
; %bb.2271:
	global_load_u8 v10, v[0:1], off
	s_and_not1_b32 s0, s10, exec_lo
	s_waitcnt vmcnt(0)
	v_lshlrev_b32_e32 v11, 25, v10
	v_lshlrev_b32_e32 v10, 8, v10
	s_delay_alu instid0(VALU_DEP_2) | instskip(NEXT) | instid1(VALU_DEP_2)
	v_lshrrev_b32_e32 v12, 4, v11
	v_and_or_b32 v10, 0x7f00, v10, 0.5
	s_delay_alu instid0(VALU_DEP_2) | instskip(NEXT) | instid1(VALU_DEP_2)
	v_or_b32_e32 v12, 0x70000000, v12
	v_add_f32_e32 v10, -0.5, v10
	s_delay_alu instid0(VALU_DEP_2) | instskip(SKIP_1) | instid1(VALU_DEP_2)
	v_mul_f32_e32 v12, 0x7800000, v12
	v_cmp_gt_u32_e32 vcc_lo, 0x8000000, v11
	v_cndmask_b32_e32 v10, v12, v10, vcc_lo
	s_delay_alu instid0(VALU_DEP_1) | instskip(SKIP_1) | instid1(SALU_CYCLE_1)
	v_cmp_neq_f32_e32 vcc_lo, 0, v10
	s_and_b32 s10, vcc_lo, exec_lo
	s_or_b32 s10, s0, s10
.LBB134_2272:
	s_mov_b32 s0, 0
	s_mov_b32 s19, -1
.LBB134_2273:
	s_and_not1_b32 vcc_lo, exec_lo, s0
	s_mov_b32 s0, 0
	s_cbranch_vccnz .LBB134_2284
; %bb.2274:
	v_cmp_lt_i16_e32 vcc_lo, 14, v4
	s_cbranch_vccz .LBB134_2277
; %bb.2275:
	v_cmp_eq_u16_e32 vcc_lo, 15, v4
	s_cbranch_vccz .LBB134_2280
; %bb.2276:
	global_load_u16 v10, v[0:1], off
	s_mov_b32 s18, 0
	s_mov_b32 s19, -1
	s_waitcnt vmcnt(0)
	v_and_b32_e32 v10, 0x7fff, v10
	s_delay_alu instid0(VALU_DEP_1)
	v_cmp_ne_u16_e32 vcc_lo, 0, v10
	s_and_b32 s10, vcc_lo, exec_lo
	s_branch .LBB134_2282
.LBB134_2277:
	s_mov_b32 s0, -1
	s_branch .LBB134_2281
.LBB134_2278:
	s_and_not1_saveexec_b32 s19, s19
	s_cbranch_execz .LBB134_2259
.LBB134_2279:
	v_cmp_ne_u16_e32 vcc_lo, 0, v10
	s_and_not1_b32 s0, s0, exec_lo
	s_and_not1_b32 s10, s10, exec_lo
	s_and_b32 s20, vcc_lo, exec_lo
	s_delay_alu instid0(SALU_CYCLE_1)
	s_or_b32 s0, s0, s20
	s_or_b32 exec_lo, exec_lo, s19
	s_and_saveexec_b32 s19, s0
	s_cbranch_execnz .LBB134_2260
	s_branch .LBB134_2261
.LBB134_2280:
	s_mov_b32 s18, -1
.LBB134_2281:
                                        ; implicit-def: $sgpr10
.LBB134_2282:
	s_and_b32 vcc_lo, exec_lo, s0
	s_mov_b32 s0, 0
	s_cbranch_vccz .LBB134_2284
; %bb.2283:
	v_cmp_ne_u16_e64 s18, 11, v4
	s_mov_b32 s0, -1
	s_and_not1_b32 s10, s10, exec_lo
.LBB134_2284:
	s_delay_alu instid0(VALU_DEP_1)
	s_and_b32 vcc_lo, exec_lo, s18
	s_cbranch_vccnz .LBB134_2349
; %bb.2285:
	s_and_not1_b32 vcc_lo, exec_lo, s0
	s_cbranch_vccnz .LBB134_2287
.LBB134_2286:
	global_load_u8 v10, v[0:1], off
	s_and_not1_b32 s0, s10, exec_lo
	s_mov_b32 s19, -1
	s_waitcnt vmcnt(0)
	v_cmp_ne_u16_e32 vcc_lo, 0, v10
	s_and_b32 s10, vcc_lo, exec_lo
	s_delay_alu instid0(SALU_CYCLE_1)
	s_or_b32 s10, s0, s10
.LBB134_2287:
	s_mov_b32 s0, 0
.LBB134_2288:
	s_delay_alu instid0(SALU_CYCLE_1)
	s_and_b32 vcc_lo, exec_lo, s0
	s_cbranch_vccz .LBB134_2337
; %bb.2289:
	v_cmp_gt_i16_e32 vcc_lo, 5, v4
	s_cbranch_vccnz .LBB134_2294
; %bb.2290:
	v_cmp_gt_i16_e32 vcc_lo, 8, v4
	s_cbranch_vccnz .LBB134_2295
	;; [unrolled: 3-line block ×3, first 2 shown]
; %bb.2292:
	v_cmp_lt_i16_e32 vcc_lo, 9, v4
	s_cbranch_vccz .LBB134_2297
; %bb.2293:
	global_load_b128 v[10:13], v[0:1], off
	s_waitcnt vmcnt(0)
	v_cmp_neq_f64_e32 vcc_lo, 0, v[10:11]
	v_cmp_neq_f64_e64 s0, 0, v[12:13]
	s_delay_alu instid0(VALU_DEP_1)
	s_or_b32 s10, vcc_lo, s0
	s_mov_b32 s0, 0
	s_and_b32 s10, s10, exec_lo
	s_branch .LBB134_2298
.LBB134_2294:
	s_mov_b32 s0, -1
                                        ; implicit-def: $sgpr10
	s_branch .LBB134_2316
.LBB134_2295:
	s_mov_b32 s0, -1
                                        ; implicit-def: $sgpr10
	s_branch .LBB134_2304
.LBB134_2296:
	s_mov_b32 s0, -1
                                        ; implicit-def: $sgpr10
	s_branch .LBB134_2301
.LBB134_2297:
	s_mov_b32 s0, -1
                                        ; implicit-def: $sgpr10
.LBB134_2298:
	s_delay_alu instid0(SALU_CYCLE_1)
	s_and_not1_b32 vcc_lo, exec_lo, s0
	s_cbranch_vccnz .LBB134_2300
; %bb.2299:
	global_load_b64 v[10:11], v[0:1], off
	s_and_not1_b32 s0, s10, exec_lo
	s_waitcnt vmcnt(0)
	v_or_b32_e32 v10, v10, v11
	s_delay_alu instid0(VALU_DEP_1) | instskip(NEXT) | instid1(VALU_DEP_1)
	v_and_b32_e32 v10, 0x7fffffff, v10
	v_cmp_ne_u32_e32 vcc_lo, 0, v10
	s_and_b32 s10, vcc_lo, exec_lo
	s_delay_alu instid0(SALU_CYCLE_1)
	s_or_b32 s10, s0, s10
.LBB134_2300:
	s_mov_b32 s0, 0
.LBB134_2301:
	s_delay_alu instid0(SALU_CYCLE_1)
	s_and_not1_b32 vcc_lo, exec_lo, s0
	s_cbranch_vccnz .LBB134_2303
; %bb.2302:
	global_load_b32 v10, v[0:1], off
	s_and_not1_b32 s0, s10, exec_lo
	s_waitcnt vmcnt(0)
	v_and_b32_e32 v10, 0x7fff7fff, v10
	s_delay_alu instid0(VALU_DEP_1) | instskip(SKIP_1) | instid1(SALU_CYCLE_1)
	v_cmp_ne_u32_e32 vcc_lo, 0, v10
	s_and_b32 s10, vcc_lo, exec_lo
	s_or_b32 s10, s0, s10
.LBB134_2303:
	s_mov_b32 s0, 0
.LBB134_2304:
	s_delay_alu instid0(SALU_CYCLE_1)
	s_and_not1_b32 vcc_lo, exec_lo, s0
	s_cbranch_vccnz .LBB134_2315
; %bb.2305:
	v_cmp_gt_i16_e32 vcc_lo, 6, v4
	s_cbranch_vccnz .LBB134_2308
; %bb.2306:
	v_cmp_lt_i16_e32 vcc_lo, 6, v4
	s_cbranch_vccz .LBB134_2309
; %bb.2307:
	global_load_b64 v[10:11], v[0:1], off
	s_mov_b32 s0, 0
	s_waitcnt vmcnt(0)
	v_cmp_neq_f64_e32 vcc_lo, 0, v[10:11]
	s_and_b32 s10, vcc_lo, exec_lo
	s_branch .LBB134_2310
.LBB134_2308:
	s_mov_b32 s0, -1
                                        ; implicit-def: $sgpr10
	s_branch .LBB134_2313
.LBB134_2309:
	s_mov_b32 s0, -1
                                        ; implicit-def: $sgpr10
.LBB134_2310:
	s_delay_alu instid0(SALU_CYCLE_1)
	s_and_not1_b32 vcc_lo, exec_lo, s0
	s_cbranch_vccnz .LBB134_2312
; %bb.2311:
	global_load_b32 v10, v[0:1], off
	s_and_not1_b32 s0, s10, exec_lo
	s_waitcnt vmcnt(0)
	v_cmp_neq_f32_e32 vcc_lo, 0, v10
	s_and_b32 s10, vcc_lo, exec_lo
	s_delay_alu instid0(SALU_CYCLE_1)
	s_or_b32 s10, s0, s10
.LBB134_2312:
	s_mov_b32 s0, 0
.LBB134_2313:
	s_delay_alu instid0(SALU_CYCLE_1)
	s_and_not1_b32 vcc_lo, exec_lo, s0
	s_cbranch_vccnz .LBB134_2315
; %bb.2314:
	global_load_u16 v10, v[0:1], off
	s_and_not1_b32 s0, s10, exec_lo
	s_waitcnt vmcnt(0)
	v_and_b32_e32 v10, 0x7fff, v10
	s_delay_alu instid0(VALU_DEP_1) | instskip(SKIP_1) | instid1(SALU_CYCLE_1)
	v_cmp_ne_u16_e32 vcc_lo, 0, v10
	s_and_b32 s10, vcc_lo, exec_lo
	s_or_b32 s10, s0, s10
.LBB134_2315:
	s_mov_b32 s0, 0
.LBB134_2316:
	s_delay_alu instid0(SALU_CYCLE_1)
	s_and_not1_b32 vcc_lo, exec_lo, s0
	s_cbranch_vccnz .LBB134_2336
; %bb.2317:
	v_cmp_gt_i16_e32 vcc_lo, 2, v4
	s_cbranch_vccnz .LBB134_2321
; %bb.2318:
	v_cmp_gt_i16_e32 vcc_lo, 3, v4
	s_cbranch_vccnz .LBB134_2322
; %bb.2319:
	v_cmp_lt_i16_e32 vcc_lo, 3, v4
	s_cbranch_vccz .LBB134_2323
; %bb.2320:
	global_load_b64 v[10:11], v[0:1], off
	s_mov_b32 s0, 0
	s_waitcnt vmcnt(0)
	v_cmp_ne_u64_e32 vcc_lo, 0, v[10:11]
	s_and_b32 s10, vcc_lo, exec_lo
	s_branch .LBB134_2324
.LBB134_2321:
	s_mov_b32 s0, -1
                                        ; implicit-def: $sgpr10
	s_branch .LBB134_2330
.LBB134_2322:
	s_mov_b32 s0, -1
                                        ; implicit-def: $sgpr10
	s_branch .LBB134_2327
.LBB134_2323:
	s_mov_b32 s0, -1
                                        ; implicit-def: $sgpr10
.LBB134_2324:
	s_delay_alu instid0(SALU_CYCLE_1)
	s_and_not1_b32 vcc_lo, exec_lo, s0
	s_cbranch_vccnz .LBB134_2326
; %bb.2325:
	global_load_b32 v10, v[0:1], off
	s_and_not1_b32 s0, s10, exec_lo
	s_waitcnt vmcnt(0)
	v_cmp_ne_u32_e32 vcc_lo, 0, v10
	s_and_b32 s10, vcc_lo, exec_lo
	s_delay_alu instid0(SALU_CYCLE_1)
	s_or_b32 s10, s0, s10
.LBB134_2326:
	s_mov_b32 s0, 0
.LBB134_2327:
	s_delay_alu instid0(SALU_CYCLE_1)
	s_and_not1_b32 vcc_lo, exec_lo, s0
	s_cbranch_vccnz .LBB134_2329
; %bb.2328:
	global_load_u16 v10, v[0:1], off
	s_and_not1_b32 s0, s10, exec_lo
	s_waitcnt vmcnt(0)
	v_cmp_ne_u16_e32 vcc_lo, 0, v10
	s_and_b32 s10, vcc_lo, exec_lo
	s_delay_alu instid0(SALU_CYCLE_1)
	s_or_b32 s10, s0, s10
.LBB134_2329:
	s_mov_b32 s0, 0
.LBB134_2330:
	s_delay_alu instid0(SALU_CYCLE_1)
	s_and_not1_b32 vcc_lo, exec_lo, s0
	s_cbranch_vccnz .LBB134_2336
; %bb.2331:
	v_cmp_lt_i16_e32 vcc_lo, 0, v4
	s_mov_b32 s0, 0
	s_cbranch_vccz .LBB134_2333
; %bb.2332:
	global_load_u8 v10, v[0:1], off
	s_waitcnt vmcnt(0)
	v_cmp_ne_u16_e32 vcc_lo, 0, v10
	s_and_b32 s10, vcc_lo, exec_lo
	s_branch .LBB134_2334
.LBB134_2333:
	s_mov_b32 s0, -1
                                        ; implicit-def: $sgpr10
.LBB134_2334:
	s_delay_alu instid0(SALU_CYCLE_1)
	s_and_not1_b32 vcc_lo, exec_lo, s0
	s_cbranch_vccnz .LBB134_2336
; %bb.2335:
	global_load_u8 v0, v[0:1], off
	s_and_not1_b32 s0, s10, exec_lo
	s_waitcnt vmcnt(0)
	v_cmp_ne_u16_e32 vcc_lo, 0, v0
	s_and_b32 s10, vcc_lo, exec_lo
	s_delay_alu instid0(SALU_CYCLE_1)
	s_or_b32 s10, s0, s10
.LBB134_2336:
	s_mov_b32 s19, -1
.LBB134_2337:
	s_delay_alu instid0(SALU_CYCLE_1)
	s_and_not1_b32 vcc_lo, exec_lo, s19
	s_cbranch_vccnz .LBB134_3037
; %bb.2338:
	v_add_nc_u32_e32 v0, s14, v8
	v_cmp_gt_i16_e32 vcc_lo, 11, v5
	s_delay_alu instid0(VALU_DEP_2) | instskip(SKIP_1) | instid1(VALU_DEP_1)
	v_ashrrev_i32_e32 v1, 31, v0
	v_add_co_u32 v0, s0, s6, v0
	v_add_co_ci_u32_e64 v1, s0, s7, v1, s0
	s_cbranch_vccnz .LBB134_2345
; %bb.2339:
	v_cmp_lt_i16_e32 vcc_lo, 25, v5
	s_mov_b32 s6, 0
	s_cbranch_vccz .LBB134_2346
; %bb.2340:
	v_cmp_lt_i16_e32 vcc_lo, 28, v5
	s_cbranch_vccz .LBB134_2347
; %bb.2341:
	v_cmp_lt_i16_e32 vcc_lo, 43, v5
	;; [unrolled: 3-line block ×3, first 2 shown]
	s_cbranch_vccz .LBB134_2351
; %bb.2343:
	v_cmp_eq_u16_e32 vcc_lo, 46, v5
	s_mov_b32 s14, 0
	s_cbranch_vccz .LBB134_2354
; %bb.2344:
	global_load_b32 v8, v[0:1], off
	s_mov_b32 s0, 0
	s_mov_b32 s7, -1
	s_waitcnt vmcnt(0)
	v_lshlrev_b32_e32 v8, 16, v8
	s_delay_alu instid0(VALU_DEP_1)
	v_cvt_f16_f32_e32 v8, v8
	s_branch .LBB134_2356
.LBB134_2345:
	s_mov_b32 s0, -1
	s_mov_b32 s7, 0
                                        ; implicit-def: $vgpr8
	s_branch .LBB134_2422
.LBB134_2346:
	s_mov_b32 s14, -1
	s_mov_b32 s7, 0
	s_mov_b32 s0, 0
                                        ; implicit-def: $vgpr8
	s_branch .LBB134_2385
.LBB134_2347:
	s_mov_b32 s14, -1
	s_mov_b32 s7, 0
	s_mov_b32 s0, 0
                                        ; implicit-def: $vgpr8
	s_branch .LBB134_2366
.LBB134_2348:
	s_mov_b32 s14, -1
	s_mov_b32 s7, 0
	s_mov_b32 s0, 0
                                        ; implicit-def: $vgpr8
	s_branch .LBB134_2361
.LBB134_2349:
	s_cbranch_execnz .LBB134_2352
; %bb.2350:
	s_mov_b32 s19, 0
	s_and_not1_b32 s10, s10, exec_lo
	s_or_b32 s13, s13, exec_lo
	s_cbranch_execz .LBB134_2286
	s_branch .LBB134_2287
.LBB134_2351:
	s_mov_b32 s14, -1
	s_mov_b32 s7, 0
	s_mov_b32 s0, 0
	s_branch .LBB134_2355
.LBB134_2352:
	s_trap 2
	s_sendmsg_rtn_b32 s0, sendmsg(MSG_RTN_GET_DOORBELL)
	s_mov_b32 ttmp2, m0
	s_waitcnt lgkmcnt(0)
	s_and_b32 s0, s0, 0x3ff
	s_delay_alu instid0(SALU_CYCLE_1) | instskip(NEXT) | instid1(SALU_CYCLE_1)
	s_bitset1_b32 s0, 10
	s_mov_b32 m0, s0
	s_sendmsg sendmsg(MSG_INTERRUPT)
	s_mov_b32 m0, ttmp2
.LBB134_2353:                           ; =>This Inner Loop Header: Depth=1
	s_sethalt 5
	s_branch .LBB134_2353
.LBB134_2354:
	s_mov_b32 s0, -1
	s_mov_b32 s7, 0
.LBB134_2355:
                                        ; implicit-def: $vgpr8
.LBB134_2356:
	s_and_b32 vcc_lo, exec_lo, s14
	s_cbranch_vccz .LBB134_2360
; %bb.2357:
	v_cmp_eq_u16_e32 vcc_lo, 44, v5
	s_cbranch_vccz .LBB134_2359
; %bb.2358:
	global_load_u8 v8, v[0:1], off
	s_mov_b32 s0, 0
	s_mov_b32 s7, -1
	s_waitcnt vmcnt(0)
	v_lshlrev_b32_e32 v10, 23, v8
	v_cmp_ne_u32_e32 vcc_lo, 0xff, v8
	s_delay_alu instid0(VALU_DEP_2) | instskip(NEXT) | instid1(VALU_DEP_1)
	v_cvt_f16_f32_e32 v10, v10
	v_cndmask_b32_e32 v10, 0x7e00, v10, vcc_lo
	v_cmp_ne_u32_e32 vcc_lo, 0, v8
	s_delay_alu instid0(VALU_DEP_2)
	v_cndmask_b32_e32 v8, 0, v10, vcc_lo
	s_branch .LBB134_2360
.LBB134_2359:
	s_mov_b32 s0, -1
                                        ; implicit-def: $vgpr8
.LBB134_2360:
	s_mov_b32 s14, 0
.LBB134_2361:
	s_delay_alu instid0(SALU_CYCLE_1)
	s_and_b32 vcc_lo, exec_lo, s14
	s_cbranch_vccz .LBB134_2365
; %bb.2362:
	v_cmp_eq_u16_e32 vcc_lo, 29, v5
	s_cbranch_vccz .LBB134_2364
; %bb.2363:
	global_load_b64 v[10:11], v[0:1], off
	s_mov_b32 s0, 0
	s_mov_b32 s7, -1
	s_mov_b32 s14, 0
	s_waitcnt vmcnt(0)
	v_clz_i32_u32_e32 v8, v11
	s_delay_alu instid0(VALU_DEP_1) | instskip(NEXT) | instid1(VALU_DEP_1)
	v_min_u32_e32 v8, 32, v8
	v_lshlrev_b64 v[10:11], v8, v[10:11]
	v_sub_nc_u32_e32 v8, 32, v8
	s_delay_alu instid0(VALU_DEP_2) | instskip(NEXT) | instid1(VALU_DEP_1)
	v_min_u32_e32 v10, 1, v10
	v_or_b32_e32 v10, v11, v10
	s_delay_alu instid0(VALU_DEP_1) | instskip(NEXT) | instid1(VALU_DEP_1)
	v_cvt_f32_u32_e32 v10, v10
	v_ldexp_f32 v8, v10, v8
	s_delay_alu instid0(VALU_DEP_1)
	v_cvt_f16_f32_e32 v8, v8
	s_branch .LBB134_2366
.LBB134_2364:
	s_mov_b32 s0, -1
                                        ; implicit-def: $vgpr8
.LBB134_2365:
	s_mov_b32 s14, 0
.LBB134_2366:
	s_delay_alu instid0(SALU_CYCLE_1)
	s_and_b32 vcc_lo, exec_lo, s14
	s_cbranch_vccz .LBB134_2384
; %bb.2367:
	v_cmp_gt_i16_e32 vcc_lo, 27, v5
	s_cbranch_vccnz .LBB134_2370
; %bb.2368:
	v_cmp_lt_i16_e32 vcc_lo, 27, v5
	s_cbranch_vccz .LBB134_2371
; %bb.2369:
	global_load_b32 v8, v[0:1], off
	s_mov_b32 s7, 0
	s_waitcnt vmcnt(0)
	v_cvt_f32_u32_e32 v8, v8
	s_delay_alu instid0(VALU_DEP_1)
	v_cvt_f16_f32_e32 v8, v8
	s_branch .LBB134_2372
.LBB134_2370:
	s_mov_b32 s7, -1
                                        ; implicit-def: $vgpr8
	s_branch .LBB134_2375
.LBB134_2371:
	s_mov_b32 s7, -1
                                        ; implicit-def: $vgpr8
.LBB134_2372:
	s_delay_alu instid0(SALU_CYCLE_1)
	s_and_not1_b32 vcc_lo, exec_lo, s7
	s_cbranch_vccnz .LBB134_2374
; %bb.2373:
	global_load_u16 v8, v[0:1], off
	s_waitcnt vmcnt(0)
	v_cvt_f16_u16_e32 v8, v8
.LBB134_2374:
	s_mov_b32 s7, 0
.LBB134_2375:
	s_delay_alu instid0(SALU_CYCLE_1)
	s_and_not1_b32 vcc_lo, exec_lo, s7
	s_cbranch_vccnz .LBB134_2383
; %bb.2376:
	global_load_u8 v10, v[0:1], off
	s_mov_b32 s7, 0
	s_mov_b32 s18, exec_lo
                                        ; implicit-def: $sgpr14
	s_waitcnt vmcnt(0)
	v_cmpx_lt_i16_e32 0x7f, v10
	s_xor_b32 s18, exec_lo, s18
	s_cbranch_execz .LBB134_2397
; %bb.2377:
	s_mov_b32 s7, -1
	s_mov_b32 s19, exec_lo
                                        ; implicit-def: $sgpr14
	v_cmpx_eq_u16_e32 0x80, v10
; %bb.2378:
	s_movk_i32 s14, 0x7e00
	s_xor_b32 s7, exec_lo, -1
; %bb.2379:
	s_or_b32 exec_lo, exec_lo, s19
	s_delay_alu instid0(SALU_CYCLE_1)
	s_and_b32 s7, s7, exec_lo
	s_or_saveexec_b32 s18, s18
	v_mov_b32_e32 v8, s14
	s_xor_b32 exec_lo, exec_lo, s18
	s_cbranch_execnz .LBB134_2398
.LBB134_2380:
	s_or_b32 exec_lo, exec_lo, s18
	s_and_saveexec_b32 s14, s7
	s_cbranch_execz .LBB134_2382
.LBB134_2381:
	v_and_b32_e32 v8, 0xffff, v10
	v_lshlrev_b32_e32 v10, 24, v10
	s_delay_alu instid0(VALU_DEP_2) | instskip(NEXT) | instid1(VALU_DEP_2)
	v_and_b32_e32 v11, 7, v8
	v_and_b32_e32 v10, 0x80000000, v10
	s_delay_alu instid0(VALU_DEP_2) | instskip(NEXT) | instid1(VALU_DEP_1)
	v_clz_i32_u32_e32 v12, v11
	v_min_u32_e32 v12, 32, v12
	s_delay_alu instid0(VALU_DEP_1) | instskip(SKIP_1) | instid1(VALU_DEP_2)
	v_subrev_nc_u32_e32 v13, 28, v12
	v_sub_nc_u32_e32 v12, 29, v12
	v_lshlrev_b32_e32 v13, v13, v8
	v_bfe_u32 v8, v8, 3, 4
	s_delay_alu instid0(VALU_DEP_1) | instskip(NEXT) | instid1(VALU_DEP_3)
	v_cmp_eq_u32_e32 vcc_lo, 0, v8
	v_dual_cndmask_b32 v8, v8, v12 :: v_dual_and_b32 v13, 7, v13
	s_delay_alu instid0(VALU_DEP_1) | instskip(NEXT) | instid1(VALU_DEP_2)
	v_cndmask_b32_e32 v11, v11, v13, vcc_lo
	v_lshl_add_u32 v8, v8, 23, 0x3b800000
	s_delay_alu instid0(VALU_DEP_2) | instskip(NEXT) | instid1(VALU_DEP_1)
	v_lshlrev_b32_e32 v11, 20, v11
	v_or3_b32 v8, v10, v8, v11
	s_delay_alu instid0(VALU_DEP_1)
	v_cvt_f16_f32_e32 v8, v8
.LBB134_2382:
	s_or_b32 exec_lo, exec_lo, s14
.LBB134_2383:
	s_mov_b32 s7, -1
.LBB134_2384:
	s_mov_b32 s14, 0
.LBB134_2385:
	s_delay_alu instid0(SALU_CYCLE_1)
	s_and_b32 vcc_lo, exec_lo, s14
	s_cbranch_vccz .LBB134_2418
; %bb.2386:
	v_cmp_lt_i16_e32 vcc_lo, 22, v5
	s_cbranch_vccz .LBB134_2396
; %bb.2387:
	v_cmp_gt_i16_e32 vcc_lo, 24, v5
	s_cbranch_vccnz .LBB134_2399
; %bb.2388:
	v_cmp_lt_i16_e32 vcc_lo, 24, v5
	s_cbranch_vccz .LBB134_2400
; %bb.2389:
	global_load_u8 v10, v[0:1], off
	s_mov_b32 s14, exec_lo
                                        ; implicit-def: $sgpr7
	s_waitcnt vmcnt(0)
	v_cmpx_lt_i16_e32 0x7f, v10
	s_xor_b32 s14, exec_lo, s14
	s_cbranch_execz .LBB134_2412
; %bb.2390:
	s_mov_b32 s6, -1
	s_mov_b32 s18, exec_lo
                                        ; implicit-def: $sgpr7
	v_cmpx_eq_u16_e32 0x80, v10
; %bb.2391:
	s_movk_i32 s7, 0x7e00
	s_xor_b32 s6, exec_lo, -1
; %bb.2392:
	s_or_b32 exec_lo, exec_lo, s18
	s_delay_alu instid0(SALU_CYCLE_1)
	s_and_b32 s6, s6, exec_lo
	s_or_saveexec_b32 s14, s14
	v_mov_b32_e32 v8, s7
	s_xor_b32 exec_lo, exec_lo, s14
	s_cbranch_execnz .LBB134_2413
.LBB134_2393:
	s_or_b32 exec_lo, exec_lo, s14
	s_and_saveexec_b32 s7, s6
	s_cbranch_execz .LBB134_2395
.LBB134_2394:
	v_and_b32_e32 v8, 0xffff, v10
	v_lshlrev_b32_e32 v10, 24, v10
	s_delay_alu instid0(VALU_DEP_2) | instskip(NEXT) | instid1(VALU_DEP_2)
	v_and_b32_e32 v11, 3, v8
	v_and_b32_e32 v10, 0x80000000, v10
	s_delay_alu instid0(VALU_DEP_2) | instskip(NEXT) | instid1(VALU_DEP_1)
	v_clz_i32_u32_e32 v12, v11
	v_min_u32_e32 v12, 32, v12
	s_delay_alu instid0(VALU_DEP_1) | instskip(SKIP_1) | instid1(VALU_DEP_2)
	v_subrev_nc_u32_e32 v13, 29, v12
	v_sub_nc_u32_e32 v12, 30, v12
	v_lshlrev_b32_e32 v13, v13, v8
	v_bfe_u32 v8, v8, 2, 5
	s_delay_alu instid0(VALU_DEP_1) | instskip(NEXT) | instid1(VALU_DEP_3)
	v_cmp_eq_u32_e32 vcc_lo, 0, v8
	v_dual_cndmask_b32 v8, v8, v12 :: v_dual_and_b32 v13, 3, v13
	s_delay_alu instid0(VALU_DEP_1) | instskip(NEXT) | instid1(VALU_DEP_2)
	v_cndmask_b32_e32 v11, v11, v13, vcc_lo
	v_lshl_add_u32 v8, v8, 23, 0x37800000
	s_delay_alu instid0(VALU_DEP_2) | instskip(NEXT) | instid1(VALU_DEP_1)
	v_lshlrev_b32_e32 v11, 21, v11
	v_or3_b32 v8, v10, v8, v11
	s_delay_alu instid0(VALU_DEP_1)
	v_cvt_f16_f32_e32 v8, v8
.LBB134_2395:
	s_or_b32 exec_lo, exec_lo, s7
	s_mov_b32 s6, 0
	s_branch .LBB134_2401
.LBB134_2396:
	s_mov_b32 s6, -1
                                        ; implicit-def: $vgpr8
	s_branch .LBB134_2407
.LBB134_2397:
	s_or_saveexec_b32 s18, s18
	v_mov_b32_e32 v8, s14
	s_xor_b32 exec_lo, exec_lo, s18
	s_cbranch_execz .LBB134_2380
.LBB134_2398:
	v_cmp_ne_u16_e32 vcc_lo, 0, v10
	v_mov_b32_e32 v8, v10
	s_and_not1_b32 s7, s7, exec_lo
	s_and_b32 s14, vcc_lo, exec_lo
	s_delay_alu instid0(SALU_CYCLE_1)
	s_or_b32 s7, s7, s14
	s_or_b32 exec_lo, exec_lo, s18
	s_and_saveexec_b32 s14, s7
	s_cbranch_execnz .LBB134_2381
	s_branch .LBB134_2382
.LBB134_2399:
	s_mov_b32 s6, -1
                                        ; implicit-def: $vgpr8
	s_branch .LBB134_2404
.LBB134_2400:
	s_mov_b32 s6, -1
                                        ; implicit-def: $vgpr8
.LBB134_2401:
	s_delay_alu instid0(SALU_CYCLE_1)
	s_and_b32 vcc_lo, exec_lo, s6
	s_cbranch_vccz .LBB134_2403
; %bb.2402:
	global_load_u8 v8, v[0:1], off
	s_waitcnt vmcnt(0)
	v_lshlrev_b32_e32 v8, 24, v8
	s_delay_alu instid0(VALU_DEP_1) | instskip(NEXT) | instid1(VALU_DEP_1)
	v_and_b32_e32 v10, 0x7f000000, v8
	v_clz_i32_u32_e32 v11, v10
	v_cmp_ne_u32_e32 vcc_lo, 0, v10
	v_add_nc_u32_e32 v13, 0x1000000, v10
	s_delay_alu instid0(VALU_DEP_3) | instskip(NEXT) | instid1(VALU_DEP_1)
	v_min_u32_e32 v11, 32, v11
	v_sub_nc_u32_e64 v11, v11, 4 clamp
	s_delay_alu instid0(VALU_DEP_1) | instskip(SKIP_1) | instid1(VALU_DEP_2)
	v_lshlrev_b32_e32 v12, v11, v10
	v_lshlrev_b32_e32 v11, 23, v11
	v_lshrrev_b32_e32 v12, 4, v12
	s_delay_alu instid0(VALU_DEP_1) | instskip(SKIP_1) | instid1(VALU_DEP_2)
	v_sub_nc_u32_e32 v11, v12, v11
	v_ashrrev_i32_e32 v12, 8, v13
	v_add_nc_u32_e32 v11, 0x3c000000, v11
	s_delay_alu instid0(VALU_DEP_1) | instskip(NEXT) | instid1(VALU_DEP_1)
	v_and_or_b32 v11, 0x7f800000, v12, v11
	v_cndmask_b32_e32 v10, 0, v11, vcc_lo
	s_delay_alu instid0(VALU_DEP_1) | instskip(NEXT) | instid1(VALU_DEP_1)
	v_and_or_b32 v8, 0x80000000, v8, v10
	v_cvt_f16_f32_e32 v8, v8
.LBB134_2403:
	s_mov_b32 s6, 0
.LBB134_2404:
	s_delay_alu instid0(SALU_CYCLE_1)
	s_and_not1_b32 vcc_lo, exec_lo, s6
	s_cbranch_vccnz .LBB134_2406
; %bb.2405:
	global_load_u8 v8, v[0:1], off
	s_waitcnt vmcnt(0)
	v_lshlrev_b32_e32 v10, 25, v8
	v_lshlrev_b16 v8, 8, v8
	s_delay_alu instid0(VALU_DEP_2) | instskip(NEXT) | instid1(VALU_DEP_2)
	v_lshrrev_b32_e32 v11, 4, v10
	v_and_or_b32 v12, 0x7f00, v8, 0.5
	v_bfe_i32 v8, v8, 0, 16
	s_delay_alu instid0(VALU_DEP_3) | instskip(NEXT) | instid1(VALU_DEP_1)
	v_or_b32_e32 v11, 0x70000000, v11
	v_dual_add_f32 v12, -0.5, v12 :: v_dual_mul_f32 v11, 0x7800000, v11
	v_cmp_gt_u32_e32 vcc_lo, 0x8000000, v10
	s_delay_alu instid0(VALU_DEP_2) | instskip(NEXT) | instid1(VALU_DEP_1)
	v_cndmask_b32_e32 v10, v11, v12, vcc_lo
	v_and_or_b32 v8, 0x80000000, v8, v10
	s_delay_alu instid0(VALU_DEP_1)
	v_cvt_f16_f32_e32 v8, v8
.LBB134_2406:
	s_mov_b32 s6, 0
	s_mov_b32 s7, -1
.LBB134_2407:
	s_and_not1_b32 vcc_lo, exec_lo, s6
	s_mov_b32 s6, 0
	s_cbranch_vccnz .LBB134_2418
; %bb.2408:
	v_cmp_lt_i16_e32 vcc_lo, 14, v5
	s_cbranch_vccz .LBB134_2411
; %bb.2409:
	v_cmp_eq_u16_e32 vcc_lo, 15, v5
	s_cbranch_vccz .LBB134_2414
; %bb.2410:
	global_load_u16 v8, v[0:1], off
	s_mov_b32 s0, 0
	s_mov_b32 s7, -1
	s_waitcnt vmcnt(0)
	v_lshlrev_b32_e32 v8, 16, v8
	s_delay_alu instid0(VALU_DEP_1)
	v_cvt_f16_f32_e32 v8, v8
	s_branch .LBB134_2416
.LBB134_2411:
	s_mov_b32 s6, -1
	s_branch .LBB134_2415
.LBB134_2412:
	s_or_saveexec_b32 s14, s14
	v_mov_b32_e32 v8, s7
	s_xor_b32 exec_lo, exec_lo, s14
	s_cbranch_execz .LBB134_2393
.LBB134_2413:
	v_cmp_ne_u16_e32 vcc_lo, 0, v10
	v_mov_b32_e32 v8, v10
	s_and_not1_b32 s6, s6, exec_lo
	s_and_b32 s7, vcc_lo, exec_lo
	s_delay_alu instid0(SALU_CYCLE_1)
	s_or_b32 s6, s6, s7
	s_or_b32 exec_lo, exec_lo, s14
	s_and_saveexec_b32 s7, s6
	s_cbranch_execnz .LBB134_2394
	s_branch .LBB134_2395
.LBB134_2414:
	s_mov_b32 s0, -1
.LBB134_2415:
                                        ; implicit-def: $vgpr8
.LBB134_2416:
	s_and_b32 vcc_lo, exec_lo, s6
	s_mov_b32 s6, 0
	s_cbranch_vccz .LBB134_2418
; %bb.2417:
	v_cmp_ne_u16_e64 s0, 11, v5
	s_mov_b32 s6, -1
                                        ; implicit-def: $vgpr8
.LBB134_2418:
	s_delay_alu instid0(VALU_DEP_1)
	s_and_b32 vcc_lo, exec_lo, s0
	s_cbranch_vccnz .LBB134_2483
; %bb.2419:
	s_and_not1_b32 vcc_lo, exec_lo, s6
	s_cbranch_vccnz .LBB134_2421
.LBB134_2420:
	global_load_u8 v8, v[0:1], off
	s_mov_b32 s7, -1
	s_waitcnt vmcnt(0)
	v_cmp_ne_u16_e32 vcc_lo, 0, v8
	v_cndmask_b32_e64 v8, 0, 0x3c00, vcc_lo
.LBB134_2421:
	s_mov_b32 s0, 0
.LBB134_2422:
	s_delay_alu instid0(SALU_CYCLE_1)
	s_and_b32 vcc_lo, exec_lo, s0
	s_cbranch_vccz .LBB134_2471
; %bb.2423:
	v_cmp_gt_i16_e32 vcc_lo, 5, v5
	s_cbranch_vccnz .LBB134_2428
; %bb.2424:
	v_cmp_gt_i16_e32 vcc_lo, 8, v5
	s_cbranch_vccnz .LBB134_2429
	;; [unrolled: 3-line block ×3, first 2 shown]
; %bb.2426:
	v_cmp_lt_i16_e32 vcc_lo, 9, v5
	s_cbranch_vccz .LBB134_2431
; %bb.2427:
	global_load_b64 v[10:11], v[0:1], off
	s_mov_b32 s0, 0
	s_waitcnt vmcnt(0)
	v_cvt_f32_f64_e32 v8, v[10:11]
	s_delay_alu instid0(VALU_DEP_1)
	v_cvt_f16_f32_e32 v8, v8
	s_branch .LBB134_2432
.LBB134_2428:
	s_mov_b32 s0, -1
                                        ; implicit-def: $vgpr8
	s_branch .LBB134_2450
.LBB134_2429:
	s_mov_b32 s0, -1
                                        ; implicit-def: $vgpr8
	s_branch .LBB134_2438
.LBB134_2430:
	s_mov_b32 s0, -1
                                        ; implicit-def: $vgpr8
	s_branch .LBB134_2435
.LBB134_2431:
	s_mov_b32 s0, -1
                                        ; implicit-def: $vgpr8
.LBB134_2432:
	s_delay_alu instid0(SALU_CYCLE_1)
	s_and_not1_b32 vcc_lo, exec_lo, s0
	s_cbranch_vccnz .LBB134_2434
; %bb.2433:
	global_load_b32 v8, v[0:1], off
	s_waitcnt vmcnt(0)
	v_cvt_f16_f32_e32 v8, v8
.LBB134_2434:
	s_mov_b32 s0, 0
.LBB134_2435:
	s_delay_alu instid0(SALU_CYCLE_1)
	s_and_not1_b32 vcc_lo, exec_lo, s0
	s_cbranch_vccnz .LBB134_2437
; %bb.2436:
	global_load_b32 v8, v[0:1], off
.LBB134_2437:
	s_mov_b32 s0, 0
.LBB134_2438:
	s_delay_alu instid0(SALU_CYCLE_1)
	s_and_not1_b32 vcc_lo, exec_lo, s0
	s_cbranch_vccnz .LBB134_2449
; %bb.2439:
	v_cmp_gt_i16_e32 vcc_lo, 6, v5
	s_cbranch_vccnz .LBB134_2442
; %bb.2440:
	v_cmp_lt_i16_e32 vcc_lo, 6, v5
	s_cbranch_vccz .LBB134_2443
; %bb.2441:
	global_load_b64 v[10:11], v[0:1], off
	s_mov_b32 s0, 0
	s_waitcnt vmcnt(0)
	v_cvt_f32_f64_e32 v8, v[10:11]
	s_delay_alu instid0(VALU_DEP_1)
	v_cvt_f16_f32_e32 v8, v8
	s_branch .LBB134_2444
.LBB134_2442:
	s_mov_b32 s0, -1
                                        ; implicit-def: $vgpr8
	s_branch .LBB134_2447
.LBB134_2443:
	s_mov_b32 s0, -1
                                        ; implicit-def: $vgpr8
.LBB134_2444:
	s_delay_alu instid0(SALU_CYCLE_1)
	s_and_not1_b32 vcc_lo, exec_lo, s0
	s_cbranch_vccnz .LBB134_2446
; %bb.2445:
	global_load_b32 v8, v[0:1], off
	s_waitcnt vmcnt(0)
	v_cvt_f16_f32_e32 v8, v8
.LBB134_2446:
	s_mov_b32 s0, 0
.LBB134_2447:
	s_delay_alu instid0(SALU_CYCLE_1)
	s_and_not1_b32 vcc_lo, exec_lo, s0
	s_cbranch_vccnz .LBB134_2449
; %bb.2448:
	global_load_u16 v8, v[0:1], off
.LBB134_2449:
	s_mov_b32 s0, 0
.LBB134_2450:
	s_delay_alu instid0(SALU_CYCLE_1)
	s_and_not1_b32 vcc_lo, exec_lo, s0
	s_cbranch_vccnz .LBB134_2470
; %bb.2451:
	v_cmp_gt_i16_e32 vcc_lo, 2, v5
	s_cbranch_vccnz .LBB134_2455
; %bb.2452:
	v_cmp_gt_i16_e32 vcc_lo, 3, v5
	s_cbranch_vccnz .LBB134_2456
; %bb.2453:
	v_cmp_lt_i16_e32 vcc_lo, 3, v5
	s_cbranch_vccz .LBB134_2457
; %bb.2454:
	global_load_b64 v[10:11], v[0:1], off
	s_mov_b32 s0, 0
	s_waitcnt vmcnt(0)
	v_xor_b32_e32 v8, v10, v11
	v_cls_i32_e32 v12, v11
	s_delay_alu instid0(VALU_DEP_2) | instskip(NEXT) | instid1(VALU_DEP_2)
	v_ashrrev_i32_e32 v8, 31, v8
	v_add_nc_u32_e32 v12, -1, v12
	s_delay_alu instid0(VALU_DEP_2) | instskip(NEXT) | instid1(VALU_DEP_1)
	v_add_nc_u32_e32 v8, 32, v8
	v_min_u32_e32 v8, v12, v8
	s_delay_alu instid0(VALU_DEP_1) | instskip(SKIP_1) | instid1(VALU_DEP_2)
	v_lshlrev_b64 v[10:11], v8, v[10:11]
	v_sub_nc_u32_e32 v8, 32, v8
	v_min_u32_e32 v10, 1, v10
	s_delay_alu instid0(VALU_DEP_1) | instskip(NEXT) | instid1(VALU_DEP_1)
	v_or_b32_e32 v10, v11, v10
	v_cvt_f32_i32_e32 v10, v10
	s_delay_alu instid0(VALU_DEP_1) | instskip(NEXT) | instid1(VALU_DEP_1)
	v_ldexp_f32 v8, v10, v8
	v_cvt_f16_f32_e32 v8, v8
	s_branch .LBB134_2458
.LBB134_2455:
	s_mov_b32 s0, -1
                                        ; implicit-def: $vgpr8
	s_branch .LBB134_2464
.LBB134_2456:
	s_mov_b32 s0, -1
                                        ; implicit-def: $vgpr8
	s_branch .LBB134_2461
.LBB134_2457:
	s_mov_b32 s0, -1
                                        ; implicit-def: $vgpr8
.LBB134_2458:
	s_delay_alu instid0(SALU_CYCLE_1)
	s_and_not1_b32 vcc_lo, exec_lo, s0
	s_cbranch_vccnz .LBB134_2460
; %bb.2459:
	global_load_b32 v8, v[0:1], off
	s_waitcnt vmcnt(0)
	v_cvt_f32_i32_e32 v8, v8
	s_delay_alu instid0(VALU_DEP_1)
	v_cvt_f16_f32_e32 v8, v8
.LBB134_2460:
	s_mov_b32 s0, 0
.LBB134_2461:
	s_delay_alu instid0(SALU_CYCLE_1)
	s_and_not1_b32 vcc_lo, exec_lo, s0
	s_cbranch_vccnz .LBB134_2463
; %bb.2462:
	global_load_u16 v8, v[0:1], off
	s_waitcnt vmcnt(0)
	v_cvt_f16_i16_e32 v8, v8
.LBB134_2463:
	s_mov_b32 s0, 0
.LBB134_2464:
	s_delay_alu instid0(SALU_CYCLE_1)
	s_and_not1_b32 vcc_lo, exec_lo, s0
	s_cbranch_vccnz .LBB134_2470
; %bb.2465:
	v_cmp_lt_i16_e32 vcc_lo, 0, v5
	s_mov_b32 s0, 0
	s_cbranch_vccz .LBB134_2467
; %bb.2466:
	global_load_i8 v5, v[0:1], off
	s_waitcnt vmcnt(0)
	v_cvt_f16_i16_e32 v8, v5
	s_branch .LBB134_2468
.LBB134_2467:
	s_mov_b32 s0, -1
                                        ; implicit-def: $vgpr8
.LBB134_2468:
	s_delay_alu instid0(SALU_CYCLE_1)
	s_and_not1_b32 vcc_lo, exec_lo, s0
	s_cbranch_vccnz .LBB134_2470
; %bb.2469:
	global_load_u8 v0, v[0:1], off
	s_waitcnt vmcnt(0)
	v_cvt_f16_u16_e32 v8, v0
.LBB134_2470:
	s_mov_b32 s7, -1
.LBB134_2471:
	s_delay_alu instid0(SALU_CYCLE_1)
	s_and_not1_b32 vcc_lo, exec_lo, s7
	s_cbranch_vccnz .LBB134_3037
; %bb.2472:
	v_add_nc_u32_e32 v0, s17, v9
	v_cmp_gt_i16_e32 vcc_lo, 11, v4
	s_delay_alu instid0(VALU_DEP_2) | instskip(SKIP_1) | instid1(VALU_DEP_1)
	v_ashrrev_i32_e32 v1, 31, v0
	v_add_co_u32 v0, s0, s2, v0
	v_add_co_ci_u32_e64 v1, s0, s3, v1, s0
	s_cbranch_vccnz .LBB134_2479
; %bb.2473:
	v_cmp_lt_i16_e32 vcc_lo, 25, v4
	s_mov_b32 s0, 0
	s_cbranch_vccz .LBB134_2480
; %bb.2474:
	v_cmp_lt_i16_e32 vcc_lo, 28, v4
	s_cbranch_vccz .LBB134_2481
; %bb.2475:
	v_cmp_lt_i16_e32 vcc_lo, 43, v4
	;; [unrolled: 3-line block ×3, first 2 shown]
	s_cbranch_vccz .LBB134_2485
; %bb.2477:
	v_cmp_eq_u16_e32 vcc_lo, 46, v4
	s_mov_b32 s7, 0
	s_cbranch_vccz .LBB134_2488
; %bb.2478:
	global_load_b32 v5, v[0:1], off
	s_mov_b32 s3, 0
	s_mov_b32 s6, -1
	s_waitcnt vmcnt(0)
	v_and_b32_e32 v5, 0x7fff7fff, v5
	s_delay_alu instid0(VALU_DEP_1)
	v_cmp_ne_u32_e32 vcc_lo, 0, v5
	s_and_b32 s2, vcc_lo, exec_lo
	s_branch .LBB134_2490
.LBB134_2479:
	s_mov_b32 s0, -1
	s_mov_b32 s6, 0
                                        ; implicit-def: $sgpr2
	s_branch .LBB134_2554
.LBB134_2480:
	s_mov_b32 s7, -1
	s_mov_b32 s6, 0
	s_mov_b32 s3, 0
                                        ; implicit-def: $sgpr2
	s_branch .LBB134_2517
.LBB134_2481:
	s_mov_b32 s7, -1
	s_mov_b32 s6, 0
	s_mov_b32 s3, 0
                                        ; implicit-def: $sgpr2
	s_branch .LBB134_2498
.LBB134_2482:
	s_mov_b32 s7, -1
	s_mov_b32 s6, 0
	s_mov_b32 s3, 0
                                        ; implicit-def: $sgpr2
	s_branch .LBB134_2493
.LBB134_2483:
	s_cbranch_execnz .LBB134_2486
; %bb.2484:
	s_or_b32 s13, s13, exec_lo
                                        ; implicit-def: $vgpr8
	s_cbranch_execz .LBB134_2420
	s_branch .LBB134_2421
.LBB134_2485:
	s_mov_b32 s7, -1
	s_mov_b32 s6, 0
	s_mov_b32 s3, 0
	s_branch .LBB134_2489
.LBB134_2486:
	s_trap 2
	s_sendmsg_rtn_b32 s0, sendmsg(MSG_RTN_GET_DOORBELL)
	s_mov_b32 ttmp2, m0
	s_waitcnt lgkmcnt(0)
	s_and_b32 s0, s0, 0x3ff
	s_delay_alu instid0(SALU_CYCLE_1) | instskip(NEXT) | instid1(SALU_CYCLE_1)
	s_bitset1_b32 s0, 10
	s_mov_b32 m0, s0
	s_sendmsg sendmsg(MSG_INTERRUPT)
	s_mov_b32 m0, ttmp2
.LBB134_2487:                           ; =>This Inner Loop Header: Depth=1
	s_sethalt 5
	s_branch .LBB134_2487
.LBB134_2488:
	s_mov_b32 s3, -1
	s_mov_b32 s6, 0
.LBB134_2489:
                                        ; implicit-def: $sgpr2
.LBB134_2490:
	s_and_b32 vcc_lo, exec_lo, s7
	s_cbranch_vccz .LBB134_2492
; %bb.2491:
	v_cmp_ne_u16_e64 s3, 44, v4
	s_mov_b32 s6, -1
	s_or_b32 s2, s2, exec_lo
.LBB134_2492:
	s_mov_b32 s7, 0
.LBB134_2493:
	s_delay_alu instid0(SALU_CYCLE_1)
	s_and_b32 vcc_lo, exec_lo, s7
	s_cbranch_vccz .LBB134_2497
; %bb.2494:
	v_cmp_eq_u16_e32 vcc_lo, 29, v4
	s_cbranch_vccz .LBB134_2496
; %bb.2495:
	global_load_b64 v[9:10], v[0:1], off
	s_mov_b32 s3, 0
	s_mov_b32 s6, -1
	s_mov_b32 s7, 0
	s_waitcnt vmcnt(0)
	v_cmp_ne_u64_e32 vcc_lo, 0, v[9:10]
	s_and_b32 s2, vcc_lo, exec_lo
	s_branch .LBB134_2498
.LBB134_2496:
	s_mov_b32 s3, -1
                                        ; implicit-def: $sgpr2
.LBB134_2497:
	s_mov_b32 s7, 0
.LBB134_2498:
	s_delay_alu instid0(SALU_CYCLE_1)
	s_and_b32 vcc_lo, exec_lo, s7
	s_cbranch_vccz .LBB134_2516
; %bb.2499:
	v_cmp_gt_i16_e32 vcc_lo, 27, v4
	s_cbranch_vccnz .LBB134_2502
; %bb.2500:
	v_cmp_lt_i16_e32 vcc_lo, 27, v4
	s_cbranch_vccz .LBB134_2503
; %bb.2501:
	global_load_b32 v5, v[0:1], off
	s_mov_b32 s6, 0
	s_waitcnt vmcnt(0)
	v_cmp_ne_u32_e32 vcc_lo, 0, v5
	s_and_b32 s2, vcc_lo, exec_lo
	s_branch .LBB134_2504
.LBB134_2502:
	s_mov_b32 s6, -1
                                        ; implicit-def: $sgpr2
	s_branch .LBB134_2507
.LBB134_2503:
	s_mov_b32 s6, -1
                                        ; implicit-def: $sgpr2
.LBB134_2504:
	s_delay_alu instid0(SALU_CYCLE_1)
	s_and_not1_b32 vcc_lo, exec_lo, s6
	s_cbranch_vccnz .LBB134_2506
; %bb.2505:
	global_load_u16 v5, v[0:1], off
	s_and_not1_b32 s2, s2, exec_lo
	s_waitcnt vmcnt(0)
	v_cmp_ne_u16_e32 vcc_lo, 0, v5
	s_and_b32 s6, vcc_lo, exec_lo
	s_delay_alu instid0(SALU_CYCLE_1)
	s_or_b32 s2, s2, s6
.LBB134_2506:
	s_mov_b32 s6, 0
.LBB134_2507:
	s_delay_alu instid0(SALU_CYCLE_1)
	s_and_not1_b32 vcc_lo, exec_lo, s6
	s_cbranch_vccnz .LBB134_2515
; %bb.2508:
	global_load_u8 v5, v[0:1], off
	s_mov_b32 s6, 0
	s_mov_b32 s7, exec_lo
                                        ; implicit-def: $sgpr2
	s_waitcnt vmcnt(0)
	v_cmpx_lt_i16_e32 0x7f, v5
	s_xor_b32 s7, exec_lo, s7
	s_cbranch_execz .LBB134_2529
; %bb.2509:
	s_mov_b32 s6, -1
	s_mov_b32 s14, exec_lo
                                        ; implicit-def: $sgpr2
	v_cmpx_eq_u16_e32 0x80, v5
; %bb.2510:
	s_mov_b32 s2, -1
	s_xor_b32 s6, exec_lo, -1
; %bb.2511:
	s_or_b32 exec_lo, exec_lo, s14
	s_delay_alu instid0(SALU_CYCLE_1)
	s_and_b32 s6, s6, exec_lo
	s_and_not1_saveexec_b32 s7, s7
	s_cbranch_execnz .LBB134_2530
.LBB134_2512:
	s_or_b32 exec_lo, exec_lo, s7
	s_and_saveexec_b32 s7, s6
	s_cbranch_execz .LBB134_2514
.LBB134_2513:
	v_and_b32_e32 v5, 0xffff, v5
	s_and_not1_b32 s2, s2, exec_lo
	s_delay_alu instid0(VALU_DEP_1) | instskip(NEXT) | instid1(VALU_DEP_1)
	v_and_b32_e32 v9, 7, v5
	v_clz_i32_u32_e32 v10, v9
	s_delay_alu instid0(VALU_DEP_1) | instskip(NEXT) | instid1(VALU_DEP_1)
	v_min_u32_e32 v10, 32, v10
	v_subrev_nc_u32_e32 v11, 28, v10
	v_sub_nc_u32_e32 v10, 29, v10
	s_delay_alu instid0(VALU_DEP_2) | instskip(SKIP_1) | instid1(VALU_DEP_2)
	v_lshlrev_b32_e32 v11, v11, v5
	v_bfe_u32 v5, v5, 3, 4
	v_and_b32_e32 v11, 7, v11
	s_delay_alu instid0(VALU_DEP_2) | instskip(SKIP_1) | instid1(VALU_DEP_3)
	v_cmp_eq_u32_e32 vcc_lo, 0, v5
	v_cndmask_b32_e32 v5, v5, v10, vcc_lo
	v_cndmask_b32_e32 v9, v9, v11, vcc_lo
	s_delay_alu instid0(VALU_DEP_2) | instskip(NEXT) | instid1(VALU_DEP_2)
	v_lshl_add_u32 v5, v5, 23, 0x3b800000
	v_lshlrev_b32_e32 v9, 20, v9
	s_delay_alu instid0(VALU_DEP_1) | instskip(NEXT) | instid1(VALU_DEP_1)
	v_and_or_b32 v5, 0x7f800000, v5, v9
	v_cmp_ne_u32_e32 vcc_lo, 0, v5
	s_and_b32 s6, vcc_lo, exec_lo
	s_delay_alu instid0(SALU_CYCLE_1)
	s_or_b32 s2, s2, s6
.LBB134_2514:
	s_or_b32 exec_lo, exec_lo, s7
.LBB134_2515:
	s_mov_b32 s6, -1
.LBB134_2516:
	s_mov_b32 s7, 0
.LBB134_2517:
	s_delay_alu instid0(SALU_CYCLE_1)
	s_and_b32 vcc_lo, exec_lo, s7
	s_cbranch_vccz .LBB134_2550
; %bb.2518:
	v_cmp_lt_i16_e32 vcc_lo, 22, v4
	s_cbranch_vccz .LBB134_2528
; %bb.2519:
	v_cmp_gt_i16_e32 vcc_lo, 24, v4
	s_cbranch_vccnz .LBB134_2531
; %bb.2520:
	v_cmp_lt_i16_e32 vcc_lo, 24, v4
	s_cbranch_vccz .LBB134_2532
; %bb.2521:
	global_load_u8 v5, v[0:1], off
	s_mov_b32 s6, exec_lo
                                        ; implicit-def: $sgpr2
	s_waitcnt vmcnt(0)
	v_cmpx_lt_i16_e32 0x7f, v5
	s_xor_b32 s6, exec_lo, s6
	s_cbranch_execz .LBB134_2544
; %bb.2522:
	s_mov_b32 s0, -1
	s_mov_b32 s7, exec_lo
                                        ; implicit-def: $sgpr2
	v_cmpx_eq_u16_e32 0x80, v5
; %bb.2523:
	s_mov_b32 s2, -1
	s_xor_b32 s0, exec_lo, -1
; %bb.2524:
	s_or_b32 exec_lo, exec_lo, s7
	s_delay_alu instid0(SALU_CYCLE_1)
	s_and_b32 s0, s0, exec_lo
	s_and_not1_saveexec_b32 s6, s6
	s_cbranch_execnz .LBB134_2545
.LBB134_2525:
	s_or_b32 exec_lo, exec_lo, s6
	s_and_saveexec_b32 s6, s0
	s_cbranch_execz .LBB134_2527
.LBB134_2526:
	v_and_b32_e32 v5, 0xffff, v5
	s_and_not1_b32 s0, s2, exec_lo
	s_delay_alu instid0(VALU_DEP_1) | instskip(NEXT) | instid1(VALU_DEP_1)
	v_and_b32_e32 v9, 3, v5
	v_clz_i32_u32_e32 v10, v9
	s_delay_alu instid0(VALU_DEP_1) | instskip(NEXT) | instid1(VALU_DEP_1)
	v_min_u32_e32 v10, 32, v10
	v_subrev_nc_u32_e32 v11, 29, v10
	v_sub_nc_u32_e32 v10, 30, v10
	s_delay_alu instid0(VALU_DEP_2) | instskip(SKIP_1) | instid1(VALU_DEP_2)
	v_lshlrev_b32_e32 v11, v11, v5
	v_bfe_u32 v5, v5, 2, 5
	v_and_b32_e32 v11, 3, v11
	s_delay_alu instid0(VALU_DEP_2) | instskip(SKIP_1) | instid1(VALU_DEP_3)
	v_cmp_eq_u32_e32 vcc_lo, 0, v5
	v_cndmask_b32_e32 v5, v5, v10, vcc_lo
	v_cndmask_b32_e32 v9, v9, v11, vcc_lo
	s_delay_alu instid0(VALU_DEP_2) | instskip(NEXT) | instid1(VALU_DEP_2)
	v_lshl_add_u32 v5, v5, 23, 0x37800000
	v_lshlrev_b32_e32 v9, 21, v9
	s_delay_alu instid0(VALU_DEP_1) | instskip(NEXT) | instid1(VALU_DEP_1)
	v_and_or_b32 v5, 0x7f800000, v5, v9
	v_cmp_ne_u32_e32 vcc_lo, 0, v5
	s_and_b32 s2, vcc_lo, exec_lo
	s_delay_alu instid0(SALU_CYCLE_1)
	s_or_b32 s2, s0, s2
.LBB134_2527:
	s_or_b32 exec_lo, exec_lo, s6
	s_mov_b32 s0, 0
	s_branch .LBB134_2533
.LBB134_2528:
	s_mov_b32 s0, -1
                                        ; implicit-def: $sgpr2
	s_branch .LBB134_2539
.LBB134_2529:
	s_and_not1_saveexec_b32 s7, s7
	s_cbranch_execz .LBB134_2512
.LBB134_2530:
	v_cmp_ne_u16_e32 vcc_lo, 0, v5
	s_and_not1_b32 s6, s6, exec_lo
	s_and_not1_b32 s2, s2, exec_lo
	s_and_b32 s14, vcc_lo, exec_lo
	s_delay_alu instid0(SALU_CYCLE_1)
	s_or_b32 s6, s6, s14
	s_or_b32 exec_lo, exec_lo, s7
	s_and_saveexec_b32 s7, s6
	s_cbranch_execnz .LBB134_2513
	s_branch .LBB134_2514
.LBB134_2531:
	s_mov_b32 s0, -1
                                        ; implicit-def: $sgpr2
	s_branch .LBB134_2536
.LBB134_2532:
	s_mov_b32 s0, -1
                                        ; implicit-def: $sgpr2
.LBB134_2533:
	s_delay_alu instid0(SALU_CYCLE_1)
	s_and_b32 vcc_lo, exec_lo, s0
	s_cbranch_vccz .LBB134_2535
; %bb.2534:
	global_load_u8 v5, v[0:1], off
	s_and_not1_b32 s2, s2, exec_lo
	s_waitcnt vmcnt(0)
	v_lshlrev_b32_e32 v5, 24, v5
	s_delay_alu instid0(VALU_DEP_1) | instskip(NEXT) | instid1(VALU_DEP_1)
	v_and_b32_e32 v5, 0x7f000000, v5
	v_clz_i32_u32_e32 v9, v5
	v_add_nc_u32_e32 v11, 0x1000000, v5
	v_cmp_ne_u32_e32 vcc_lo, 0, v5
	s_delay_alu instid0(VALU_DEP_3) | instskip(NEXT) | instid1(VALU_DEP_3)
	v_min_u32_e32 v9, 32, v9
	v_ashrrev_i32_e32 v11, 8, v11
	s_delay_alu instid0(VALU_DEP_2) | instskip(NEXT) | instid1(VALU_DEP_1)
	v_sub_nc_u32_e64 v9, v9, 4 clamp
	v_lshlrev_b32_e32 v10, v9, v5
	v_lshlrev_b32_e32 v9, 23, v9
	s_delay_alu instid0(VALU_DEP_2) | instskip(NEXT) | instid1(VALU_DEP_1)
	v_lshrrev_b32_e32 v10, 4, v10
	v_sub_nc_u32_e32 v9, v10, v9
	v_and_b32_e32 v10, 0x7f800000, v11
	s_delay_alu instid0(VALU_DEP_2) | instskip(NEXT) | instid1(VALU_DEP_1)
	v_add_nc_u32_e32 v9, 0x3c000000, v9
	v_and_or_b32 v9, 0x7ff00000, v9, v10
	s_delay_alu instid0(VALU_DEP_1) | instskip(NEXT) | instid1(VALU_DEP_1)
	v_cmp_ne_u32_e64 s0, 0, v9
	s_and_b32 s0, vcc_lo, s0
	s_delay_alu instid0(SALU_CYCLE_1) | instskip(NEXT) | instid1(SALU_CYCLE_1)
	s_and_b32 s0, s0, exec_lo
	s_or_b32 s2, s2, s0
.LBB134_2535:
	s_mov_b32 s0, 0
.LBB134_2536:
	s_delay_alu instid0(SALU_CYCLE_1)
	s_and_not1_b32 vcc_lo, exec_lo, s0
	s_cbranch_vccnz .LBB134_2538
; %bb.2537:
	global_load_u8 v5, v[0:1], off
	s_and_not1_b32 s0, s2, exec_lo
	s_waitcnt vmcnt(0)
	v_lshlrev_b32_e32 v9, 25, v5
	v_lshlrev_b32_e32 v5, 8, v5
	s_delay_alu instid0(VALU_DEP_2) | instskip(NEXT) | instid1(VALU_DEP_2)
	v_lshrrev_b32_e32 v10, 4, v9
	v_and_or_b32 v5, 0x7f00, v5, 0.5
	s_delay_alu instid0(VALU_DEP_2) | instskip(NEXT) | instid1(VALU_DEP_1)
	v_or_b32_e32 v10, 0x70000000, v10
	v_dual_add_f32 v5, -0.5, v5 :: v_dual_mul_f32 v10, 0x7800000, v10
	v_cmp_gt_u32_e32 vcc_lo, 0x8000000, v9
	s_delay_alu instid0(VALU_DEP_2) | instskip(NEXT) | instid1(VALU_DEP_1)
	v_cndmask_b32_e32 v5, v10, v5, vcc_lo
	v_cmp_neq_f32_e32 vcc_lo, 0, v5
	s_and_b32 s2, vcc_lo, exec_lo
	s_delay_alu instid0(SALU_CYCLE_1)
	s_or_b32 s2, s0, s2
.LBB134_2538:
	s_mov_b32 s0, 0
	s_mov_b32 s6, -1
.LBB134_2539:
	s_and_not1_b32 vcc_lo, exec_lo, s0
	s_mov_b32 s0, 0
	s_cbranch_vccnz .LBB134_2550
; %bb.2540:
	v_cmp_lt_i16_e32 vcc_lo, 14, v4
	s_cbranch_vccz .LBB134_2543
; %bb.2541:
	v_cmp_eq_u16_e32 vcc_lo, 15, v4
	s_cbranch_vccz .LBB134_2546
; %bb.2542:
	global_load_u16 v5, v[0:1], off
	s_mov_b32 s3, 0
	s_mov_b32 s6, -1
	s_waitcnt vmcnt(0)
	v_and_b32_e32 v5, 0x7fff, v5
	s_delay_alu instid0(VALU_DEP_1)
	v_cmp_ne_u16_e32 vcc_lo, 0, v5
	s_and_b32 s2, vcc_lo, exec_lo
	s_branch .LBB134_2548
.LBB134_2543:
	s_mov_b32 s0, -1
	s_branch .LBB134_2547
.LBB134_2544:
	s_and_not1_saveexec_b32 s6, s6
	s_cbranch_execz .LBB134_2525
.LBB134_2545:
	v_cmp_ne_u16_e32 vcc_lo, 0, v5
	s_and_not1_b32 s0, s0, exec_lo
	s_and_not1_b32 s2, s2, exec_lo
	s_and_b32 s7, vcc_lo, exec_lo
	s_delay_alu instid0(SALU_CYCLE_1)
	s_or_b32 s0, s0, s7
	s_or_b32 exec_lo, exec_lo, s6
	s_and_saveexec_b32 s6, s0
	s_cbranch_execnz .LBB134_2526
	s_branch .LBB134_2527
.LBB134_2546:
	s_mov_b32 s3, -1
.LBB134_2547:
                                        ; implicit-def: $sgpr2
.LBB134_2548:
	s_and_b32 vcc_lo, exec_lo, s0
	s_mov_b32 s0, 0
	s_cbranch_vccz .LBB134_2550
; %bb.2549:
	v_cmp_ne_u16_e64 s3, 11, v4
	s_mov_b32 s0, -1
	s_and_not1_b32 s2, s2, exec_lo
.LBB134_2550:
	s_delay_alu instid0(VALU_DEP_1)
	s_and_b32 vcc_lo, exec_lo, s3
	s_cbranch_vccnz .LBB134_3083
; %bb.2551:
	s_and_not1_b32 vcc_lo, exec_lo, s0
	s_cbranch_vccnz .LBB134_2553
.LBB134_2552:
	global_load_u8 v5, v[0:1], off
	s_and_not1_b32 s0, s2, exec_lo
	s_mov_b32 s6, -1
	s_waitcnt vmcnt(0)
	v_cmp_ne_u16_e32 vcc_lo, 0, v5
	s_and_b32 s2, vcc_lo, exec_lo
	s_delay_alu instid0(SALU_CYCLE_1)
	s_or_b32 s2, s0, s2
.LBB134_2553:
	s_mov_b32 s0, 0
.LBB134_2554:
	s_delay_alu instid0(SALU_CYCLE_1)
	s_and_b32 vcc_lo, exec_lo, s0
	s_cbranch_vccz .LBB134_2603
; %bb.2555:
	v_cmp_gt_i16_e32 vcc_lo, 5, v4
	s_cbranch_vccnz .LBB134_2560
; %bb.2556:
	v_cmp_gt_i16_e32 vcc_lo, 8, v4
	s_cbranch_vccnz .LBB134_2561
	;; [unrolled: 3-line block ×3, first 2 shown]
; %bb.2558:
	v_cmp_lt_i16_e32 vcc_lo, 9, v4
	s_cbranch_vccz .LBB134_2563
; %bb.2559:
	global_load_b128 v[9:12], v[0:1], off
	s_waitcnt vmcnt(0)
	v_cmp_neq_f64_e32 vcc_lo, 0, v[9:10]
	v_cmp_neq_f64_e64 s0, 0, v[11:12]
	s_delay_alu instid0(VALU_DEP_1)
	s_or_b32 s2, vcc_lo, s0
	s_mov_b32 s0, 0
	s_and_b32 s2, s2, exec_lo
	s_branch .LBB134_2564
.LBB134_2560:
	s_mov_b32 s0, -1
                                        ; implicit-def: $sgpr2
	s_branch .LBB134_2582
.LBB134_2561:
	s_mov_b32 s0, -1
                                        ; implicit-def: $sgpr2
	s_branch .LBB134_2570
.LBB134_2562:
	s_mov_b32 s0, -1
                                        ; implicit-def: $sgpr2
	s_branch .LBB134_2567
.LBB134_2563:
	s_mov_b32 s0, -1
                                        ; implicit-def: $sgpr2
.LBB134_2564:
	s_delay_alu instid0(SALU_CYCLE_1)
	s_and_not1_b32 vcc_lo, exec_lo, s0
	s_cbranch_vccnz .LBB134_2566
; %bb.2565:
	global_load_b64 v[9:10], v[0:1], off
	s_and_not1_b32 s0, s2, exec_lo
	s_waitcnt vmcnt(0)
	v_or_b32_e32 v5, v9, v10
	s_delay_alu instid0(VALU_DEP_1) | instskip(NEXT) | instid1(VALU_DEP_1)
	v_and_b32_e32 v5, 0x7fffffff, v5
	v_cmp_ne_u32_e32 vcc_lo, 0, v5
	s_and_b32 s2, vcc_lo, exec_lo
	s_delay_alu instid0(SALU_CYCLE_1)
	s_or_b32 s2, s0, s2
.LBB134_2566:
	s_mov_b32 s0, 0
.LBB134_2567:
	s_delay_alu instid0(SALU_CYCLE_1)
	s_and_not1_b32 vcc_lo, exec_lo, s0
	s_cbranch_vccnz .LBB134_2569
; %bb.2568:
	global_load_b32 v5, v[0:1], off
	s_and_not1_b32 s0, s2, exec_lo
	s_waitcnt vmcnt(0)
	v_and_b32_e32 v5, 0x7fff7fff, v5
	s_delay_alu instid0(VALU_DEP_1) | instskip(SKIP_1) | instid1(SALU_CYCLE_1)
	v_cmp_ne_u32_e32 vcc_lo, 0, v5
	s_and_b32 s2, vcc_lo, exec_lo
	s_or_b32 s2, s0, s2
.LBB134_2569:
	s_mov_b32 s0, 0
.LBB134_2570:
	s_delay_alu instid0(SALU_CYCLE_1)
	s_and_not1_b32 vcc_lo, exec_lo, s0
	s_cbranch_vccnz .LBB134_2581
; %bb.2571:
	v_cmp_gt_i16_e32 vcc_lo, 6, v4
	s_cbranch_vccnz .LBB134_2574
; %bb.2572:
	v_cmp_lt_i16_e32 vcc_lo, 6, v4
	s_cbranch_vccz .LBB134_2575
; %bb.2573:
	global_load_b64 v[9:10], v[0:1], off
	s_mov_b32 s0, 0
	s_waitcnt vmcnt(0)
	v_cmp_neq_f64_e32 vcc_lo, 0, v[9:10]
	s_and_b32 s2, vcc_lo, exec_lo
	s_branch .LBB134_2576
.LBB134_2574:
	s_mov_b32 s0, -1
                                        ; implicit-def: $sgpr2
	s_branch .LBB134_2579
.LBB134_2575:
	s_mov_b32 s0, -1
                                        ; implicit-def: $sgpr2
.LBB134_2576:
	s_delay_alu instid0(SALU_CYCLE_1)
	s_and_not1_b32 vcc_lo, exec_lo, s0
	s_cbranch_vccnz .LBB134_2578
; %bb.2577:
	global_load_b32 v5, v[0:1], off
	s_and_not1_b32 s0, s2, exec_lo
	s_waitcnt vmcnt(0)
	v_cmp_neq_f32_e32 vcc_lo, 0, v5
	s_and_b32 s2, vcc_lo, exec_lo
	s_delay_alu instid0(SALU_CYCLE_1)
	s_or_b32 s2, s0, s2
.LBB134_2578:
	s_mov_b32 s0, 0
.LBB134_2579:
	s_delay_alu instid0(SALU_CYCLE_1)
	s_and_not1_b32 vcc_lo, exec_lo, s0
	s_cbranch_vccnz .LBB134_2581
; %bb.2580:
	global_load_u16 v5, v[0:1], off
	s_and_not1_b32 s0, s2, exec_lo
	s_waitcnt vmcnt(0)
	v_and_b32_e32 v5, 0x7fff, v5
	s_delay_alu instid0(VALU_DEP_1) | instskip(SKIP_1) | instid1(SALU_CYCLE_1)
	v_cmp_ne_u16_e32 vcc_lo, 0, v5
	s_and_b32 s2, vcc_lo, exec_lo
	s_or_b32 s2, s0, s2
.LBB134_2581:
	s_mov_b32 s0, 0
.LBB134_2582:
	s_delay_alu instid0(SALU_CYCLE_1)
	s_and_not1_b32 vcc_lo, exec_lo, s0
	s_cbranch_vccnz .LBB134_2602
; %bb.2583:
	v_cmp_gt_i16_e32 vcc_lo, 2, v4
	s_cbranch_vccnz .LBB134_2587
; %bb.2584:
	v_cmp_gt_i16_e32 vcc_lo, 3, v4
	s_cbranch_vccnz .LBB134_2588
; %bb.2585:
	v_cmp_lt_i16_e32 vcc_lo, 3, v4
	s_cbranch_vccz .LBB134_2589
; %bb.2586:
	global_load_b64 v[9:10], v[0:1], off
	s_mov_b32 s0, 0
	s_waitcnt vmcnt(0)
	v_cmp_ne_u64_e32 vcc_lo, 0, v[9:10]
	s_and_b32 s2, vcc_lo, exec_lo
	s_branch .LBB134_2590
.LBB134_2587:
	s_mov_b32 s0, -1
                                        ; implicit-def: $sgpr2
	s_branch .LBB134_2596
.LBB134_2588:
	s_mov_b32 s0, -1
                                        ; implicit-def: $sgpr2
	s_branch .LBB134_2593
.LBB134_2589:
	s_mov_b32 s0, -1
                                        ; implicit-def: $sgpr2
.LBB134_2590:
	s_delay_alu instid0(SALU_CYCLE_1)
	s_and_not1_b32 vcc_lo, exec_lo, s0
	s_cbranch_vccnz .LBB134_2592
; %bb.2591:
	global_load_b32 v5, v[0:1], off
	s_and_not1_b32 s0, s2, exec_lo
	s_waitcnt vmcnt(0)
	v_cmp_ne_u32_e32 vcc_lo, 0, v5
	s_and_b32 s2, vcc_lo, exec_lo
	s_delay_alu instid0(SALU_CYCLE_1)
	s_or_b32 s2, s0, s2
.LBB134_2592:
	s_mov_b32 s0, 0
.LBB134_2593:
	s_delay_alu instid0(SALU_CYCLE_1)
	s_and_not1_b32 vcc_lo, exec_lo, s0
	s_cbranch_vccnz .LBB134_2595
; %bb.2594:
	global_load_u16 v5, v[0:1], off
	s_and_not1_b32 s0, s2, exec_lo
	s_waitcnt vmcnt(0)
	v_cmp_ne_u16_e32 vcc_lo, 0, v5
	s_and_b32 s2, vcc_lo, exec_lo
	s_delay_alu instid0(SALU_CYCLE_1)
	s_or_b32 s2, s0, s2
.LBB134_2595:
	s_mov_b32 s0, 0
.LBB134_2596:
	s_delay_alu instid0(SALU_CYCLE_1)
	s_and_not1_b32 vcc_lo, exec_lo, s0
	s_cbranch_vccnz .LBB134_2602
; %bb.2597:
	v_cmp_lt_i16_e32 vcc_lo, 0, v4
	s_mov_b32 s0, 0
	s_cbranch_vccz .LBB134_2599
; %bb.2598:
	global_load_u8 v4, v[0:1], off
	s_waitcnt vmcnt(0)
	v_cmp_ne_u16_e32 vcc_lo, 0, v4
	s_and_b32 s2, vcc_lo, exec_lo
	s_branch .LBB134_2600
.LBB134_2599:
	s_mov_b32 s0, -1
                                        ; implicit-def: $sgpr2
.LBB134_2600:
	s_delay_alu instid0(SALU_CYCLE_1)
	s_and_not1_b32 vcc_lo, exec_lo, s0
	s_cbranch_vccnz .LBB134_2602
; %bb.2601:
	global_load_u8 v0, v[0:1], off
	s_and_not1_b32 s0, s2, exec_lo
	s_waitcnt vmcnt(0)
	v_cmp_ne_u16_e32 vcc_lo, 0, v0
	s_and_b32 s2, vcc_lo, exec_lo
	s_delay_alu instid0(SALU_CYCLE_1)
	s_or_b32 s2, s0, s2
.LBB134_2602:
	s_mov_b32 s6, -1
.LBB134_2603:
	s_delay_alu instid0(SALU_CYCLE_1)
	s_and_not1_b32 vcc_lo, exec_lo, s6
	s_cbranch_vccnz .LBB134_3037
; %bb.2604:
	v_mul_lo_u32 v2, s8, v2
	v_cndmask_b32_e64 v0, 0, 1.0, s1
	s_waitcnt vmcnt(0)
	v_cvt_f32_f16_e32 v1, v3
	v_and_b32_e64 v3, 0xff, s12
	s_delay_alu instid0(VALU_DEP_2) | instskip(SKIP_1) | instid1(VALU_DEP_3)
	v_mul_f32_e32 v0, v1, v0
	v_ashrrev_i32_e32 v1, 31, v2
	v_cmp_gt_i16_e32 vcc_lo, 11, v3
	s_delay_alu instid0(VALU_DEP_3) | instskip(SKIP_1) | instid1(VALU_DEP_1)
	v_fma_mixlo_f16 v4, s11, v0, 0
	v_add_co_u32 v0, s0, s4, v2
	v_add_co_ci_u32_e64 v1, s0, s5, v1, s0
	s_cbranch_vccnz .LBB134_2682
; %bb.2605:
	v_cmp_lt_i16_e32 vcc_lo, 25, v3
	s_mov_b32 s6, -1
	s_mov_b32 s1, 0
	s_mov_b32 s3, 0
	;; [unrolled: 1-line block ×3, first 2 shown]
	s_cbranch_vccz .LBB134_2638
; %bb.2606:
	v_cmp_lt_i16_e32 vcc_lo, 28, v3
	s_cbranch_vccz .LBB134_2621
; %bb.2607:
	v_cmp_lt_i16_e32 vcc_lo, 43, v3
	;; [unrolled: 3-line block ×3, first 2 shown]
	s_cbranch_vccz .LBB134_2611
; %bb.2609:
	v_cmp_eq_u16_e32 vcc_lo, 46, v3
	s_mov_b32 s0, -1
	s_mov_b32 s6, 0
	s_cbranch_vccz .LBB134_2611
; %bb.2610:
	v_cvt_f32_f16_e32 v5, v4
	v_cmp_o_f16_e32 vcc_lo, v4, v4
	s_mov_b32 s0, 0
	s_mov_b32 s3, -1
	s_delay_alu instid0(VALU_DEP_2) | instskip(NEXT) | instid1(VALU_DEP_1)
	v_bfe_u32 v9, v5, 16, 1
	v_add3_u32 v5, v5, v9, 0x7fff
	s_delay_alu instid0(VALU_DEP_1) | instskip(NEXT) | instid1(VALU_DEP_1)
	v_lshrrev_b32_e32 v5, 16, v5
	v_cndmask_b32_e32 v5, 0x7fc0, v5, vcc_lo
	global_store_b32 v[0:1], v5, off
.LBB134_2611:
	s_and_b32 vcc_lo, exec_lo, s6
	s_cbranch_vccz .LBB134_2616
; %bb.2612:
	v_cmp_eq_u16_e32 vcc_lo, 44, v3
	s_mov_b32 s0, -1
	s_cbranch_vccz .LBB134_2616
; %bb.2613:
	v_cvt_f32_f16_e32 v5, v4
	v_mov_b32_e32 v9, 0xff
	s_mov_b32 s3, exec_lo
	s_delay_alu instid0(VALU_DEP_2) | instskip(NEXT) | instid1(VALU_DEP_1)
	v_bfe_u32 v10, v5, 23, 8
	v_cmpx_ne_u32_e32 0xff, v10
; %bb.2614:
	v_and_b32_e32 v9, 0x400000, v5
	v_and_or_b32 v10, 0x3fffff, v5, v10
	v_lshrrev_b32_e32 v5, 23, v5
	s_delay_alu instid0(VALU_DEP_3) | instskip(NEXT) | instid1(VALU_DEP_3)
	v_cmp_ne_u32_e32 vcc_lo, 0, v9
	v_cmp_ne_u32_e64 s0, 0, v10
	s_delay_alu instid0(VALU_DEP_1) | instskip(NEXT) | instid1(SALU_CYCLE_1)
	s_and_b32 s0, vcc_lo, s0
	v_cndmask_b32_e64 v9, 0, 1, s0
	s_delay_alu instid0(VALU_DEP_1)
	v_add_nc_u32_e32 v9, v5, v9
; %bb.2615:
	s_or_b32 exec_lo, exec_lo, s3
	s_mov_b32 s0, 0
	s_mov_b32 s3, -1
	global_store_b8 v[0:1], v9, off
.LBB134_2616:
	s_mov_b32 s6, 0
.LBB134_2617:
	s_delay_alu instid0(SALU_CYCLE_1)
	s_and_b32 vcc_lo, exec_lo, s6
	s_cbranch_vccz .LBB134_2620
; %bb.2618:
	v_cmp_eq_u16_e32 vcc_lo, 29, v3
	s_mov_b32 s0, -1
	s_cbranch_vccz .LBB134_2620
; %bb.2619:
	v_cvt_f32_f16_e32 v5, v4
	v_mov_b32_e32 v10, 0
	s_mov_b32 s0, 0
	s_mov_b32 s3, -1
	s_delay_alu instid0(VALU_DEP_2)
	v_cvt_u32_f32_e32 v9, v5
	global_store_b64 v[0:1], v[9:10], off
.LBB134_2620:
	s_mov_b32 s6, 0
.LBB134_2621:
	s_delay_alu instid0(SALU_CYCLE_1)
	s_and_b32 vcc_lo, exec_lo, s6
	s_cbranch_vccz .LBB134_2637
; %bb.2622:
	v_cmp_gt_i16_e32 vcc_lo, 27, v3
	s_mov_b32 s3, -1
	s_cbranch_vccnz .LBB134_2628
; %bb.2623:
	v_cmp_lt_i16_e32 vcc_lo, 27, v3
	s_cbranch_vccz .LBB134_2625
; %bb.2624:
	v_cvt_f32_f16_e32 v5, v4
	s_mov_b32 s3, 0
	s_delay_alu instid0(VALU_DEP_1)
	v_cvt_u32_f32_e32 v5, v5
	global_store_b32 v[0:1], v5, off
.LBB134_2625:
	s_and_not1_b32 vcc_lo, exec_lo, s3
	s_cbranch_vccnz .LBB134_2627
; %bb.2626:
	v_cvt_u16_f16_e32 v5, v4
	global_store_b16 v[0:1], v5, off
.LBB134_2627:
	s_mov_b32 s3, 0
.LBB134_2628:
	s_delay_alu instid0(SALU_CYCLE_1)
	s_and_not1_b32 vcc_lo, exec_lo, s3
	s_cbranch_vccnz .LBB134_2636
; %bb.2629:
	v_cvt_f32_f16_e32 v5, v4
	v_mov_b32_e32 v10, 0x80
	s_mov_b32 s3, exec_lo
	s_delay_alu instid0(VALU_DEP_2) | instskip(NEXT) | instid1(VALU_DEP_1)
	v_and_b32_e32 v9, 0x7fffffff, v5
	v_cmpx_gt_u32_e32 0x43800000, v9
	s_cbranch_execz .LBB134_2635
; %bb.2630:
	v_cmp_lt_u32_e32 vcc_lo, 0x3bffffff, v9
	s_mov_b32 s6, 0
                                        ; implicit-def: $vgpr9
	s_and_saveexec_b32 s7, vcc_lo
	s_delay_alu instid0(SALU_CYCLE_1)
	s_xor_b32 s7, exec_lo, s7
	s_cbranch_execz .LBB134_3085
; %bb.2631:
	v_bfe_u32 v9, v5, 20, 1
	s_mov_b32 s6, exec_lo
	s_delay_alu instid0(VALU_DEP_1) | instskip(NEXT) | instid1(VALU_DEP_1)
	v_add3_u32 v9, v5, v9, 0x487ffff
	v_lshrrev_b32_e32 v9, 20, v9
	s_or_saveexec_b32 s7, s7
                                        ; implicit-def: $sgpr12
	s_delay_alu instid0(SALU_CYCLE_1)
	s_xor_b32 exec_lo, exec_lo, s7
	s_cbranch_execnz .LBB134_3086
.LBB134_2632:
	s_or_b32 exec_lo, exec_lo, s7
	v_mov_b32_e32 v10, s12
	s_and_saveexec_b32 s7, s6
.LBB134_2633:
	v_lshrrev_b32_e32 v5, 24, v5
	s_delay_alu instid0(VALU_DEP_1)
	v_and_or_b32 v10, 0x80, v5, v9
.LBB134_2634:
	s_or_b32 exec_lo, exec_lo, s7
.LBB134_2635:
	s_delay_alu instid0(SALU_CYCLE_1)
	s_or_b32 exec_lo, exec_lo, s3
	global_store_b8 v[0:1], v10, off
.LBB134_2636:
	s_mov_b32 s3, -1
.LBB134_2637:
	s_mov_b32 s6, 0
.LBB134_2638:
	s_delay_alu instid0(SALU_CYCLE_1)
	s_and_b32 vcc_lo, exec_lo, s6
	s_cbranch_vccz .LBB134_2678
; %bb.2639:
	v_cmp_lt_i16_e32 vcc_lo, 22, v3
	s_mov_b32 s1, -1
	s_cbranch_vccz .LBB134_2671
; %bb.2640:
	v_cmp_gt_i16_e32 vcc_lo, 24, v3
	s_cbranch_vccnz .LBB134_2660
; %bb.2641:
	v_cmp_lt_i16_e32 vcc_lo, 24, v3
	s_cbranch_vccz .LBB134_2649
; %bb.2642:
	v_cvt_f32_f16_e32 v5, v4
	v_mov_b32_e32 v10, 0x80
	s_mov_b32 s1, exec_lo
	s_delay_alu instid0(VALU_DEP_2) | instskip(NEXT) | instid1(VALU_DEP_1)
	v_and_b32_e32 v9, 0x7fffffff, v5
	v_cmpx_gt_u32_e32 0x47800000, v9
	s_cbranch_execz .LBB134_2648
; %bb.2643:
	v_cmp_lt_u32_e32 vcc_lo, 0x37ffffff, v9
	s_mov_b32 s3, 0
                                        ; implicit-def: $vgpr9
	s_and_saveexec_b32 s6, vcc_lo
	s_delay_alu instid0(SALU_CYCLE_1)
	s_xor_b32 s6, exec_lo, s6
	s_cbranch_execz .LBB134_3091
; %bb.2644:
	v_bfe_u32 v9, v5, 21, 1
	s_mov_b32 s3, exec_lo
	s_delay_alu instid0(VALU_DEP_1) | instskip(NEXT) | instid1(VALU_DEP_1)
	v_add3_u32 v9, v5, v9, 0x88fffff
	v_lshrrev_b32_e32 v9, 21, v9
	s_or_saveexec_b32 s6, s6
                                        ; implicit-def: $sgpr7
	s_delay_alu instid0(SALU_CYCLE_1)
	s_xor_b32 exec_lo, exec_lo, s6
	s_cbranch_execnz .LBB134_3092
.LBB134_2645:
	s_or_b32 exec_lo, exec_lo, s6
	v_mov_b32_e32 v10, s7
	s_and_saveexec_b32 s6, s3
.LBB134_2646:
	v_lshrrev_b32_e32 v5, 24, v5
	s_delay_alu instid0(VALU_DEP_1)
	v_and_or_b32 v10, 0x80, v5, v9
.LBB134_2647:
	s_or_b32 exec_lo, exec_lo, s6
.LBB134_2648:
	s_delay_alu instid0(SALU_CYCLE_1)
	s_or_b32 exec_lo, exec_lo, s1
	s_mov_b32 s1, 0
	global_store_b8 v[0:1], v10, off
.LBB134_2649:
	s_and_b32 vcc_lo, exec_lo, s1
	s_cbranch_vccz .LBB134_2659
; %bb.2650:
	v_cvt_f32_f16_e32 v5, v4
	s_mov_b32 s1, exec_lo
                                        ; implicit-def: $vgpr9
	s_delay_alu instid0(VALU_DEP_1) | instskip(NEXT) | instid1(VALU_DEP_1)
	v_and_b32_e32 v10, 0x7fffffff, v5
	v_cmpx_gt_u32_e32 0x43f00000, v10
	s_xor_b32 s1, exec_lo, s1
	s_cbranch_execz .LBB134_2656
; %bb.2651:
	s_mov_b32 s3, exec_lo
                                        ; implicit-def: $vgpr9
	v_cmpx_lt_u32_e32 0x3c7fffff, v10
	s_xor_b32 s3, exec_lo, s3
; %bb.2652:
	v_bfe_u32 v9, v5, 20, 1
	s_delay_alu instid0(VALU_DEP_1) | instskip(NEXT) | instid1(VALU_DEP_1)
	v_add3_u32 v9, v5, v9, 0x407ffff
	v_and_b32_e32 v10, 0xff00000, v9
	v_lshrrev_b32_e32 v9, 20, v9
	s_delay_alu instid0(VALU_DEP_2) | instskip(NEXT) | instid1(VALU_DEP_2)
	v_cmp_ne_u32_e32 vcc_lo, 0x7f00000, v10
	v_cndmask_b32_e32 v9, 0x7e, v9, vcc_lo
; %bb.2653:
	s_and_not1_saveexec_b32 s3, s3
; %bb.2654:
	v_add_f32_e64 v9, 0x46800000, |v5|
; %bb.2655:
	s_or_b32 exec_lo, exec_lo, s3
                                        ; implicit-def: $vgpr10
.LBB134_2656:
	s_and_not1_saveexec_b32 s1, s1
; %bb.2657:
	v_mov_b32_e32 v9, 0x7f
	v_cmp_lt_u32_e32 vcc_lo, 0x7f800000, v10
	s_delay_alu instid0(VALU_DEP_2)
	v_cndmask_b32_e32 v9, 0x7e, v9, vcc_lo
; %bb.2658:
	s_or_b32 exec_lo, exec_lo, s1
	v_lshrrev_b32_e32 v5, 24, v5
	s_delay_alu instid0(VALU_DEP_1)
	v_and_or_b32 v5, 0x80, v5, v9
	global_store_b8 v[0:1], v5, off
.LBB134_2659:
	s_mov_b32 s1, 0
.LBB134_2660:
	s_delay_alu instid0(SALU_CYCLE_1)
	s_and_not1_b32 vcc_lo, exec_lo, s1
	s_cbranch_vccnz .LBB134_2670
; %bb.2661:
	v_cvt_f32_f16_e32 v5, v4
	s_mov_b32 s1, exec_lo
                                        ; implicit-def: $vgpr9
	s_delay_alu instid0(VALU_DEP_1) | instskip(NEXT) | instid1(VALU_DEP_1)
	v_and_b32_e32 v10, 0x7fffffff, v5
	v_cmpx_gt_u32_e32 0x47800000, v10
	s_xor_b32 s1, exec_lo, s1
	s_cbranch_execz .LBB134_2667
; %bb.2662:
	s_mov_b32 s3, exec_lo
                                        ; implicit-def: $vgpr9
	v_cmpx_lt_u32_e32 0x387fffff, v10
	s_xor_b32 s3, exec_lo, s3
; %bb.2663:
	v_bfe_u32 v9, v5, 21, 1
	s_delay_alu instid0(VALU_DEP_1) | instskip(NEXT) | instid1(VALU_DEP_1)
	v_add3_u32 v9, v5, v9, 0x80fffff
	v_lshrrev_b32_e32 v9, 21, v9
; %bb.2664:
	s_and_not1_saveexec_b32 s3, s3
; %bb.2665:
	v_add_f32_e64 v9, 0x43000000, |v5|
; %bb.2666:
	s_or_b32 exec_lo, exec_lo, s3
                                        ; implicit-def: $vgpr10
.LBB134_2667:
	s_and_not1_saveexec_b32 s1, s1
; %bb.2668:
	v_mov_b32_e32 v9, 0x7f
	v_cmp_lt_u32_e32 vcc_lo, 0x7f800000, v10
	s_delay_alu instid0(VALU_DEP_2)
	v_cndmask_b32_e32 v9, 0x7c, v9, vcc_lo
; %bb.2669:
	s_or_b32 exec_lo, exec_lo, s1
	v_lshrrev_b32_e32 v5, 24, v5
	s_delay_alu instid0(VALU_DEP_1)
	v_and_or_b32 v5, 0x80, v5, v9
	global_store_b8 v[0:1], v5, off
.LBB134_2670:
	s_mov_b32 s1, 0
	s_mov_b32 s3, -1
.LBB134_2671:
	s_and_not1_b32 vcc_lo, exec_lo, s1
	s_mov_b32 s1, 0
	s_cbranch_vccnz .LBB134_2678
; %bb.2672:
	v_cmp_lt_i16_e32 vcc_lo, 14, v3
	s_mov_b32 s1, -1
	s_cbranch_vccz .LBB134_2676
; %bb.2673:
	v_cmp_eq_u16_e32 vcc_lo, 15, v3
	s_mov_b32 s0, -1
	s_cbranch_vccz .LBB134_2675
; %bb.2674:
	v_cvt_f32_f16_e32 v5, v4
	v_cmp_o_f16_e32 vcc_lo, v4, v4
	s_mov_b32 s0, 0
	s_mov_b32 s3, -1
	s_delay_alu instid0(VALU_DEP_2) | instskip(NEXT) | instid1(VALU_DEP_1)
	v_bfe_u32 v9, v5, 16, 1
	v_add3_u32 v5, v5, v9, 0x7fff
	s_delay_alu instid0(VALU_DEP_1) | instskip(NEXT) | instid1(VALU_DEP_1)
	v_lshrrev_b32_e32 v5, 16, v5
	v_cndmask_b32_e32 v5, 0x7fc0, v5, vcc_lo
	global_store_b16 v[0:1], v5, off
.LBB134_2675:
	s_mov_b32 s1, 0
.LBB134_2676:
	s_delay_alu instid0(SALU_CYCLE_1)
	s_and_b32 vcc_lo, exec_lo, s1
	s_mov_b32 s1, 0
	s_cbranch_vccz .LBB134_2678
; %bb.2677:
	v_cmp_ne_u16_e64 s0, 11, v3
	s_mov_b32 s1, -1
.LBB134_2678:
	s_delay_alu instid0(VALU_DEP_1)
	s_and_b32 vcc_lo, exec_lo, s0
	s_cbranch_vccnz .LBB134_3089
; %bb.2679:
	s_and_not1_b32 vcc_lo, exec_lo, s1
	s_cbranch_vccnz .LBB134_2681
.LBB134_2680:
	v_cmp_neq_f16_e32 vcc_lo, 0, v4
	s_mov_b32 s3, -1
	v_cndmask_b32_e64 v5, 0, 1, vcc_lo
	global_store_b8 v[0:1], v5, off
.LBB134_2681:
	s_mov_b32 s0, 0
	s_branch .LBB134_2683
.LBB134_2682:
	s_mov_b32 s0, -1
	s_mov_b32 s3, 0
.LBB134_2683:
	s_and_b32 vcc_lo, exec_lo, s0
	s_cbranch_vccz .LBB134_2722
; %bb.2684:
	v_cmp_gt_i16_e32 vcc_lo, 5, v3
	s_mov_b32 s0, -1
	s_cbranch_vccnz .LBB134_2705
; %bb.2685:
	v_cmp_gt_i16_e32 vcc_lo, 8, v3
	s_cbranch_vccnz .LBB134_2695
; %bb.2686:
	v_cmp_gt_i16_e32 vcc_lo, 9, v3
	s_cbranch_vccnz .LBB134_2692
; %bb.2687:
	v_cmp_lt_i16_e32 vcc_lo, 9, v3
	s_cbranch_vccz .LBB134_2689
; %bb.2688:
	v_cvt_f32_f16_e32 v5, v4
	v_mov_b32_e32 v11, 0
	s_mov_b32 s0, 0
	s_delay_alu instid0(VALU_DEP_2) | instskip(NEXT) | instid1(VALU_DEP_2)
	v_cvt_f64_f32_e32 v[9:10], v5
	v_mov_b32_e32 v12, v11
	global_store_b128 v[0:1], v[9:12], off
.LBB134_2689:
	s_and_not1_b32 vcc_lo, exec_lo, s0
	s_cbranch_vccnz .LBB134_2691
; %bb.2690:
	v_cvt_f32_f16_e32 v9, v4
	v_mov_b32_e32 v10, 0
	global_store_b64 v[0:1], v[9:10], off
.LBB134_2691:
	s_mov_b32 s0, 0
.LBB134_2692:
	s_delay_alu instid0(SALU_CYCLE_1)
	s_and_not1_b32 vcc_lo, exec_lo, s0
	s_cbranch_vccnz .LBB134_2694
; %bb.2693:
	v_and_b32_e32 v5, 0xffff, v4
	global_store_b32 v[0:1], v5, off
.LBB134_2694:
	s_mov_b32 s0, 0
.LBB134_2695:
	s_delay_alu instid0(SALU_CYCLE_1)
	s_and_not1_b32 vcc_lo, exec_lo, s0
	s_cbranch_vccnz .LBB134_2704
; %bb.2696:
	v_cmp_gt_i16_e32 vcc_lo, 6, v3
	s_mov_b32 s0, -1
	s_cbranch_vccnz .LBB134_2702
; %bb.2697:
	v_cmp_lt_i16_e32 vcc_lo, 6, v3
	s_cbranch_vccz .LBB134_2699
; %bb.2698:
	v_cvt_f32_f16_e32 v5, v4
	s_mov_b32 s0, 0
	s_delay_alu instid0(VALU_DEP_1)
	v_cvt_f64_f32_e32 v[9:10], v5
	global_store_b64 v[0:1], v[9:10], off
.LBB134_2699:
	s_and_not1_b32 vcc_lo, exec_lo, s0
	s_cbranch_vccnz .LBB134_2701
; %bb.2700:
	v_cvt_f32_f16_e32 v5, v4
	global_store_b32 v[0:1], v5, off
.LBB134_2701:
	s_mov_b32 s0, 0
.LBB134_2702:
	s_delay_alu instid0(SALU_CYCLE_1)
	s_and_not1_b32 vcc_lo, exec_lo, s0
	s_cbranch_vccnz .LBB134_2704
; %bb.2703:
	global_store_b16 v[0:1], v4, off
.LBB134_2704:
	s_mov_b32 s0, 0
.LBB134_2705:
	s_delay_alu instid0(SALU_CYCLE_1)
	s_and_not1_b32 vcc_lo, exec_lo, s0
	s_cbranch_vccnz .LBB134_2721
; %bb.2706:
	v_cmp_gt_i16_e32 vcc_lo, 2, v3
	s_mov_b32 s0, -1
	s_cbranch_vccnz .LBB134_2716
; %bb.2707:
	v_cmp_gt_i16_e32 vcc_lo, 3, v3
	s_cbranch_vccnz .LBB134_2713
; %bb.2708:
	v_cmp_lt_i16_e32 vcc_lo, 3, v3
	s_cbranch_vccz .LBB134_2710
; %bb.2709:
	v_cvt_f32_f16_e32 v5, v4
	s_mov_b32 s0, 0
	s_delay_alu instid0(VALU_DEP_1) | instskip(NEXT) | instid1(VALU_DEP_1)
	v_cvt_i32_f32_e32 v9, v5
	v_ashrrev_i32_e32 v10, 31, v9
	global_store_b64 v[0:1], v[9:10], off
.LBB134_2710:
	s_and_not1_b32 vcc_lo, exec_lo, s0
	s_cbranch_vccnz .LBB134_2712
; %bb.2711:
	v_cvt_f32_f16_e32 v5, v4
	s_delay_alu instid0(VALU_DEP_1)
	v_cvt_i32_f32_e32 v5, v5
	global_store_b32 v[0:1], v5, off
.LBB134_2712:
	s_mov_b32 s0, 0
.LBB134_2713:
	s_delay_alu instid0(SALU_CYCLE_1)
	s_and_not1_b32 vcc_lo, exec_lo, s0
	s_cbranch_vccnz .LBB134_2715
; %bb.2714:
	v_cvt_i16_f16_e32 v5, v4
	global_store_b16 v[0:1], v5, off
.LBB134_2715:
	s_mov_b32 s0, 0
.LBB134_2716:
	s_delay_alu instid0(SALU_CYCLE_1)
	s_and_not1_b32 vcc_lo, exec_lo, s0
	s_cbranch_vccnz .LBB134_2721
; %bb.2717:
	v_cmp_lt_i16_e32 vcc_lo, 0, v3
	s_mov_b32 s0, -1
	s_cbranch_vccz .LBB134_2719
; %bb.2718:
	v_cvt_i16_f16_e32 v5, v4
	s_mov_b32 s0, 0
	global_store_b8 v[0:1], v5, off
.LBB134_2719:
	s_and_not1_b32 vcc_lo, exec_lo, s0
	s_cbranch_vccnz .LBB134_2721
; %bb.2720:
	v_cvt_f32_f16_e32 v4, v4
	s_delay_alu instid0(VALU_DEP_1)
	v_cvt_i32_f32_e32 v4, v4
	global_store_b8 v[0:1], v4, off
.LBB134_2721:
	s_mov_b32 s3, -1
.LBB134_2722:
	s_delay_alu instid0(SALU_CYCLE_1)
	s_and_not1_b32 vcc_lo, exec_lo, s3
	s_cbranch_vccnz .LBB134_3037
; %bb.2723:
	v_cndmask_b32_e64 v0, 0, 1.0, s9
	v_cvt_f32_f16_e32 v1, v6
	s_lshl_b32 s1, s8, 7
	v_cmp_gt_i16_e32 vcc_lo, 11, v3
	v_add_nc_u32_e32 v2, s1, v2
	s_delay_alu instid0(VALU_DEP_3) | instskip(SKIP_1) | instid1(VALU_DEP_2)
	v_mul_f32_e32 v0, v1, v0
	s_and_b32 vcc_lo, exec_lo, vcc_lo
	v_ashrrev_i32_e32 v1, 31, v2
	s_delay_alu instid0(VALU_DEP_2) | instskip(SKIP_1) | instid1(VALU_DEP_1)
	v_fma_mixlo_f16 v4, s11, v0, 0
	v_add_co_u32 v0, s0, s4, v2
	v_add_co_ci_u32_e64 v1, s0, s5, v1, s0
	s_cbranch_vccnz .LBB134_2801
; %bb.2724:
	v_cmp_lt_i16_e32 vcc_lo, 25, v3
	s_mov_b32 s7, -1
	s_mov_b32 s3, 0
	s_mov_b32 s6, 0
	;; [unrolled: 1-line block ×3, first 2 shown]
	s_cbranch_vccz .LBB134_2757
; %bb.2725:
	v_cmp_lt_i16_e32 vcc_lo, 28, v3
	s_cbranch_vccz .LBB134_2740
; %bb.2726:
	v_cmp_lt_i16_e32 vcc_lo, 43, v3
	;; [unrolled: 3-line block ×3, first 2 shown]
	s_cbranch_vccz .LBB134_2730
; %bb.2728:
	v_cmp_eq_u16_e32 vcc_lo, 46, v3
	s_mov_b32 s0, -1
	s_mov_b32 s7, 0
	s_cbranch_vccz .LBB134_2730
; %bb.2729:
	v_cvt_f32_f16_e32 v5, v4
	v_cmp_o_f16_e32 vcc_lo, v4, v4
	s_mov_b32 s0, 0
	s_mov_b32 s6, -1
	s_delay_alu instid0(VALU_DEP_2) | instskip(NEXT) | instid1(VALU_DEP_1)
	v_bfe_u32 v6, v5, 16, 1
	v_add3_u32 v5, v5, v6, 0x7fff
	s_delay_alu instid0(VALU_DEP_1) | instskip(NEXT) | instid1(VALU_DEP_1)
	v_lshrrev_b32_e32 v5, 16, v5
	v_cndmask_b32_e32 v5, 0x7fc0, v5, vcc_lo
	global_store_b32 v[0:1], v5, off
.LBB134_2730:
	s_and_b32 vcc_lo, exec_lo, s7
	s_cbranch_vccz .LBB134_2735
; %bb.2731:
	v_cmp_eq_u16_e32 vcc_lo, 44, v3
	s_mov_b32 s0, -1
	s_cbranch_vccz .LBB134_2735
; %bb.2732:
	v_cvt_f32_f16_e32 v5, v4
	v_mov_b32_e32 v6, 0xff
	s_mov_b32 s6, exec_lo
	s_delay_alu instid0(VALU_DEP_2) | instskip(NEXT) | instid1(VALU_DEP_1)
	v_bfe_u32 v9, v5, 23, 8
	v_cmpx_ne_u32_e32 0xff, v9
; %bb.2733:
	v_and_b32_e32 v6, 0x400000, v5
	v_and_or_b32 v9, 0x3fffff, v5, v9
	v_lshrrev_b32_e32 v5, 23, v5
	s_delay_alu instid0(VALU_DEP_3) | instskip(NEXT) | instid1(VALU_DEP_3)
	v_cmp_ne_u32_e32 vcc_lo, 0, v6
	v_cmp_ne_u32_e64 s0, 0, v9
	s_delay_alu instid0(VALU_DEP_1) | instskip(NEXT) | instid1(SALU_CYCLE_1)
	s_and_b32 s0, vcc_lo, s0
	v_cndmask_b32_e64 v6, 0, 1, s0
	s_delay_alu instid0(VALU_DEP_1)
	v_add_nc_u32_e32 v6, v5, v6
; %bb.2734:
	s_or_b32 exec_lo, exec_lo, s6
	s_mov_b32 s0, 0
	s_mov_b32 s6, -1
	global_store_b8 v[0:1], v6, off
.LBB134_2735:
	s_mov_b32 s7, 0
.LBB134_2736:
	s_delay_alu instid0(SALU_CYCLE_1)
	s_and_b32 vcc_lo, exec_lo, s7
	s_cbranch_vccz .LBB134_2739
; %bb.2737:
	v_cmp_eq_u16_e32 vcc_lo, 29, v3
	s_mov_b32 s0, -1
	s_cbranch_vccz .LBB134_2739
; %bb.2738:
	v_cvt_f32_f16_e32 v5, v4
	v_mov_b32_e32 v6, 0
	s_mov_b32 s0, 0
	s_mov_b32 s6, -1
	s_delay_alu instid0(VALU_DEP_2)
	v_cvt_u32_f32_e32 v5, v5
	global_store_b64 v[0:1], v[5:6], off
.LBB134_2739:
	s_mov_b32 s7, 0
.LBB134_2740:
	s_delay_alu instid0(SALU_CYCLE_1)
	s_and_b32 vcc_lo, exec_lo, s7
	s_cbranch_vccz .LBB134_2756
; %bb.2741:
	v_cmp_gt_i16_e32 vcc_lo, 27, v3
	s_mov_b32 s6, -1
	s_cbranch_vccnz .LBB134_2747
; %bb.2742:
	v_cmp_lt_i16_e32 vcc_lo, 27, v3
	s_cbranch_vccz .LBB134_2744
; %bb.2743:
	v_cvt_f32_f16_e32 v5, v4
	s_mov_b32 s6, 0
	s_delay_alu instid0(VALU_DEP_1)
	v_cvt_u32_f32_e32 v5, v5
	global_store_b32 v[0:1], v5, off
.LBB134_2744:
	s_and_not1_b32 vcc_lo, exec_lo, s6
	s_cbranch_vccnz .LBB134_2746
; %bb.2745:
	v_cvt_u16_f16_e32 v5, v4
	global_store_b16 v[0:1], v5, off
.LBB134_2746:
	s_mov_b32 s6, 0
.LBB134_2747:
	s_delay_alu instid0(SALU_CYCLE_1)
	s_and_not1_b32 vcc_lo, exec_lo, s6
	s_cbranch_vccnz .LBB134_2755
; %bb.2748:
	v_cvt_f32_f16_e32 v5, v4
	v_mov_b32_e32 v9, 0x80
	s_mov_b32 s6, exec_lo
	s_delay_alu instid0(VALU_DEP_2) | instskip(NEXT) | instid1(VALU_DEP_1)
	v_and_b32_e32 v6, 0x7fffffff, v5
	v_cmpx_gt_u32_e32 0x43800000, v6
	s_cbranch_execz .LBB134_2754
; %bb.2749:
	v_cmp_lt_u32_e32 vcc_lo, 0x3bffffff, v6
	s_mov_b32 s7, 0
                                        ; implicit-def: $vgpr6
	s_and_saveexec_b32 s8, vcc_lo
	s_delay_alu instid0(SALU_CYCLE_1)
	s_xor_b32 s8, exec_lo, s8
	s_cbranch_execz .LBB134_3093
; %bb.2750:
	v_bfe_u32 v6, v5, 20, 1
	s_mov_b32 s7, exec_lo
	s_delay_alu instid0(VALU_DEP_1) | instskip(NEXT) | instid1(VALU_DEP_1)
	v_add3_u32 v6, v5, v6, 0x487ffff
	v_lshrrev_b32_e32 v6, 20, v6
	s_or_saveexec_b32 s8, s8
                                        ; implicit-def: $sgpr9
	s_delay_alu instid0(SALU_CYCLE_1)
	s_xor_b32 exec_lo, exec_lo, s8
	s_cbranch_execnz .LBB134_3094
.LBB134_2751:
	s_or_b32 exec_lo, exec_lo, s8
	v_mov_b32_e32 v9, s9
	s_and_saveexec_b32 s8, s7
.LBB134_2752:
	v_lshrrev_b32_e32 v5, 24, v5
	s_delay_alu instid0(VALU_DEP_1)
	v_and_or_b32 v9, 0x80, v5, v6
.LBB134_2753:
	s_or_b32 exec_lo, exec_lo, s8
.LBB134_2754:
	s_delay_alu instid0(SALU_CYCLE_1)
	s_or_b32 exec_lo, exec_lo, s6
	global_store_b8 v[0:1], v9, off
.LBB134_2755:
	s_mov_b32 s6, -1
.LBB134_2756:
	s_mov_b32 s7, 0
.LBB134_2757:
	s_delay_alu instid0(SALU_CYCLE_1)
	s_and_b32 vcc_lo, exec_lo, s7
	s_cbranch_vccz .LBB134_2797
; %bb.2758:
	v_cmp_lt_i16_e32 vcc_lo, 22, v3
	s_mov_b32 s3, -1
	s_cbranch_vccz .LBB134_2790
; %bb.2759:
	v_cmp_gt_i16_e32 vcc_lo, 24, v3
	s_cbranch_vccnz .LBB134_2779
; %bb.2760:
	v_cmp_lt_i16_e32 vcc_lo, 24, v3
	s_cbranch_vccz .LBB134_2768
; %bb.2761:
	v_cvt_f32_f16_e32 v5, v4
	v_mov_b32_e32 v9, 0x80
	s_mov_b32 s3, exec_lo
	s_delay_alu instid0(VALU_DEP_2) | instskip(NEXT) | instid1(VALU_DEP_1)
	v_and_b32_e32 v6, 0x7fffffff, v5
	v_cmpx_gt_u32_e32 0x47800000, v6
	s_cbranch_execz .LBB134_2767
; %bb.2762:
	v_cmp_lt_u32_e32 vcc_lo, 0x37ffffff, v6
	s_mov_b32 s6, 0
                                        ; implicit-def: $vgpr6
	s_and_saveexec_b32 s7, vcc_lo
	s_delay_alu instid0(SALU_CYCLE_1)
	s_xor_b32 s7, exec_lo, s7
	s_cbranch_execz .LBB134_3099
; %bb.2763:
	v_bfe_u32 v6, v5, 21, 1
	s_mov_b32 s6, exec_lo
	s_delay_alu instid0(VALU_DEP_1) | instskip(NEXT) | instid1(VALU_DEP_1)
	v_add3_u32 v6, v5, v6, 0x88fffff
	v_lshrrev_b32_e32 v6, 21, v6
	s_or_saveexec_b32 s7, s7
                                        ; implicit-def: $sgpr8
	s_delay_alu instid0(SALU_CYCLE_1)
	s_xor_b32 exec_lo, exec_lo, s7
	s_cbranch_execnz .LBB134_3100
.LBB134_2764:
	s_or_b32 exec_lo, exec_lo, s7
	v_mov_b32_e32 v9, s8
	s_and_saveexec_b32 s7, s6
.LBB134_2765:
	v_lshrrev_b32_e32 v5, 24, v5
	s_delay_alu instid0(VALU_DEP_1)
	v_and_or_b32 v9, 0x80, v5, v6
.LBB134_2766:
	s_or_b32 exec_lo, exec_lo, s7
.LBB134_2767:
	s_delay_alu instid0(SALU_CYCLE_1)
	s_or_b32 exec_lo, exec_lo, s3
	s_mov_b32 s3, 0
	global_store_b8 v[0:1], v9, off
.LBB134_2768:
	s_and_b32 vcc_lo, exec_lo, s3
	s_cbranch_vccz .LBB134_2778
; %bb.2769:
	v_cvt_f32_f16_e32 v5, v4
	s_mov_b32 s3, exec_lo
                                        ; implicit-def: $vgpr6
	s_delay_alu instid0(VALU_DEP_1) | instskip(NEXT) | instid1(VALU_DEP_1)
	v_and_b32_e32 v9, 0x7fffffff, v5
	v_cmpx_gt_u32_e32 0x43f00000, v9
	s_xor_b32 s3, exec_lo, s3
	s_cbranch_execz .LBB134_2775
; %bb.2770:
	s_mov_b32 s6, exec_lo
                                        ; implicit-def: $vgpr6
	v_cmpx_lt_u32_e32 0x3c7fffff, v9
	s_xor_b32 s6, exec_lo, s6
; %bb.2771:
	v_bfe_u32 v6, v5, 20, 1
	s_delay_alu instid0(VALU_DEP_1) | instskip(NEXT) | instid1(VALU_DEP_1)
	v_add3_u32 v6, v5, v6, 0x407ffff
	v_and_b32_e32 v9, 0xff00000, v6
	v_lshrrev_b32_e32 v6, 20, v6
	s_delay_alu instid0(VALU_DEP_2) | instskip(NEXT) | instid1(VALU_DEP_2)
	v_cmp_ne_u32_e32 vcc_lo, 0x7f00000, v9
	v_cndmask_b32_e32 v6, 0x7e, v6, vcc_lo
; %bb.2772:
	s_and_not1_saveexec_b32 s6, s6
; %bb.2773:
	v_add_f32_e64 v6, 0x46800000, |v5|
; %bb.2774:
	s_or_b32 exec_lo, exec_lo, s6
                                        ; implicit-def: $vgpr9
.LBB134_2775:
	s_and_not1_saveexec_b32 s3, s3
; %bb.2776:
	v_mov_b32_e32 v6, 0x7f
	v_cmp_lt_u32_e32 vcc_lo, 0x7f800000, v9
	s_delay_alu instid0(VALU_DEP_2)
	v_cndmask_b32_e32 v6, 0x7e, v6, vcc_lo
; %bb.2777:
	s_or_b32 exec_lo, exec_lo, s3
	v_lshrrev_b32_e32 v5, 24, v5
	s_delay_alu instid0(VALU_DEP_1)
	v_and_or_b32 v5, 0x80, v5, v6
	global_store_b8 v[0:1], v5, off
.LBB134_2778:
	s_mov_b32 s3, 0
.LBB134_2779:
	s_delay_alu instid0(SALU_CYCLE_1)
	s_and_not1_b32 vcc_lo, exec_lo, s3
	s_cbranch_vccnz .LBB134_2789
; %bb.2780:
	v_cvt_f32_f16_e32 v5, v4
	s_mov_b32 s3, exec_lo
                                        ; implicit-def: $vgpr6
	s_delay_alu instid0(VALU_DEP_1) | instskip(NEXT) | instid1(VALU_DEP_1)
	v_and_b32_e32 v9, 0x7fffffff, v5
	v_cmpx_gt_u32_e32 0x47800000, v9
	s_xor_b32 s3, exec_lo, s3
	s_cbranch_execz .LBB134_2786
; %bb.2781:
	s_mov_b32 s6, exec_lo
                                        ; implicit-def: $vgpr6
	v_cmpx_lt_u32_e32 0x387fffff, v9
	s_xor_b32 s6, exec_lo, s6
; %bb.2782:
	v_bfe_u32 v6, v5, 21, 1
	s_delay_alu instid0(VALU_DEP_1) | instskip(NEXT) | instid1(VALU_DEP_1)
	v_add3_u32 v6, v5, v6, 0x80fffff
	v_lshrrev_b32_e32 v6, 21, v6
; %bb.2783:
	s_and_not1_saveexec_b32 s6, s6
; %bb.2784:
	v_add_f32_e64 v6, 0x43000000, |v5|
; %bb.2785:
	s_or_b32 exec_lo, exec_lo, s6
                                        ; implicit-def: $vgpr9
.LBB134_2786:
	s_and_not1_saveexec_b32 s3, s3
; %bb.2787:
	v_mov_b32_e32 v6, 0x7f
	v_cmp_lt_u32_e32 vcc_lo, 0x7f800000, v9
	s_delay_alu instid0(VALU_DEP_2)
	v_cndmask_b32_e32 v6, 0x7c, v6, vcc_lo
; %bb.2788:
	s_or_b32 exec_lo, exec_lo, s3
	v_lshrrev_b32_e32 v5, 24, v5
	s_delay_alu instid0(VALU_DEP_1)
	v_and_or_b32 v5, 0x80, v5, v6
	global_store_b8 v[0:1], v5, off
.LBB134_2789:
	s_mov_b32 s3, 0
	s_mov_b32 s6, -1
.LBB134_2790:
	s_and_not1_b32 vcc_lo, exec_lo, s3
	s_mov_b32 s3, 0
	s_cbranch_vccnz .LBB134_2797
; %bb.2791:
	v_cmp_lt_i16_e32 vcc_lo, 14, v3
	s_mov_b32 s3, -1
	s_cbranch_vccz .LBB134_2795
; %bb.2792:
	v_cmp_eq_u16_e32 vcc_lo, 15, v3
	s_mov_b32 s0, -1
	s_cbranch_vccz .LBB134_2794
; %bb.2793:
	v_cvt_f32_f16_e32 v5, v4
	v_cmp_o_f16_e32 vcc_lo, v4, v4
	s_mov_b32 s0, 0
	s_mov_b32 s6, -1
	s_delay_alu instid0(VALU_DEP_2) | instskip(NEXT) | instid1(VALU_DEP_1)
	v_bfe_u32 v6, v5, 16, 1
	v_add3_u32 v5, v5, v6, 0x7fff
	s_delay_alu instid0(VALU_DEP_1) | instskip(NEXT) | instid1(VALU_DEP_1)
	v_lshrrev_b32_e32 v5, 16, v5
	v_cndmask_b32_e32 v5, 0x7fc0, v5, vcc_lo
	global_store_b16 v[0:1], v5, off
.LBB134_2794:
	s_mov_b32 s3, 0
.LBB134_2795:
	s_delay_alu instid0(SALU_CYCLE_1)
	s_and_b32 vcc_lo, exec_lo, s3
	s_mov_b32 s3, 0
	s_cbranch_vccz .LBB134_2797
; %bb.2796:
	v_cmp_ne_u16_e64 s0, 11, v3
	s_mov_b32 s3, -1
.LBB134_2797:
	s_delay_alu instid0(VALU_DEP_1)
	s_and_b32 vcc_lo, exec_lo, s0
	s_cbranch_vccnz .LBB134_3097
; %bb.2798:
	s_and_not1_b32 vcc_lo, exec_lo, s3
	s_cbranch_vccnz .LBB134_2800
.LBB134_2799:
	v_cmp_neq_f16_e32 vcc_lo, 0, v4
	s_mov_b32 s6, -1
	v_cndmask_b32_e64 v5, 0, 1, vcc_lo
	global_store_b8 v[0:1], v5, off
.LBB134_2800:
	s_mov_b32 s0, 0
	s_branch .LBB134_2802
.LBB134_2801:
	s_mov_b32 s0, -1
	s_mov_b32 s6, 0
.LBB134_2802:
	s_and_b32 vcc_lo, exec_lo, s0
	s_cbranch_vccz .LBB134_2841
; %bb.2803:
	v_cmp_gt_i16_e32 vcc_lo, 5, v3
	s_mov_b32 s0, -1
	s_cbranch_vccnz .LBB134_2824
; %bb.2804:
	v_cmp_gt_i16_e32 vcc_lo, 8, v3
	s_cbranch_vccnz .LBB134_2814
; %bb.2805:
	v_cmp_gt_i16_e32 vcc_lo, 9, v3
	s_cbranch_vccnz .LBB134_2811
; %bb.2806:
	v_cmp_lt_i16_e32 vcc_lo, 9, v3
	s_cbranch_vccz .LBB134_2808
; %bb.2807:
	v_cvt_f32_f16_e32 v5, v4
	v_mov_b32_e32 v11, 0
	s_mov_b32 s0, 0
	s_delay_alu instid0(VALU_DEP_2) | instskip(NEXT) | instid1(VALU_DEP_2)
	v_cvt_f64_f32_e32 v[9:10], v5
	v_mov_b32_e32 v12, v11
	global_store_b128 v[0:1], v[9:12], off
.LBB134_2808:
	s_and_not1_b32 vcc_lo, exec_lo, s0
	s_cbranch_vccnz .LBB134_2810
; %bb.2809:
	v_cvt_f32_f16_e32 v5, v4
	v_mov_b32_e32 v6, 0
	global_store_b64 v[0:1], v[5:6], off
.LBB134_2810:
	s_mov_b32 s0, 0
.LBB134_2811:
	s_delay_alu instid0(SALU_CYCLE_1)
	s_and_not1_b32 vcc_lo, exec_lo, s0
	s_cbranch_vccnz .LBB134_2813
; %bb.2812:
	v_and_b32_e32 v5, 0xffff, v4
	global_store_b32 v[0:1], v5, off
.LBB134_2813:
	s_mov_b32 s0, 0
.LBB134_2814:
	s_delay_alu instid0(SALU_CYCLE_1)
	s_and_not1_b32 vcc_lo, exec_lo, s0
	s_cbranch_vccnz .LBB134_2823
; %bb.2815:
	v_cmp_gt_i16_e32 vcc_lo, 6, v3
	s_mov_b32 s0, -1
	s_cbranch_vccnz .LBB134_2821
; %bb.2816:
	v_cmp_lt_i16_e32 vcc_lo, 6, v3
	s_cbranch_vccz .LBB134_2818
; %bb.2817:
	v_cvt_f32_f16_e32 v5, v4
	s_mov_b32 s0, 0
	s_delay_alu instid0(VALU_DEP_1)
	v_cvt_f64_f32_e32 v[5:6], v5
	global_store_b64 v[0:1], v[5:6], off
.LBB134_2818:
	s_and_not1_b32 vcc_lo, exec_lo, s0
	s_cbranch_vccnz .LBB134_2820
; %bb.2819:
	v_cvt_f32_f16_e32 v5, v4
	global_store_b32 v[0:1], v5, off
.LBB134_2820:
	s_mov_b32 s0, 0
.LBB134_2821:
	s_delay_alu instid0(SALU_CYCLE_1)
	s_and_not1_b32 vcc_lo, exec_lo, s0
	s_cbranch_vccnz .LBB134_2823
; %bb.2822:
	global_store_b16 v[0:1], v4, off
.LBB134_2823:
	s_mov_b32 s0, 0
.LBB134_2824:
	s_delay_alu instid0(SALU_CYCLE_1)
	s_and_not1_b32 vcc_lo, exec_lo, s0
	s_cbranch_vccnz .LBB134_2840
; %bb.2825:
	v_cmp_gt_i16_e32 vcc_lo, 2, v3
	s_mov_b32 s0, -1
	s_cbranch_vccnz .LBB134_2835
; %bb.2826:
	v_cmp_gt_i16_e32 vcc_lo, 3, v3
	s_cbranch_vccnz .LBB134_2832
; %bb.2827:
	v_cmp_lt_i16_e32 vcc_lo, 3, v3
	s_cbranch_vccz .LBB134_2829
; %bb.2828:
	v_cvt_f32_f16_e32 v5, v4
	s_mov_b32 s0, 0
	s_delay_alu instid0(VALU_DEP_1) | instskip(NEXT) | instid1(VALU_DEP_1)
	v_cvt_i32_f32_e32 v5, v5
	v_ashrrev_i32_e32 v6, 31, v5
	global_store_b64 v[0:1], v[5:6], off
.LBB134_2829:
	s_and_not1_b32 vcc_lo, exec_lo, s0
	s_cbranch_vccnz .LBB134_2831
; %bb.2830:
	v_cvt_f32_f16_e32 v5, v4
	s_delay_alu instid0(VALU_DEP_1)
	v_cvt_i32_f32_e32 v5, v5
	global_store_b32 v[0:1], v5, off
.LBB134_2831:
	s_mov_b32 s0, 0
.LBB134_2832:
	s_delay_alu instid0(SALU_CYCLE_1)
	s_and_not1_b32 vcc_lo, exec_lo, s0
	s_cbranch_vccnz .LBB134_2834
; %bb.2833:
	v_cvt_i16_f16_e32 v5, v4
	global_store_b16 v[0:1], v5, off
.LBB134_2834:
	s_mov_b32 s0, 0
.LBB134_2835:
	s_delay_alu instid0(SALU_CYCLE_1)
	s_and_not1_b32 vcc_lo, exec_lo, s0
	s_cbranch_vccnz .LBB134_2840
; %bb.2836:
	v_cmp_lt_i16_e32 vcc_lo, 0, v3
	s_mov_b32 s0, -1
	s_cbranch_vccz .LBB134_2838
; %bb.2837:
	v_cvt_i16_f16_e32 v5, v4
	s_mov_b32 s0, 0
	global_store_b8 v[0:1], v5, off
.LBB134_2838:
	s_and_not1_b32 vcc_lo, exec_lo, s0
	s_cbranch_vccnz .LBB134_2840
; %bb.2839:
	v_cvt_f32_f16_e32 v4, v4
	s_delay_alu instid0(VALU_DEP_1)
	v_cvt_i32_f32_e32 v4, v4
	global_store_b8 v[0:1], v4, off
.LBB134_2840:
	s_mov_b32 s6, -1
.LBB134_2841:
	s_delay_alu instid0(SALU_CYCLE_1)
	s_and_not1_b32 vcc_lo, exec_lo, s6
	s_cbranch_vccnz .LBB134_3037
; %bb.2842:
	v_cndmask_b32_e64 v0, 0, 1.0, s10
	v_cvt_f32_f16_e32 v1, v7
	v_add_nc_u32_e32 v2, s1, v2
	v_cmp_gt_i16_e32 vcc_lo, 11, v3
	s_delay_alu instid0(VALU_DEP_3) | instskip(NEXT) | instid1(VALU_DEP_3)
	v_mul_f32_e32 v0, v1, v0
	v_ashrrev_i32_e32 v1, 31, v2
	s_delay_alu instid0(VALU_DEP_2) | instskip(SKIP_1) | instid1(VALU_DEP_1)
	v_fma_mixlo_f16 v4, s11, v0, 0
	v_add_co_u32 v0, s0, s4, v2
	v_add_co_ci_u32_e64 v1, s0, s5, v1, s0
	s_cbranch_vccnz .LBB134_2920
; %bb.2843:
	v_cmp_lt_i16_e32 vcc_lo, 25, v3
	s_mov_b32 s7, -1
	s_mov_b32 s3, 0
	s_mov_b32 s6, 0
	;; [unrolled: 1-line block ×3, first 2 shown]
	s_cbranch_vccz .LBB134_2876
; %bb.2844:
	v_cmp_lt_i16_e32 vcc_lo, 28, v3
	s_cbranch_vccz .LBB134_2859
; %bb.2845:
	v_cmp_lt_i16_e32 vcc_lo, 43, v3
	;; [unrolled: 3-line block ×3, first 2 shown]
	s_cbranch_vccz .LBB134_2849
; %bb.2847:
	v_cmp_eq_u16_e32 vcc_lo, 46, v3
	s_mov_b32 s0, -1
	s_mov_b32 s7, 0
	s_cbranch_vccz .LBB134_2849
; %bb.2848:
	v_cvt_f32_f16_e32 v5, v4
	v_cmp_o_f16_e32 vcc_lo, v4, v4
	s_mov_b32 s0, 0
	s_mov_b32 s6, -1
	s_delay_alu instid0(VALU_DEP_2) | instskip(NEXT) | instid1(VALU_DEP_1)
	v_bfe_u32 v6, v5, 16, 1
	v_add3_u32 v5, v5, v6, 0x7fff
	s_delay_alu instid0(VALU_DEP_1) | instskip(NEXT) | instid1(VALU_DEP_1)
	v_lshrrev_b32_e32 v5, 16, v5
	v_cndmask_b32_e32 v5, 0x7fc0, v5, vcc_lo
	global_store_b32 v[0:1], v5, off
.LBB134_2849:
	s_and_b32 vcc_lo, exec_lo, s7
	s_cbranch_vccz .LBB134_2854
; %bb.2850:
	v_cmp_eq_u16_e32 vcc_lo, 44, v3
	s_mov_b32 s0, -1
	s_cbranch_vccz .LBB134_2854
; %bb.2851:
	v_cvt_f32_f16_e32 v5, v4
	v_mov_b32_e32 v6, 0xff
	s_mov_b32 s6, exec_lo
	s_delay_alu instid0(VALU_DEP_2) | instskip(NEXT) | instid1(VALU_DEP_1)
	v_bfe_u32 v7, v5, 23, 8
	v_cmpx_ne_u32_e32 0xff, v7
; %bb.2852:
	v_and_b32_e32 v6, 0x400000, v5
	v_and_or_b32 v7, 0x3fffff, v5, v7
	v_lshrrev_b32_e32 v5, 23, v5
	s_delay_alu instid0(VALU_DEP_3) | instskip(NEXT) | instid1(VALU_DEP_3)
	v_cmp_ne_u32_e32 vcc_lo, 0, v6
	v_cmp_ne_u32_e64 s0, 0, v7
	s_delay_alu instid0(VALU_DEP_1) | instskip(NEXT) | instid1(SALU_CYCLE_1)
	s_and_b32 s0, vcc_lo, s0
	v_cndmask_b32_e64 v6, 0, 1, s0
	s_delay_alu instid0(VALU_DEP_1)
	v_add_nc_u32_e32 v6, v5, v6
; %bb.2853:
	s_or_b32 exec_lo, exec_lo, s6
	s_mov_b32 s0, 0
	s_mov_b32 s6, -1
	global_store_b8 v[0:1], v6, off
.LBB134_2854:
	s_mov_b32 s7, 0
.LBB134_2855:
	s_delay_alu instid0(SALU_CYCLE_1)
	s_and_b32 vcc_lo, exec_lo, s7
	s_cbranch_vccz .LBB134_2858
; %bb.2856:
	v_cmp_eq_u16_e32 vcc_lo, 29, v3
	s_mov_b32 s0, -1
	s_cbranch_vccz .LBB134_2858
; %bb.2857:
	v_cvt_f32_f16_e32 v5, v4
	v_mov_b32_e32 v6, 0
	s_mov_b32 s0, 0
	s_mov_b32 s6, -1
	s_delay_alu instid0(VALU_DEP_2)
	v_cvt_u32_f32_e32 v5, v5
	global_store_b64 v[0:1], v[5:6], off
.LBB134_2858:
	s_mov_b32 s7, 0
.LBB134_2859:
	s_delay_alu instid0(SALU_CYCLE_1)
	s_and_b32 vcc_lo, exec_lo, s7
	s_cbranch_vccz .LBB134_2875
; %bb.2860:
	v_cmp_gt_i16_e32 vcc_lo, 27, v3
	s_mov_b32 s6, -1
	s_cbranch_vccnz .LBB134_2866
; %bb.2861:
	v_cmp_lt_i16_e32 vcc_lo, 27, v3
	s_cbranch_vccz .LBB134_2863
; %bb.2862:
	v_cvt_f32_f16_e32 v5, v4
	s_mov_b32 s6, 0
	s_delay_alu instid0(VALU_DEP_1)
	v_cvt_u32_f32_e32 v5, v5
	global_store_b32 v[0:1], v5, off
.LBB134_2863:
	s_and_not1_b32 vcc_lo, exec_lo, s6
	s_cbranch_vccnz .LBB134_2865
; %bb.2864:
	v_cvt_u16_f16_e32 v5, v4
	global_store_b16 v[0:1], v5, off
.LBB134_2865:
	s_mov_b32 s6, 0
.LBB134_2866:
	s_delay_alu instid0(SALU_CYCLE_1)
	s_and_not1_b32 vcc_lo, exec_lo, s6
	s_cbranch_vccnz .LBB134_2874
; %bb.2867:
	v_cvt_f32_f16_e32 v5, v4
	v_mov_b32_e32 v7, 0x80
	s_mov_b32 s6, exec_lo
	s_delay_alu instid0(VALU_DEP_2) | instskip(NEXT) | instid1(VALU_DEP_1)
	v_and_b32_e32 v6, 0x7fffffff, v5
	v_cmpx_gt_u32_e32 0x43800000, v6
	s_cbranch_execz .LBB134_2873
; %bb.2868:
	v_cmp_lt_u32_e32 vcc_lo, 0x3bffffff, v6
	s_mov_b32 s7, 0
                                        ; implicit-def: $vgpr6
	s_and_saveexec_b32 s8, vcc_lo
	s_delay_alu instid0(SALU_CYCLE_1)
	s_xor_b32 s8, exec_lo, s8
	s_cbranch_execz .LBB134_3101
; %bb.2869:
	v_bfe_u32 v6, v5, 20, 1
	s_mov_b32 s7, exec_lo
	s_delay_alu instid0(VALU_DEP_1) | instskip(NEXT) | instid1(VALU_DEP_1)
	v_add3_u32 v6, v5, v6, 0x487ffff
	v_lshrrev_b32_e32 v6, 20, v6
	s_or_saveexec_b32 s8, s8
                                        ; implicit-def: $sgpr9
	s_delay_alu instid0(SALU_CYCLE_1)
	s_xor_b32 exec_lo, exec_lo, s8
	s_cbranch_execnz .LBB134_3102
.LBB134_2870:
	s_or_b32 exec_lo, exec_lo, s8
	v_mov_b32_e32 v7, s9
	s_and_saveexec_b32 s8, s7
.LBB134_2871:
	v_lshrrev_b32_e32 v5, 24, v5
	s_delay_alu instid0(VALU_DEP_1)
	v_and_or_b32 v7, 0x80, v5, v6
.LBB134_2872:
	s_or_b32 exec_lo, exec_lo, s8
.LBB134_2873:
	s_delay_alu instid0(SALU_CYCLE_1)
	s_or_b32 exec_lo, exec_lo, s6
	global_store_b8 v[0:1], v7, off
.LBB134_2874:
	s_mov_b32 s6, -1
.LBB134_2875:
	s_mov_b32 s7, 0
.LBB134_2876:
	s_delay_alu instid0(SALU_CYCLE_1)
	s_and_b32 vcc_lo, exec_lo, s7
	s_cbranch_vccz .LBB134_2916
; %bb.2877:
	v_cmp_lt_i16_e32 vcc_lo, 22, v3
	s_mov_b32 s3, -1
	s_cbranch_vccz .LBB134_2909
; %bb.2878:
	v_cmp_gt_i16_e32 vcc_lo, 24, v3
	s_cbranch_vccnz .LBB134_2898
; %bb.2879:
	v_cmp_lt_i16_e32 vcc_lo, 24, v3
	s_cbranch_vccz .LBB134_2887
; %bb.2880:
	v_cvt_f32_f16_e32 v5, v4
	v_mov_b32_e32 v7, 0x80
	s_mov_b32 s3, exec_lo
	s_delay_alu instid0(VALU_DEP_2) | instskip(NEXT) | instid1(VALU_DEP_1)
	v_and_b32_e32 v6, 0x7fffffff, v5
	v_cmpx_gt_u32_e32 0x47800000, v6
	s_cbranch_execz .LBB134_2886
; %bb.2881:
	v_cmp_lt_u32_e32 vcc_lo, 0x37ffffff, v6
	s_mov_b32 s6, 0
                                        ; implicit-def: $vgpr6
	s_and_saveexec_b32 s7, vcc_lo
	s_delay_alu instid0(SALU_CYCLE_1)
	s_xor_b32 s7, exec_lo, s7
	s_cbranch_execz .LBB134_3107
; %bb.2882:
	v_bfe_u32 v6, v5, 21, 1
	s_mov_b32 s6, exec_lo
	s_delay_alu instid0(VALU_DEP_1) | instskip(NEXT) | instid1(VALU_DEP_1)
	v_add3_u32 v6, v5, v6, 0x88fffff
	v_lshrrev_b32_e32 v6, 21, v6
	s_or_saveexec_b32 s7, s7
                                        ; implicit-def: $sgpr8
	s_delay_alu instid0(SALU_CYCLE_1)
	s_xor_b32 exec_lo, exec_lo, s7
	s_cbranch_execnz .LBB134_3108
.LBB134_2883:
	s_or_b32 exec_lo, exec_lo, s7
	v_mov_b32_e32 v7, s8
	s_and_saveexec_b32 s7, s6
.LBB134_2884:
	v_lshrrev_b32_e32 v5, 24, v5
	s_delay_alu instid0(VALU_DEP_1)
	v_and_or_b32 v7, 0x80, v5, v6
.LBB134_2885:
	s_or_b32 exec_lo, exec_lo, s7
.LBB134_2886:
	s_delay_alu instid0(SALU_CYCLE_1)
	s_or_b32 exec_lo, exec_lo, s3
	s_mov_b32 s3, 0
	global_store_b8 v[0:1], v7, off
.LBB134_2887:
	s_and_b32 vcc_lo, exec_lo, s3
	s_cbranch_vccz .LBB134_2897
; %bb.2888:
	v_cvt_f32_f16_e32 v5, v4
	s_mov_b32 s3, exec_lo
                                        ; implicit-def: $vgpr6
	s_delay_alu instid0(VALU_DEP_1) | instskip(NEXT) | instid1(VALU_DEP_1)
	v_and_b32_e32 v7, 0x7fffffff, v5
	v_cmpx_gt_u32_e32 0x43f00000, v7
	s_xor_b32 s3, exec_lo, s3
	s_cbranch_execz .LBB134_2894
; %bb.2889:
	s_mov_b32 s6, exec_lo
                                        ; implicit-def: $vgpr6
	v_cmpx_lt_u32_e32 0x3c7fffff, v7
	s_xor_b32 s6, exec_lo, s6
; %bb.2890:
	v_bfe_u32 v6, v5, 20, 1
	s_delay_alu instid0(VALU_DEP_1) | instskip(NEXT) | instid1(VALU_DEP_1)
	v_add3_u32 v6, v5, v6, 0x407ffff
	v_and_b32_e32 v7, 0xff00000, v6
	v_lshrrev_b32_e32 v6, 20, v6
	s_delay_alu instid0(VALU_DEP_2) | instskip(NEXT) | instid1(VALU_DEP_2)
	v_cmp_ne_u32_e32 vcc_lo, 0x7f00000, v7
	v_cndmask_b32_e32 v6, 0x7e, v6, vcc_lo
; %bb.2891:
	s_and_not1_saveexec_b32 s6, s6
; %bb.2892:
	v_add_f32_e64 v6, 0x46800000, |v5|
; %bb.2893:
	s_or_b32 exec_lo, exec_lo, s6
                                        ; implicit-def: $vgpr7
.LBB134_2894:
	s_and_not1_saveexec_b32 s3, s3
; %bb.2895:
	v_mov_b32_e32 v6, 0x7f
	v_cmp_lt_u32_e32 vcc_lo, 0x7f800000, v7
	s_delay_alu instid0(VALU_DEP_2)
	v_cndmask_b32_e32 v6, 0x7e, v6, vcc_lo
; %bb.2896:
	s_or_b32 exec_lo, exec_lo, s3
	v_lshrrev_b32_e32 v5, 24, v5
	s_delay_alu instid0(VALU_DEP_1)
	v_and_or_b32 v5, 0x80, v5, v6
	global_store_b8 v[0:1], v5, off
.LBB134_2897:
	s_mov_b32 s3, 0
.LBB134_2898:
	s_delay_alu instid0(SALU_CYCLE_1)
	s_and_not1_b32 vcc_lo, exec_lo, s3
	s_cbranch_vccnz .LBB134_2908
; %bb.2899:
	v_cvt_f32_f16_e32 v5, v4
	s_mov_b32 s3, exec_lo
                                        ; implicit-def: $vgpr6
	s_delay_alu instid0(VALU_DEP_1) | instskip(NEXT) | instid1(VALU_DEP_1)
	v_and_b32_e32 v7, 0x7fffffff, v5
	v_cmpx_gt_u32_e32 0x47800000, v7
	s_xor_b32 s3, exec_lo, s3
	s_cbranch_execz .LBB134_2905
; %bb.2900:
	s_mov_b32 s6, exec_lo
                                        ; implicit-def: $vgpr6
	v_cmpx_lt_u32_e32 0x387fffff, v7
	s_xor_b32 s6, exec_lo, s6
; %bb.2901:
	v_bfe_u32 v6, v5, 21, 1
	s_delay_alu instid0(VALU_DEP_1) | instskip(NEXT) | instid1(VALU_DEP_1)
	v_add3_u32 v6, v5, v6, 0x80fffff
	v_lshrrev_b32_e32 v6, 21, v6
; %bb.2902:
	s_and_not1_saveexec_b32 s6, s6
; %bb.2903:
	v_add_f32_e64 v6, 0x43000000, |v5|
; %bb.2904:
	s_or_b32 exec_lo, exec_lo, s6
                                        ; implicit-def: $vgpr7
.LBB134_2905:
	s_and_not1_saveexec_b32 s3, s3
; %bb.2906:
	v_mov_b32_e32 v6, 0x7f
	v_cmp_lt_u32_e32 vcc_lo, 0x7f800000, v7
	s_delay_alu instid0(VALU_DEP_2)
	v_cndmask_b32_e32 v6, 0x7c, v6, vcc_lo
; %bb.2907:
	s_or_b32 exec_lo, exec_lo, s3
	v_lshrrev_b32_e32 v5, 24, v5
	s_delay_alu instid0(VALU_DEP_1)
	v_and_or_b32 v5, 0x80, v5, v6
	global_store_b8 v[0:1], v5, off
.LBB134_2908:
	s_mov_b32 s3, 0
	s_mov_b32 s6, -1
.LBB134_2909:
	s_and_not1_b32 vcc_lo, exec_lo, s3
	s_mov_b32 s3, 0
	s_cbranch_vccnz .LBB134_2916
; %bb.2910:
	v_cmp_lt_i16_e32 vcc_lo, 14, v3
	s_mov_b32 s3, -1
	s_cbranch_vccz .LBB134_2914
; %bb.2911:
	v_cmp_eq_u16_e32 vcc_lo, 15, v3
	s_mov_b32 s0, -1
	s_cbranch_vccz .LBB134_2913
; %bb.2912:
	v_cvt_f32_f16_e32 v5, v4
	v_cmp_o_f16_e32 vcc_lo, v4, v4
	s_mov_b32 s0, 0
	s_mov_b32 s6, -1
	s_delay_alu instid0(VALU_DEP_2) | instskip(NEXT) | instid1(VALU_DEP_1)
	v_bfe_u32 v6, v5, 16, 1
	v_add3_u32 v5, v5, v6, 0x7fff
	s_delay_alu instid0(VALU_DEP_1) | instskip(NEXT) | instid1(VALU_DEP_1)
	v_lshrrev_b32_e32 v5, 16, v5
	v_cndmask_b32_e32 v5, 0x7fc0, v5, vcc_lo
	global_store_b16 v[0:1], v5, off
.LBB134_2913:
	s_mov_b32 s3, 0
.LBB134_2914:
	s_delay_alu instid0(SALU_CYCLE_1)
	s_and_b32 vcc_lo, exec_lo, s3
	s_mov_b32 s3, 0
	s_cbranch_vccz .LBB134_2916
; %bb.2915:
	v_cmp_ne_u16_e64 s0, 11, v3
	s_mov_b32 s3, -1
.LBB134_2916:
	s_delay_alu instid0(VALU_DEP_1)
	s_and_b32 vcc_lo, exec_lo, s0
	s_cbranch_vccnz .LBB134_3105
; %bb.2917:
	s_and_not1_b32 vcc_lo, exec_lo, s3
	s_cbranch_vccnz .LBB134_2919
.LBB134_2918:
	v_cmp_neq_f16_e32 vcc_lo, 0, v4
	s_mov_b32 s6, -1
	v_cndmask_b32_e64 v5, 0, 1, vcc_lo
	global_store_b8 v[0:1], v5, off
.LBB134_2919:
	s_mov_b32 s0, 0
	s_branch .LBB134_2921
.LBB134_2920:
	s_mov_b32 s0, -1
	s_mov_b32 s6, 0
.LBB134_2921:
	s_and_b32 vcc_lo, exec_lo, s0
	s_cbranch_vccz .LBB134_2960
; %bb.2922:
	v_cmp_gt_i16_e32 vcc_lo, 5, v3
	s_mov_b32 s0, -1
	s_cbranch_vccnz .LBB134_2943
; %bb.2923:
	v_cmp_gt_i16_e32 vcc_lo, 8, v3
	s_cbranch_vccnz .LBB134_2933
; %bb.2924:
	v_cmp_gt_i16_e32 vcc_lo, 9, v3
	s_cbranch_vccnz .LBB134_2930
; %bb.2925:
	v_cmp_lt_i16_e32 vcc_lo, 9, v3
	s_cbranch_vccz .LBB134_2927
; %bb.2926:
	v_cvt_f32_f16_e32 v5, v4
	v_mov_b32_e32 v11, 0
	s_mov_b32 s0, 0
	s_delay_alu instid0(VALU_DEP_2) | instskip(NEXT) | instid1(VALU_DEP_2)
	v_cvt_f64_f32_e32 v[9:10], v5
	v_mov_b32_e32 v12, v11
	global_store_b128 v[0:1], v[9:12], off
.LBB134_2927:
	s_and_not1_b32 vcc_lo, exec_lo, s0
	s_cbranch_vccnz .LBB134_2929
; %bb.2928:
	v_cvt_f32_f16_e32 v5, v4
	v_mov_b32_e32 v6, 0
	global_store_b64 v[0:1], v[5:6], off
.LBB134_2929:
	s_mov_b32 s0, 0
.LBB134_2930:
	s_delay_alu instid0(SALU_CYCLE_1)
	s_and_not1_b32 vcc_lo, exec_lo, s0
	s_cbranch_vccnz .LBB134_2932
; %bb.2931:
	v_and_b32_e32 v5, 0xffff, v4
	global_store_b32 v[0:1], v5, off
.LBB134_2932:
	s_mov_b32 s0, 0
.LBB134_2933:
	s_delay_alu instid0(SALU_CYCLE_1)
	s_and_not1_b32 vcc_lo, exec_lo, s0
	s_cbranch_vccnz .LBB134_2942
; %bb.2934:
	v_cmp_gt_i16_e32 vcc_lo, 6, v3
	s_mov_b32 s0, -1
	s_cbranch_vccnz .LBB134_2940
; %bb.2935:
	v_cmp_lt_i16_e32 vcc_lo, 6, v3
	s_cbranch_vccz .LBB134_2937
; %bb.2936:
	v_cvt_f32_f16_e32 v5, v4
	s_mov_b32 s0, 0
	s_delay_alu instid0(VALU_DEP_1)
	v_cvt_f64_f32_e32 v[5:6], v5
	global_store_b64 v[0:1], v[5:6], off
.LBB134_2937:
	s_and_not1_b32 vcc_lo, exec_lo, s0
	s_cbranch_vccnz .LBB134_2939
; %bb.2938:
	v_cvt_f32_f16_e32 v5, v4
	global_store_b32 v[0:1], v5, off
.LBB134_2939:
	s_mov_b32 s0, 0
.LBB134_2940:
	s_delay_alu instid0(SALU_CYCLE_1)
	s_and_not1_b32 vcc_lo, exec_lo, s0
	s_cbranch_vccnz .LBB134_2942
; %bb.2941:
	global_store_b16 v[0:1], v4, off
.LBB134_2942:
	s_mov_b32 s0, 0
.LBB134_2943:
	s_delay_alu instid0(SALU_CYCLE_1)
	s_and_not1_b32 vcc_lo, exec_lo, s0
	s_cbranch_vccnz .LBB134_2959
; %bb.2944:
	v_cmp_gt_i16_e32 vcc_lo, 2, v3
	s_mov_b32 s0, -1
	s_cbranch_vccnz .LBB134_2954
; %bb.2945:
	v_cmp_gt_i16_e32 vcc_lo, 3, v3
	s_cbranch_vccnz .LBB134_2951
; %bb.2946:
	v_cmp_lt_i16_e32 vcc_lo, 3, v3
	s_cbranch_vccz .LBB134_2948
; %bb.2947:
	v_cvt_f32_f16_e32 v5, v4
	s_mov_b32 s0, 0
	s_delay_alu instid0(VALU_DEP_1) | instskip(NEXT) | instid1(VALU_DEP_1)
	v_cvt_i32_f32_e32 v5, v5
	v_ashrrev_i32_e32 v6, 31, v5
	global_store_b64 v[0:1], v[5:6], off
.LBB134_2948:
	s_and_not1_b32 vcc_lo, exec_lo, s0
	s_cbranch_vccnz .LBB134_2950
; %bb.2949:
	v_cvt_f32_f16_e32 v5, v4
	s_delay_alu instid0(VALU_DEP_1)
	v_cvt_i32_f32_e32 v5, v5
	global_store_b32 v[0:1], v5, off
.LBB134_2950:
	s_mov_b32 s0, 0
.LBB134_2951:
	s_delay_alu instid0(SALU_CYCLE_1)
	s_and_not1_b32 vcc_lo, exec_lo, s0
	s_cbranch_vccnz .LBB134_2953
; %bb.2952:
	v_cvt_i16_f16_e32 v5, v4
	global_store_b16 v[0:1], v5, off
.LBB134_2953:
	s_mov_b32 s0, 0
.LBB134_2954:
	s_delay_alu instid0(SALU_CYCLE_1)
	s_and_not1_b32 vcc_lo, exec_lo, s0
	s_cbranch_vccnz .LBB134_2959
; %bb.2955:
	v_cmp_lt_i16_e32 vcc_lo, 0, v3
	s_mov_b32 s0, -1
	s_cbranch_vccz .LBB134_2957
; %bb.2956:
	v_cvt_i16_f16_e32 v5, v4
	s_mov_b32 s0, 0
	global_store_b8 v[0:1], v5, off
.LBB134_2957:
	s_and_not1_b32 vcc_lo, exec_lo, s0
	s_cbranch_vccnz .LBB134_2959
; %bb.2958:
	v_cvt_f32_f16_e32 v4, v4
	s_delay_alu instid0(VALU_DEP_1)
	v_cvt_i32_f32_e32 v4, v4
	global_store_b8 v[0:1], v4, off
.LBB134_2959:
	s_mov_b32 s6, -1
.LBB134_2960:
	s_delay_alu instid0(SALU_CYCLE_1)
	s_and_not1_b32 vcc_lo, exec_lo, s6
	s_cbranch_vccnz .LBB134_3037
; %bb.2961:
	v_cndmask_b32_e64 v0, 0, 1.0, s2
	v_cvt_f32_f16_e32 v1, v8
	v_add_nc_u32_e32 v2, s1, v2
	v_cmp_gt_i16_e32 vcc_lo, 11, v3
	s_delay_alu instid0(VALU_DEP_3) | instskip(NEXT) | instid1(VALU_DEP_3)
	v_mul_f32_e32 v0, v1, v0
	v_ashrrev_i32_e32 v1, 31, v2
	s_delay_alu instid0(VALU_DEP_2) | instskip(SKIP_1) | instid1(VALU_DEP_1)
	v_fma_mixlo_f16 v4, s11, v0, 0
	v_add_co_u32 v0, s0, s4, v2
	v_add_co_ci_u32_e64 v1, s0, s5, v1, s0
	s_cbranch_vccnz .LBB134_3082
; %bb.2962:
	v_cmp_lt_i16_e32 vcc_lo, 25, v3
	s_mov_b32 s2, -1
	s_mov_b32 s1, 0
	s_mov_b32 s0, 0
	s_cbranch_vccz .LBB134_2995
; %bb.2963:
	v_cmp_lt_i16_e32 vcc_lo, 28, v3
	s_cbranch_vccz .LBB134_2979
; %bb.2964:
	v_cmp_lt_i16_e32 vcc_lo, 43, v3
	;; [unrolled: 3-line block ×3, first 2 shown]
	s_cbranch_vccz .LBB134_2969
; %bb.2966:
	v_cmp_eq_u16_e32 vcc_lo, 46, v3
	s_mov_b32 s0, -1
	s_cbranch_vccz .LBB134_2968
; %bb.2967:
	v_cvt_f32_f16_e32 v2, v4
	v_cmp_o_f16_e32 vcc_lo, v4, v4
	s_mov_b32 s0, 0
	s_delay_alu instid0(VALU_DEP_2) | instskip(NEXT) | instid1(VALU_DEP_1)
	v_bfe_u32 v5, v2, 16, 1
	v_add3_u32 v2, v2, v5, 0x7fff
	s_delay_alu instid0(VALU_DEP_1) | instskip(NEXT) | instid1(VALU_DEP_1)
	v_lshrrev_b32_e32 v2, 16, v2
	v_cndmask_b32_e32 v2, 0x7fc0, v2, vcc_lo
	global_store_b32 v[0:1], v2, off
.LBB134_2968:
	s_mov_b32 s2, 0
.LBB134_2969:
	s_delay_alu instid0(SALU_CYCLE_1)
	s_and_b32 vcc_lo, exec_lo, s2
	s_cbranch_vccz .LBB134_2974
; %bb.2970:
	v_cmp_eq_u16_e32 vcc_lo, 44, v3
	s_mov_b32 s0, -1
	s_cbranch_vccz .LBB134_2974
; %bb.2971:
	v_cvt_f32_f16_e32 v2, v4
	v_mov_b32_e32 v5, 0xff
	s_mov_b32 s2, exec_lo
	s_delay_alu instid0(VALU_DEP_2) | instskip(NEXT) | instid1(VALU_DEP_1)
	v_bfe_u32 v6, v2, 23, 8
	v_cmpx_ne_u32_e32 0xff, v6
; %bb.2972:
	v_and_b32_e32 v5, 0x400000, v2
	v_and_or_b32 v6, 0x3fffff, v2, v6
	v_lshrrev_b32_e32 v2, 23, v2
	s_delay_alu instid0(VALU_DEP_3) | instskip(NEXT) | instid1(VALU_DEP_3)
	v_cmp_ne_u32_e32 vcc_lo, 0, v5
	v_cmp_ne_u32_e64 s0, 0, v6
	s_delay_alu instid0(VALU_DEP_1) | instskip(NEXT) | instid1(SALU_CYCLE_1)
	s_and_b32 s0, vcc_lo, s0
	v_cndmask_b32_e64 v5, 0, 1, s0
	s_delay_alu instid0(VALU_DEP_1)
	v_add_nc_u32_e32 v5, v2, v5
; %bb.2973:
	s_or_b32 exec_lo, exec_lo, s2
	s_mov_b32 s0, 0
	global_store_b8 v[0:1], v5, off
.LBB134_2974:
	s_mov_b32 s2, 0
.LBB134_2975:
	s_delay_alu instid0(SALU_CYCLE_1)
	s_and_b32 vcc_lo, exec_lo, s2
	s_cbranch_vccz .LBB134_2978
; %bb.2976:
	v_cmp_eq_u16_e32 vcc_lo, 29, v3
	s_mov_b32 s0, -1
	s_cbranch_vccz .LBB134_2978
; %bb.2977:
	v_cvt_f32_f16_e32 v2, v4
	v_mov_b32_e32 v6, 0
	s_mov_b32 s0, 0
	s_delay_alu instid0(VALU_DEP_2)
	v_cvt_u32_f32_e32 v5, v2
	global_store_b64 v[0:1], v[5:6], off
.LBB134_2978:
	s_mov_b32 s2, 0
.LBB134_2979:
	s_delay_alu instid0(SALU_CYCLE_1)
	s_and_b32 vcc_lo, exec_lo, s2
	s_cbranch_vccz .LBB134_2994
; %bb.2980:
	v_cmp_gt_i16_e32 vcc_lo, 27, v3
	s_mov_b32 s2, -1
	s_cbranch_vccnz .LBB134_2986
; %bb.2981:
	v_cmp_lt_i16_e32 vcc_lo, 27, v3
	s_cbranch_vccz .LBB134_2983
; %bb.2982:
	v_cvt_f32_f16_e32 v2, v4
	s_mov_b32 s2, 0
	s_delay_alu instid0(VALU_DEP_1)
	v_cvt_u32_f32_e32 v2, v2
	global_store_b32 v[0:1], v2, off
.LBB134_2983:
	s_and_not1_b32 vcc_lo, exec_lo, s2
	s_cbranch_vccnz .LBB134_2985
; %bb.2984:
	v_cvt_u16_f16_e32 v2, v4
	global_store_b16 v[0:1], v2, off
.LBB134_2985:
	s_mov_b32 s2, 0
.LBB134_2986:
	s_delay_alu instid0(SALU_CYCLE_1)
	s_and_not1_b32 vcc_lo, exec_lo, s2
	s_cbranch_vccnz .LBB134_2994
; %bb.2987:
	v_cvt_f32_f16_e32 v2, v4
	v_mov_b32_e32 v6, 0x80
	s_mov_b32 s2, exec_lo
	s_delay_alu instid0(VALU_DEP_2) | instskip(NEXT) | instid1(VALU_DEP_1)
	v_and_b32_e32 v5, 0x7fffffff, v2
	v_cmpx_gt_u32_e32 0x43800000, v5
	s_cbranch_execz .LBB134_2993
; %bb.2988:
	v_cmp_lt_u32_e32 vcc_lo, 0x3bffffff, v5
	s_mov_b32 s3, 0
                                        ; implicit-def: $vgpr5
	s_and_saveexec_b32 s4, vcc_lo
	s_delay_alu instid0(SALU_CYCLE_1)
	s_xor_b32 s4, exec_lo, s4
	s_cbranch_execz .LBB134_3109
; %bb.2989:
	v_bfe_u32 v5, v2, 20, 1
	s_mov_b32 s3, exec_lo
	s_delay_alu instid0(VALU_DEP_1) | instskip(NEXT) | instid1(VALU_DEP_1)
	v_add3_u32 v5, v2, v5, 0x487ffff
	v_lshrrev_b32_e32 v5, 20, v5
	s_or_saveexec_b32 s4, s4
                                        ; implicit-def: $sgpr5
	s_delay_alu instid0(SALU_CYCLE_1)
	s_xor_b32 exec_lo, exec_lo, s4
	s_cbranch_execnz .LBB134_3110
.LBB134_2990:
	s_or_b32 exec_lo, exec_lo, s4
	v_mov_b32_e32 v6, s5
	s_and_saveexec_b32 s4, s3
.LBB134_2991:
	v_lshrrev_b32_e32 v2, 24, v2
	s_delay_alu instid0(VALU_DEP_1)
	v_and_or_b32 v6, 0x80, v2, v5
.LBB134_2992:
	s_or_b32 exec_lo, exec_lo, s4
.LBB134_2993:
	s_delay_alu instid0(SALU_CYCLE_1)
	s_or_b32 exec_lo, exec_lo, s2
	global_store_b8 v[0:1], v6, off
.LBB134_2994:
	s_mov_b32 s2, 0
.LBB134_2995:
	s_delay_alu instid0(SALU_CYCLE_1)
	s_and_b32 vcc_lo, exec_lo, s2
	s_cbranch_vccz .LBB134_3035
; %bb.2996:
	v_cmp_lt_i16_e32 vcc_lo, 22, v3
	s_mov_b32 s1, -1
	s_cbranch_vccz .LBB134_3028
; %bb.2997:
	v_cmp_gt_i16_e32 vcc_lo, 24, v3
	s_cbranch_vccnz .LBB134_3017
; %bb.2998:
	v_cmp_lt_i16_e32 vcc_lo, 24, v3
	s_cbranch_vccz .LBB134_3006
; %bb.2999:
	v_cvt_f32_f16_e32 v2, v4
	v_mov_b32_e32 v6, 0x80
	s_mov_b32 s1, exec_lo
	s_delay_alu instid0(VALU_DEP_2) | instskip(NEXT) | instid1(VALU_DEP_1)
	v_and_b32_e32 v5, 0x7fffffff, v2
	v_cmpx_gt_u32_e32 0x47800000, v5
	s_cbranch_execz .LBB134_3005
; %bb.3000:
	v_cmp_lt_u32_e32 vcc_lo, 0x37ffffff, v5
	s_mov_b32 s2, 0
                                        ; implicit-def: $vgpr5
	s_and_saveexec_b32 s3, vcc_lo
	s_delay_alu instid0(SALU_CYCLE_1)
	s_xor_b32 s3, exec_lo, s3
	s_cbranch_execz .LBB134_3115
; %bb.3001:
	v_bfe_u32 v5, v2, 21, 1
	s_mov_b32 s2, exec_lo
	s_delay_alu instid0(VALU_DEP_1) | instskip(NEXT) | instid1(VALU_DEP_1)
	v_add3_u32 v5, v2, v5, 0x88fffff
	v_lshrrev_b32_e32 v5, 21, v5
	s_or_saveexec_b32 s3, s3
                                        ; implicit-def: $sgpr4
	s_delay_alu instid0(SALU_CYCLE_1)
	s_xor_b32 exec_lo, exec_lo, s3
	s_cbranch_execnz .LBB134_3116
.LBB134_3002:
	s_or_b32 exec_lo, exec_lo, s3
	v_mov_b32_e32 v6, s4
	s_and_saveexec_b32 s3, s2
.LBB134_3003:
	v_lshrrev_b32_e32 v2, 24, v2
	s_delay_alu instid0(VALU_DEP_1)
	v_and_or_b32 v6, 0x80, v2, v5
.LBB134_3004:
	s_or_b32 exec_lo, exec_lo, s3
.LBB134_3005:
	s_delay_alu instid0(SALU_CYCLE_1)
	s_or_b32 exec_lo, exec_lo, s1
	s_mov_b32 s1, 0
	global_store_b8 v[0:1], v6, off
.LBB134_3006:
	s_and_b32 vcc_lo, exec_lo, s1
	s_cbranch_vccz .LBB134_3016
; %bb.3007:
	v_cvt_f32_f16_e32 v2, v4
	s_mov_b32 s1, exec_lo
                                        ; implicit-def: $vgpr5
	s_delay_alu instid0(VALU_DEP_1) | instskip(NEXT) | instid1(VALU_DEP_1)
	v_and_b32_e32 v6, 0x7fffffff, v2
	v_cmpx_gt_u32_e32 0x43f00000, v6
	s_xor_b32 s1, exec_lo, s1
	s_cbranch_execz .LBB134_3013
; %bb.3008:
	s_mov_b32 s2, exec_lo
                                        ; implicit-def: $vgpr5
	v_cmpx_lt_u32_e32 0x3c7fffff, v6
	s_xor_b32 s2, exec_lo, s2
; %bb.3009:
	v_bfe_u32 v5, v2, 20, 1
	s_delay_alu instid0(VALU_DEP_1) | instskip(NEXT) | instid1(VALU_DEP_1)
	v_add3_u32 v5, v2, v5, 0x407ffff
	v_and_b32_e32 v6, 0xff00000, v5
	v_lshrrev_b32_e32 v5, 20, v5
	s_delay_alu instid0(VALU_DEP_2) | instskip(NEXT) | instid1(VALU_DEP_2)
	v_cmp_ne_u32_e32 vcc_lo, 0x7f00000, v6
	v_cndmask_b32_e32 v5, 0x7e, v5, vcc_lo
; %bb.3010:
	s_and_not1_saveexec_b32 s2, s2
; %bb.3011:
	v_add_f32_e64 v5, 0x46800000, |v2|
; %bb.3012:
	s_or_b32 exec_lo, exec_lo, s2
                                        ; implicit-def: $vgpr6
.LBB134_3013:
	s_and_not1_saveexec_b32 s1, s1
; %bb.3014:
	v_mov_b32_e32 v5, 0x7f
	v_cmp_lt_u32_e32 vcc_lo, 0x7f800000, v6
	s_delay_alu instid0(VALU_DEP_2)
	v_cndmask_b32_e32 v5, 0x7e, v5, vcc_lo
; %bb.3015:
	s_or_b32 exec_lo, exec_lo, s1
	v_lshrrev_b32_e32 v2, 24, v2
	s_delay_alu instid0(VALU_DEP_1)
	v_and_or_b32 v2, 0x80, v2, v5
	global_store_b8 v[0:1], v2, off
.LBB134_3016:
	s_mov_b32 s1, 0
.LBB134_3017:
	s_delay_alu instid0(SALU_CYCLE_1)
	s_and_not1_b32 vcc_lo, exec_lo, s1
	s_cbranch_vccnz .LBB134_3027
; %bb.3018:
	v_cvt_f32_f16_e32 v2, v4
	s_mov_b32 s1, exec_lo
                                        ; implicit-def: $vgpr5
	s_delay_alu instid0(VALU_DEP_1) | instskip(NEXT) | instid1(VALU_DEP_1)
	v_and_b32_e32 v6, 0x7fffffff, v2
	v_cmpx_gt_u32_e32 0x47800000, v6
	s_xor_b32 s1, exec_lo, s1
	s_cbranch_execz .LBB134_3024
; %bb.3019:
	s_mov_b32 s2, exec_lo
                                        ; implicit-def: $vgpr5
	v_cmpx_lt_u32_e32 0x387fffff, v6
	s_xor_b32 s2, exec_lo, s2
; %bb.3020:
	v_bfe_u32 v5, v2, 21, 1
	s_delay_alu instid0(VALU_DEP_1) | instskip(NEXT) | instid1(VALU_DEP_1)
	v_add3_u32 v5, v2, v5, 0x80fffff
	v_lshrrev_b32_e32 v5, 21, v5
; %bb.3021:
	s_and_not1_saveexec_b32 s2, s2
; %bb.3022:
	v_add_f32_e64 v5, 0x43000000, |v2|
; %bb.3023:
	s_or_b32 exec_lo, exec_lo, s2
                                        ; implicit-def: $vgpr6
.LBB134_3024:
	s_and_not1_saveexec_b32 s1, s1
; %bb.3025:
	v_mov_b32_e32 v5, 0x7f
	v_cmp_lt_u32_e32 vcc_lo, 0x7f800000, v6
	s_delay_alu instid0(VALU_DEP_2)
	v_cndmask_b32_e32 v5, 0x7c, v5, vcc_lo
; %bb.3026:
	s_or_b32 exec_lo, exec_lo, s1
	v_lshrrev_b32_e32 v2, 24, v2
	s_delay_alu instid0(VALU_DEP_1)
	v_and_or_b32 v2, 0x80, v2, v5
	global_store_b8 v[0:1], v2, off
.LBB134_3027:
	s_mov_b32 s1, 0
.LBB134_3028:
	s_delay_alu instid0(SALU_CYCLE_1)
	s_and_not1_b32 vcc_lo, exec_lo, s1
	s_mov_b32 s1, 0
	s_cbranch_vccnz .LBB134_3035
; %bb.3029:
	v_cmp_lt_i16_e32 vcc_lo, 14, v3
	s_mov_b32 s1, -1
	s_cbranch_vccz .LBB134_3033
; %bb.3030:
	v_cmp_eq_u16_e32 vcc_lo, 15, v3
	s_mov_b32 s0, -1
	s_cbranch_vccz .LBB134_3032
; %bb.3031:
	v_cvt_f32_f16_e32 v2, v4
	v_cmp_o_f16_e32 vcc_lo, v4, v4
	s_mov_b32 s0, 0
	s_delay_alu instid0(VALU_DEP_2) | instskip(NEXT) | instid1(VALU_DEP_1)
	v_bfe_u32 v5, v2, 16, 1
	v_add3_u32 v2, v2, v5, 0x7fff
	s_delay_alu instid0(VALU_DEP_1) | instskip(NEXT) | instid1(VALU_DEP_1)
	v_lshrrev_b32_e32 v2, 16, v2
	v_cndmask_b32_e32 v2, 0x7fc0, v2, vcc_lo
	global_store_b16 v[0:1], v2, off
.LBB134_3032:
	s_mov_b32 s1, 0
.LBB134_3033:
	s_delay_alu instid0(SALU_CYCLE_1)
	s_and_b32 vcc_lo, exec_lo, s1
	s_mov_b32 s1, 0
	s_cbranch_vccz .LBB134_3035
; %bb.3034:
	v_cmp_ne_u16_e64 s0, 11, v3
	s_mov_b32 s1, -1
.LBB134_3035:
	s_delay_alu instid0(VALU_DEP_1)
	s_and_b32 vcc_lo, exec_lo, s0
	s_cbranch_vccnz .LBB134_3113
.LBB134_3036:
	s_mov_b32 s0, 0
	s_branch .LBB134_3038
.LBB134_3037:
	s_mov_b32 s0, 0
	s_mov_b32 s1, 0
                                        ; implicit-def: $vgpr3
                                        ; implicit-def: $vgpr0_vgpr1
                                        ; implicit-def: $vgpr4
.LBB134_3038:
	s_and_not1_b32 s2, s16, exec_lo
	s_and_b32 s3, s13, exec_lo
	s_and_b32 s0, s0, exec_lo
	;; [unrolled: 1-line block ×3, first 2 shown]
	s_or_b32 s16, s2, s3
.LBB134_3039:
	s_or_b32 exec_lo, exec_lo, s15
	s_and_saveexec_b32 s1, s16
	s_cbranch_execz .LBB134_3042
; %bb.3040:
	; divergent unreachable
	s_or_b32 exec_lo, exec_lo, s1
	s_and_saveexec_b32 s1, s13
	s_delay_alu instid0(SALU_CYCLE_1)
	s_xor_b32 s1, exec_lo, s1
	s_cbranch_execnz .LBB134_3043
.LBB134_3041:
	s_or_b32 exec_lo, exec_lo, s1
	s_and_saveexec_b32 s1, s0
	s_cbranch_execnz .LBB134_3044
	s_branch .LBB134_3081
.LBB134_3042:
	s_or_b32 exec_lo, exec_lo, s1
	s_and_saveexec_b32 s1, s13
	s_delay_alu instid0(SALU_CYCLE_1)
	s_xor_b32 s1, exec_lo, s1
	s_cbranch_execz .LBB134_3041
.LBB134_3043:
	v_cmp_neq_f16_e32 vcc_lo, 0, v4
	v_cndmask_b32_e64 v2, 0, 1, vcc_lo
	global_store_b8 v[0:1], v2, off
	s_or_b32 exec_lo, exec_lo, s1
	s_and_saveexec_b32 s1, s0
	s_cbranch_execz .LBB134_3081
.LBB134_3044:
	s_waitcnt vmcnt(0)
	v_cmp_gt_i16_e32 vcc_lo, 5, v3
	s_mov_b32 s0, -1
	s_cbranch_vccnz .LBB134_3065
; %bb.3045:
	v_cmp_gt_i16_e32 vcc_lo, 8, v3
	s_cbranch_vccnz .LBB134_3055
; %bb.3046:
	v_cmp_gt_i16_e32 vcc_lo, 9, v3
	s_cbranch_vccnz .LBB134_3052
; %bb.3047:
	v_cmp_lt_i16_e32 vcc_lo, 9, v3
	s_cbranch_vccz .LBB134_3049
; %bb.3048:
	v_cvt_f32_f16_e32 v2, v4
	v_mov_b32_e32 v7, 0
	s_mov_b32 s0, 0
	s_delay_alu instid0(VALU_DEP_2) | instskip(NEXT) | instid1(VALU_DEP_2)
	v_cvt_f64_f32_e32 v[5:6], v2
	v_mov_b32_e32 v8, v7
	global_store_b128 v[0:1], v[5:8], off
.LBB134_3049:
	s_and_not1_b32 vcc_lo, exec_lo, s0
	s_cbranch_vccnz .LBB134_3051
; %bb.3050:
	v_cvt_f32_f16_e32 v5, v4
	v_mov_b32_e32 v6, 0
	global_store_b64 v[0:1], v[5:6], off
.LBB134_3051:
	s_mov_b32 s0, 0
.LBB134_3052:
	s_delay_alu instid0(SALU_CYCLE_1)
	s_and_not1_b32 vcc_lo, exec_lo, s0
	s_cbranch_vccnz .LBB134_3054
; %bb.3053:
	v_and_b32_e32 v2, 0xffff, v4
	global_store_b32 v[0:1], v2, off
.LBB134_3054:
	s_mov_b32 s0, 0
.LBB134_3055:
	s_delay_alu instid0(SALU_CYCLE_1)
	s_and_not1_b32 vcc_lo, exec_lo, s0
	s_cbranch_vccnz .LBB134_3064
; %bb.3056:
	v_cmp_gt_i16_e32 vcc_lo, 6, v3
	s_mov_b32 s0, -1
	s_cbranch_vccnz .LBB134_3062
; %bb.3057:
	v_cmp_lt_i16_e32 vcc_lo, 6, v3
	s_cbranch_vccz .LBB134_3059
; %bb.3058:
	v_cvt_f32_f16_e32 v2, v4
	s_mov_b32 s0, 0
	s_delay_alu instid0(VALU_DEP_1)
	v_cvt_f64_f32_e32 v[5:6], v2
	global_store_b64 v[0:1], v[5:6], off
.LBB134_3059:
	s_and_not1_b32 vcc_lo, exec_lo, s0
	s_cbranch_vccnz .LBB134_3061
; %bb.3060:
	v_cvt_f32_f16_e32 v2, v4
	global_store_b32 v[0:1], v2, off
.LBB134_3061:
	s_mov_b32 s0, 0
.LBB134_3062:
	s_delay_alu instid0(SALU_CYCLE_1)
	s_and_not1_b32 vcc_lo, exec_lo, s0
	s_cbranch_vccnz .LBB134_3064
; %bb.3063:
	global_store_b16 v[0:1], v4, off
.LBB134_3064:
	s_mov_b32 s0, 0
.LBB134_3065:
	s_delay_alu instid0(SALU_CYCLE_1)
	s_and_not1_b32 vcc_lo, exec_lo, s0
	s_cbranch_vccnz .LBB134_3081
; %bb.3066:
	v_cmp_gt_i16_e32 vcc_lo, 2, v3
	s_mov_b32 s0, -1
	s_cbranch_vccnz .LBB134_3076
; %bb.3067:
	v_cmp_gt_i16_e32 vcc_lo, 3, v3
	s_cbranch_vccnz .LBB134_3073
; %bb.3068:
	v_cmp_lt_i16_e32 vcc_lo, 3, v3
	s_cbranch_vccz .LBB134_3070
; %bb.3069:
	v_cvt_f32_f16_e32 v2, v4
	s_mov_b32 s0, 0
	s_delay_alu instid0(VALU_DEP_1) | instskip(NEXT) | instid1(VALU_DEP_1)
	v_cvt_i32_f32_e32 v5, v2
	v_ashrrev_i32_e32 v6, 31, v5
	global_store_b64 v[0:1], v[5:6], off
.LBB134_3070:
	s_and_not1_b32 vcc_lo, exec_lo, s0
	s_cbranch_vccnz .LBB134_3072
; %bb.3071:
	v_cvt_f32_f16_e32 v2, v4
	s_delay_alu instid0(VALU_DEP_1)
	v_cvt_i32_f32_e32 v2, v2
	global_store_b32 v[0:1], v2, off
.LBB134_3072:
	s_mov_b32 s0, 0
.LBB134_3073:
	s_delay_alu instid0(SALU_CYCLE_1)
	s_and_not1_b32 vcc_lo, exec_lo, s0
	s_cbranch_vccnz .LBB134_3075
; %bb.3074:
	v_cvt_i16_f16_e32 v2, v4
	global_store_b16 v[0:1], v2, off
.LBB134_3075:
	s_mov_b32 s0, 0
.LBB134_3076:
	s_delay_alu instid0(SALU_CYCLE_1)
	s_and_not1_b32 vcc_lo, exec_lo, s0
	s_cbranch_vccnz .LBB134_3081
; %bb.3077:
	v_cmp_lt_i16_e32 vcc_lo, 0, v3
	s_mov_b32 s0, -1
	s_cbranch_vccz .LBB134_3079
; %bb.3078:
	v_cvt_i16_f16_e32 v2, v4
	s_mov_b32 s0, 0
	global_store_b8 v[0:1], v2, off
.LBB134_3079:
	s_and_not1_b32 vcc_lo, exec_lo, s0
	s_cbranch_vccnz .LBB134_3081
; %bb.3080:
	v_cvt_f32_f16_e32 v2, v4
	s_delay_alu instid0(VALU_DEP_1)
	v_cvt_i32_f32_e32 v2, v2
	global_store_b8 v[0:1], v2, off
	s_nop 0
	s_sendmsg sendmsg(MSG_DEALLOC_VGPRS)
	s_endpgm
.LBB134_3081:
	s_nop 0
	s_sendmsg sendmsg(MSG_DEALLOC_VGPRS)
	s_endpgm
.LBB134_3082:
	s_mov_b32 s1, 0
	s_mov_b32 s0, -1
	s_branch .LBB134_3038
.LBB134_3083:
	s_cbranch_execnz .LBB134_3087
; %bb.3084:
	s_mov_b32 s6, 0
	s_and_not1_b32 s2, s2, exec_lo
	s_or_b32 s13, s13, exec_lo
	s_cbranch_execz .LBB134_2552
	s_branch .LBB134_2553
.LBB134_3085:
	s_or_saveexec_b32 s7, s7
                                        ; implicit-def: $sgpr12
	s_delay_alu instid0(SALU_CYCLE_1)
	s_xor_b32 exec_lo, exec_lo, s7
	s_cbranch_execz .LBB134_2632
.LBB134_3086:
	v_add_f32_e64 v9, 0x46000000, |v5|
	s_and_not1_b32 s6, s6, exec_lo
	s_mov_b32 s12, 0
	s_delay_alu instid0(VALU_DEP_1) | instskip(NEXT) | instid1(VALU_DEP_1)
	v_and_b32_e32 v9, 0xff, v9
	v_cmp_ne_u32_e32 vcc_lo, 0, v9
	s_and_b32 s14, vcc_lo, exec_lo
	s_delay_alu instid0(SALU_CYCLE_1)
	s_or_b32 s6, s6, s14
	s_or_b32 exec_lo, exec_lo, s7
	v_mov_b32_e32 v10, s12
	s_and_saveexec_b32 s7, s6
	s_cbranch_execnz .LBB134_2633
	s_branch .LBB134_2634
.LBB134_3087:
	s_trap 2
	s_sendmsg_rtn_b32 s0, sendmsg(MSG_RTN_GET_DOORBELL)
	s_mov_b32 ttmp2, m0
	s_waitcnt lgkmcnt(0)
	s_and_b32 s0, s0, 0x3ff
	s_delay_alu instid0(SALU_CYCLE_1) | instskip(NEXT) | instid1(SALU_CYCLE_1)
	s_bitset1_b32 s0, 10
	s_mov_b32 m0, s0
	s_sendmsg sendmsg(MSG_INTERRUPT)
	s_mov_b32 m0, ttmp2
.LBB134_3088:                           ; =>This Inner Loop Header: Depth=1
	s_sethalt 5
	s_branch .LBB134_3088
.LBB134_3089:
	s_cbranch_execnz .LBB134_3095
; %bb.3090:
	s_or_b32 s13, s13, exec_lo
	s_cbranch_execz .LBB134_2680
	s_branch .LBB134_2681
.LBB134_3091:
	s_or_saveexec_b32 s6, s6
                                        ; implicit-def: $sgpr7
	s_delay_alu instid0(SALU_CYCLE_1)
	s_xor_b32 exec_lo, exec_lo, s6
	s_cbranch_execz .LBB134_2645
.LBB134_3092:
	v_add_f32_e64 v9, 0x42800000, |v5|
	s_and_not1_b32 s3, s3, exec_lo
	s_mov_b32 s7, 0
	s_delay_alu instid0(VALU_DEP_1) | instskip(NEXT) | instid1(VALU_DEP_1)
	v_and_b32_e32 v9, 0xff, v9
	v_cmp_ne_u32_e32 vcc_lo, 0, v9
	s_and_b32 s12, vcc_lo, exec_lo
	s_delay_alu instid0(SALU_CYCLE_1)
	s_or_b32 s3, s3, s12
	s_or_b32 exec_lo, exec_lo, s6
	v_mov_b32_e32 v10, s7
	s_and_saveexec_b32 s6, s3
	s_cbranch_execnz .LBB134_2646
	s_branch .LBB134_2647
.LBB134_3093:
	s_or_saveexec_b32 s8, s8
                                        ; implicit-def: $sgpr9
	s_delay_alu instid0(SALU_CYCLE_1)
	s_xor_b32 exec_lo, exec_lo, s8
	s_cbranch_execz .LBB134_2751
.LBB134_3094:
	v_add_f32_e64 v6, 0x46000000, |v5|
	s_and_not1_b32 s7, s7, exec_lo
	s_mov_b32 s9, 0
	s_delay_alu instid0(VALU_DEP_1) | instskip(NEXT) | instid1(VALU_DEP_1)
	v_and_b32_e32 v6, 0xff, v6
	v_cmp_ne_u32_e32 vcc_lo, 0, v6
	s_and_b32 s12, vcc_lo, exec_lo
	s_delay_alu instid0(SALU_CYCLE_1)
	s_or_b32 s7, s7, s12
	s_or_b32 exec_lo, exec_lo, s8
	v_mov_b32_e32 v9, s9
	s_and_saveexec_b32 s8, s7
	s_cbranch_execnz .LBB134_2752
	s_branch .LBB134_2753
.LBB134_3095:
	s_trap 2
	s_sendmsg_rtn_b32 s0, sendmsg(MSG_RTN_GET_DOORBELL)
	s_mov_b32 ttmp2, m0
	s_waitcnt lgkmcnt(0)
	s_and_b32 s0, s0, 0x3ff
	s_delay_alu instid0(SALU_CYCLE_1) | instskip(NEXT) | instid1(SALU_CYCLE_1)
	s_bitset1_b32 s0, 10
	s_mov_b32 m0, s0
	s_sendmsg sendmsg(MSG_INTERRUPT)
	s_mov_b32 m0, ttmp2
.LBB134_3096:                           ; =>This Inner Loop Header: Depth=1
	s_sethalt 5
	s_branch .LBB134_3096
.LBB134_3097:
	s_cbranch_execnz .LBB134_3103
; %bb.3098:
	s_or_b32 s13, s13, exec_lo
	s_cbranch_execz .LBB134_2799
	s_branch .LBB134_2800
.LBB134_3099:
	s_or_saveexec_b32 s7, s7
                                        ; implicit-def: $sgpr8
	s_delay_alu instid0(SALU_CYCLE_1)
	s_xor_b32 exec_lo, exec_lo, s7
	s_cbranch_execz .LBB134_2764
.LBB134_3100:
	v_add_f32_e64 v6, 0x42800000, |v5|
	s_and_not1_b32 s6, s6, exec_lo
	s_mov_b32 s8, 0
	s_delay_alu instid0(VALU_DEP_1) | instskip(NEXT) | instid1(VALU_DEP_1)
	v_and_b32_e32 v6, 0xff, v6
	v_cmp_ne_u32_e32 vcc_lo, 0, v6
	s_and_b32 s9, vcc_lo, exec_lo
	s_delay_alu instid0(SALU_CYCLE_1)
	s_or_b32 s6, s6, s9
	s_or_b32 exec_lo, exec_lo, s7
	v_mov_b32_e32 v9, s8
	s_and_saveexec_b32 s7, s6
	s_cbranch_execnz .LBB134_2765
	s_branch .LBB134_2766
.LBB134_3101:
	s_or_saveexec_b32 s8, s8
                                        ; implicit-def: $sgpr9
	s_delay_alu instid0(SALU_CYCLE_1)
	s_xor_b32 exec_lo, exec_lo, s8
	s_cbranch_execz .LBB134_2870
.LBB134_3102:
	v_add_f32_e64 v6, 0x46000000, |v5|
	s_and_not1_b32 s7, s7, exec_lo
	s_mov_b32 s9, 0
	s_delay_alu instid0(VALU_DEP_1) | instskip(NEXT) | instid1(VALU_DEP_1)
	v_and_b32_e32 v6, 0xff, v6
	v_cmp_ne_u32_e32 vcc_lo, 0, v6
	s_and_b32 s10, vcc_lo, exec_lo
	s_delay_alu instid0(SALU_CYCLE_1)
	s_or_b32 s7, s7, s10
	s_or_b32 exec_lo, exec_lo, s8
	v_mov_b32_e32 v7, s9
	s_and_saveexec_b32 s8, s7
	s_cbranch_execnz .LBB134_2871
	s_branch .LBB134_2872
.LBB134_3103:
	s_trap 2
	s_sendmsg_rtn_b32 s0, sendmsg(MSG_RTN_GET_DOORBELL)
	s_mov_b32 ttmp2, m0
	s_waitcnt lgkmcnt(0)
	s_and_b32 s0, s0, 0x3ff
	s_delay_alu instid0(SALU_CYCLE_1) | instskip(NEXT) | instid1(SALU_CYCLE_1)
	s_bitset1_b32 s0, 10
	s_mov_b32 m0, s0
	s_sendmsg sendmsg(MSG_INTERRUPT)
	s_mov_b32 m0, ttmp2
.LBB134_3104:                           ; =>This Inner Loop Header: Depth=1
	s_sethalt 5
	s_branch .LBB134_3104
.LBB134_3105:
	s_cbranch_execnz .LBB134_3111
; %bb.3106:
	s_or_b32 s13, s13, exec_lo
	s_cbranch_execz .LBB134_2918
	s_branch .LBB134_2919
.LBB134_3107:
	s_or_saveexec_b32 s7, s7
                                        ; implicit-def: $sgpr8
	s_delay_alu instid0(SALU_CYCLE_1)
	s_xor_b32 exec_lo, exec_lo, s7
	s_cbranch_execz .LBB134_2883
.LBB134_3108:
	v_add_f32_e64 v6, 0x42800000, |v5|
	s_and_not1_b32 s6, s6, exec_lo
	s_mov_b32 s8, 0
	s_delay_alu instid0(VALU_DEP_1) | instskip(NEXT) | instid1(VALU_DEP_1)
	v_and_b32_e32 v6, 0xff, v6
	v_cmp_ne_u32_e32 vcc_lo, 0, v6
	s_and_b32 s9, vcc_lo, exec_lo
	s_delay_alu instid0(SALU_CYCLE_1)
	s_or_b32 s6, s6, s9
	s_or_b32 exec_lo, exec_lo, s7
	v_mov_b32_e32 v7, s8
	s_and_saveexec_b32 s7, s6
	s_cbranch_execnz .LBB134_2884
	s_branch .LBB134_2885
.LBB134_3109:
	s_or_saveexec_b32 s4, s4
                                        ; implicit-def: $sgpr5
	s_delay_alu instid0(SALU_CYCLE_1)
	s_xor_b32 exec_lo, exec_lo, s4
	s_cbranch_execz .LBB134_2990
.LBB134_3110:
	v_add_f32_e64 v5, 0x46000000, |v2|
	s_and_not1_b32 s3, s3, exec_lo
	s_mov_b32 s5, 0
	s_delay_alu instid0(VALU_DEP_1) | instskip(NEXT) | instid1(VALU_DEP_1)
	v_and_b32_e32 v5, 0xff, v5
	v_cmp_ne_u32_e32 vcc_lo, 0, v5
	s_and_b32 s6, vcc_lo, exec_lo
	s_delay_alu instid0(SALU_CYCLE_1)
	s_or_b32 s3, s3, s6
	s_or_b32 exec_lo, exec_lo, s4
	v_mov_b32_e32 v6, s5
	s_and_saveexec_b32 s4, s3
	s_cbranch_execnz .LBB134_2991
	s_branch .LBB134_2992
.LBB134_3111:
	s_trap 2
	s_sendmsg_rtn_b32 s0, sendmsg(MSG_RTN_GET_DOORBELL)
	s_mov_b32 ttmp2, m0
	s_waitcnt lgkmcnt(0)
	s_and_b32 s0, s0, 0x3ff
	s_delay_alu instid0(SALU_CYCLE_1) | instskip(NEXT) | instid1(SALU_CYCLE_1)
	s_bitset1_b32 s0, 10
	s_mov_b32 m0, s0
	s_sendmsg sendmsg(MSG_INTERRUPT)
	s_mov_b32 m0, ttmp2
.LBB134_3112:                           ; =>This Inner Loop Header: Depth=1
	s_sethalt 5
	s_branch .LBB134_3112
.LBB134_3113:
	s_cbranch_execnz .LBB134_3117
; %bb.3114:
	s_mov_b32 s1, 0
	s_or_b32 s13, s13, exec_lo
	s_branch .LBB134_3036
.LBB134_3115:
	s_or_saveexec_b32 s3, s3
                                        ; implicit-def: $sgpr4
	s_delay_alu instid0(SALU_CYCLE_1)
	s_xor_b32 exec_lo, exec_lo, s3
	s_cbranch_execz .LBB134_3002
.LBB134_3116:
	v_add_f32_e64 v5, 0x42800000, |v2|
	s_and_not1_b32 s2, s2, exec_lo
	s_mov_b32 s4, 0
	s_delay_alu instid0(VALU_DEP_1) | instskip(NEXT) | instid1(VALU_DEP_1)
	v_and_b32_e32 v5, 0xff, v5
	v_cmp_ne_u32_e32 vcc_lo, 0, v5
	s_and_b32 s5, vcc_lo, exec_lo
	s_delay_alu instid0(SALU_CYCLE_1)
	s_or_b32 s2, s2, s5
	s_or_b32 exec_lo, exec_lo, s3
	v_mov_b32_e32 v6, s4
	s_and_saveexec_b32 s3, s2
	s_cbranch_execnz .LBB134_3003
	s_branch .LBB134_3004
.LBB134_3117:
	s_trap 2
	s_sendmsg_rtn_b32 s0, sendmsg(MSG_RTN_GET_DOORBELL)
	s_mov_b32 ttmp2, m0
	s_waitcnt lgkmcnt(0)
	s_and_b32 s0, s0, 0x3ff
	s_delay_alu instid0(SALU_CYCLE_1) | instskip(NEXT) | instid1(SALU_CYCLE_1)
	s_bitset1_b32 s0, 10
	s_mov_b32 m0, s0
	s_sendmsg sendmsg(MSG_INTERRUPT)
	s_mov_b32 m0, ttmp2
.LBB134_3118:                           ; =>This Inner Loop Header: Depth=1
	s_sethalt 5
	s_branch .LBB134_3118
	.section	.rodata,"a",@progbits
	.p2align	6, 0x0
	.amdhsa_kernel _ZN2at6native32elementwise_kernel_manual_unrollILi128ELi4EZNS0_15gpu_kernel_implIZNS0_12_GLOBAL__N_119masked_scale_kernelIbN3c104HalfEfEEvRNS_6TensorERKS7_SA_T1_EUlS6_bE_EEvRNS_18TensorIteratorBaseERKT_EUlibE_EEviSB_
		.amdhsa_group_segment_fixed_size 0
		.amdhsa_private_segment_fixed_size 0
		.amdhsa_kernarg_size 56
		.amdhsa_user_sgpr_count 15
		.amdhsa_user_sgpr_dispatch_ptr 0
		.amdhsa_user_sgpr_queue_ptr 0
		.amdhsa_user_sgpr_kernarg_segment_ptr 1
		.amdhsa_user_sgpr_dispatch_id 0
		.amdhsa_user_sgpr_private_segment_size 0
		.amdhsa_wavefront_size32 1
		.amdhsa_uses_dynamic_stack 0
		.amdhsa_enable_private_segment 0
		.amdhsa_system_sgpr_workgroup_id_x 1
		.amdhsa_system_sgpr_workgroup_id_y 0
		.amdhsa_system_sgpr_workgroup_id_z 0
		.amdhsa_system_sgpr_workgroup_info 0
		.amdhsa_system_vgpr_workitem_id 0
		.amdhsa_next_free_vgpr 14
		.amdhsa_next_free_sgpr 35
		.amdhsa_reserve_vcc 1
		.amdhsa_float_round_mode_32 0
		.amdhsa_float_round_mode_16_64 0
		.amdhsa_float_denorm_mode_32 3
		.amdhsa_float_denorm_mode_16_64 3
		.amdhsa_dx10_clamp 1
		.amdhsa_ieee_mode 1
		.amdhsa_fp16_overflow 0
		.amdhsa_workgroup_processor_mode 1
		.amdhsa_memory_ordered 1
		.amdhsa_forward_progress 0
		.amdhsa_shared_vgpr_count 0
		.amdhsa_exception_fp_ieee_invalid_op 0
		.amdhsa_exception_fp_denorm_src 0
		.amdhsa_exception_fp_ieee_div_zero 0
		.amdhsa_exception_fp_ieee_overflow 0
		.amdhsa_exception_fp_ieee_underflow 0
		.amdhsa_exception_fp_ieee_inexact 0
		.amdhsa_exception_int_div_zero 0
	.end_amdhsa_kernel
	.section	.text._ZN2at6native32elementwise_kernel_manual_unrollILi128ELi4EZNS0_15gpu_kernel_implIZNS0_12_GLOBAL__N_119masked_scale_kernelIbN3c104HalfEfEEvRNS_6TensorERKS7_SA_T1_EUlS6_bE_EEvRNS_18TensorIteratorBaseERKT_EUlibE_EEviSB_,"axG",@progbits,_ZN2at6native32elementwise_kernel_manual_unrollILi128ELi4EZNS0_15gpu_kernel_implIZNS0_12_GLOBAL__N_119masked_scale_kernelIbN3c104HalfEfEEvRNS_6TensorERKS7_SA_T1_EUlS6_bE_EEvRNS_18TensorIteratorBaseERKT_EUlibE_EEviSB_,comdat
.Lfunc_end134:
	.size	_ZN2at6native32elementwise_kernel_manual_unrollILi128ELi4EZNS0_15gpu_kernel_implIZNS0_12_GLOBAL__N_119masked_scale_kernelIbN3c104HalfEfEEvRNS_6TensorERKS7_SA_T1_EUlS6_bE_EEvRNS_18TensorIteratorBaseERKT_EUlibE_EEviSB_, .Lfunc_end134-_ZN2at6native32elementwise_kernel_manual_unrollILi128ELi4EZNS0_15gpu_kernel_implIZNS0_12_GLOBAL__N_119masked_scale_kernelIbN3c104HalfEfEEvRNS_6TensorERKS7_SA_T1_EUlS6_bE_EEvRNS_18TensorIteratorBaseERKT_EUlibE_EEviSB_
                                        ; -- End function
	.section	.AMDGPU.csdata,"",@progbits
; Kernel info:
; codeLenInByte = 53912
; NumSgprs: 37
; NumVgprs: 14
; ScratchSize: 0
; MemoryBound: 1
; FloatMode: 240
; IeeeMode: 1
; LDSByteSize: 0 bytes/workgroup (compile time only)
; SGPRBlocks: 4
; VGPRBlocks: 1
; NumSGPRsForWavesPerEU: 37
; NumVGPRsForWavesPerEU: 14
; Occupancy: 16
; WaveLimiterHint : 0
; COMPUTE_PGM_RSRC2:SCRATCH_EN: 0
; COMPUTE_PGM_RSRC2:USER_SGPR: 15
; COMPUTE_PGM_RSRC2:TRAP_HANDLER: 0
; COMPUTE_PGM_RSRC2:TGID_X_EN: 1
; COMPUTE_PGM_RSRC2:TGID_Y_EN: 0
; COMPUTE_PGM_RSRC2:TGID_Z_EN: 0
; COMPUTE_PGM_RSRC2:TIDIG_COMP_CNT: 0
	.section	.text._ZN2at6native32elementwise_kernel_manual_unrollILi128ELi4EZNS0_15gpu_kernel_implIZNS0_12_GLOBAL__N_119masked_scale_kernelIbN3c104HalfEfEEvRNS_6TensorERKS7_SA_T1_EUlS6_bE_EEvRNS_18TensorIteratorBaseERKT_EUlibE0_EEviSB_,"axG",@progbits,_ZN2at6native32elementwise_kernel_manual_unrollILi128ELi4EZNS0_15gpu_kernel_implIZNS0_12_GLOBAL__N_119masked_scale_kernelIbN3c104HalfEfEEvRNS_6TensorERKS7_SA_T1_EUlS6_bE_EEvRNS_18TensorIteratorBaseERKT_EUlibE0_EEviSB_,comdat
	.globl	_ZN2at6native32elementwise_kernel_manual_unrollILi128ELi4EZNS0_15gpu_kernel_implIZNS0_12_GLOBAL__N_119masked_scale_kernelIbN3c104HalfEfEEvRNS_6TensorERKS7_SA_T1_EUlS6_bE_EEvRNS_18TensorIteratorBaseERKT_EUlibE0_EEviSB_ ; -- Begin function _ZN2at6native32elementwise_kernel_manual_unrollILi128ELi4EZNS0_15gpu_kernel_implIZNS0_12_GLOBAL__N_119masked_scale_kernelIbN3c104HalfEfEEvRNS_6TensorERKS7_SA_T1_EUlS6_bE_EEvRNS_18TensorIteratorBaseERKT_EUlibE0_EEviSB_
	.p2align	8
	.type	_ZN2at6native32elementwise_kernel_manual_unrollILi128ELi4EZNS0_15gpu_kernel_implIZNS0_12_GLOBAL__N_119masked_scale_kernelIbN3c104HalfEfEEvRNS_6TensorERKS7_SA_T1_EUlS6_bE_EEvRNS_18TensorIteratorBaseERKT_EUlibE0_EEviSB_,@function
_ZN2at6native32elementwise_kernel_manual_unrollILi128ELi4EZNS0_15gpu_kernel_implIZNS0_12_GLOBAL__N_119masked_scale_kernelIbN3c104HalfEfEEvRNS_6TensorERKS7_SA_T1_EUlS6_bE_EEvRNS_18TensorIteratorBaseERKT_EUlibE0_EEviSB_: ; @_ZN2at6native32elementwise_kernel_manual_unrollILi128ELi4EZNS0_15gpu_kernel_implIZNS0_12_GLOBAL__N_119masked_scale_kernelIbN3c104HalfEfEEvRNS_6TensorERKS7_SA_T1_EUlS6_bE_EEvRNS_18TensorIteratorBaseERKT_EUlibE0_EEviSB_
; %bb.0:
	s_clause 0x1
	s_load_b32 s26, s[0:1], 0x8
	s_load_b32 s36, s[0:1], 0x0
	v_lshl_or_b32 v4, s15, 9, v0
	s_or_b32 s20, s0, 8
	s_mov_b32 s3, -1
	s_mov_b32 s28, 0
	s_mov_b32 s21, s1
	v_or_b32_e32 v12, 0x180, v4
	s_mov_b32 s8, 0
	s_mov_b32 s2, exec_lo
	s_waitcnt lgkmcnt(0)
	s_add_i32 s27, s26, -1
	s_delay_alu instid0(SALU_CYCLE_1)
	s_cmp_gt_u32 s27, 1
	s_cselect_b32 s29, -1, 0
	v_cmpx_le_i32_e64 s36, v12
	s_xor_b32 s30, exec_lo, s2
	s_cbranch_execz .LBB135_1509
; %bb.1:
	s_clause 0x4
	s_load_b256 s[4:11], s[20:21], 0x188
	s_load_b128 s[16:19], s[20:21], 0x4
	s_load_b64 s[24:25], s[20:21], 0x14
	s_load_b128 s[12:15], s[20:21], 0xc4
	s_load_b64 s[22:23], s[20:21], 0xd4
	s_cmp_lg_u32 s26, 0
	s_mov_b32 s42, 0
	s_cselect_b32 s37, -1, 0
	s_min_u32 s35, s27, 15
	s_cmp_gt_u32 s26, 1
	s_mov_b32 s40, 0
	s_mov_b32 s39, 0
	s_cselect_b32 s34, -1, 0
	s_mov_b32 s38, 0
	s_mov_b32 s41, exec_lo
	s_waitcnt lgkmcnt(0)
	s_lshr_b32 s33, s11, 8
	s_lshr_b32 s31, s11, 16
	v_cmpx_gt_i32_e64 s36, v4
	s_cbranch_execz .LBB135_385
; %bb.2:
	s_and_not1_b32 vcc_lo, exec_lo, s29
	s_cbranch_vccnz .LBB135_8
; %bb.3:
	v_dual_mov_b32 v0, 0 :: v_dual_mov_b32 v1, 0
	v_mov_b32_e32 v2, 0
	s_and_not1_b32 vcc_lo, exec_lo, s37
	s_cbranch_vccnz .LBB135_9
; %bb.4:
	s_add_i32 s2, s35, 1
	v_dual_mov_b32 v1, 0 :: v_dual_mov_b32 v2, 0
	v_dual_mov_b32 v0, 0 :: v_dual_mov_b32 v3, v4
	s_and_b32 s39, s2, 30
	s_add_u32 s2, s20, 0xffffffec
	s_addc_u32 s3, s21, -1
	s_set_inst_prefetch_distance 0x1
	.p2align	6
.LBB135_5:                              ; =>This Inner Loop Header: Depth=1
	s_clause 0x2
	s_load_b128 s[44:47], s[2:3], 0x18
	s_load_b64 s[52:53], s[2:3], 0x28
	s_load_b128 s[48:51], s[2:3], 0xd8
	s_waitcnt lgkmcnt(0)
	v_mul_hi_u32 v5, s45, v3
	s_delay_alu instid0(VALU_DEP_1) | instskip(NEXT) | instid1(VALU_DEP_1)
	v_add_nc_u32_e32 v5, v3, v5
	v_lshrrev_b32_e32 v5, s46, v5
	s_delay_alu instid0(VALU_DEP_1)
	v_mul_hi_u32 v6, s52, v5
	v_mul_lo_u32 v7, v5, s44
	s_load_b64 s[44:45], s[2:3], 0xe8
	s_add_u32 s2, s2, 24
	s_addc_u32 s3, s3, 0
	s_add_i32 s39, s39, -2
	s_delay_alu instid0(SALU_CYCLE_1) | instskip(NEXT) | instid1(VALU_DEP_2)
	s_cmp_lg_u32 s39, 0
	v_add_nc_u32_e32 v6, v5, v6
	s_delay_alu instid0(VALU_DEP_2) | instskip(NEXT) | instid1(VALU_DEP_2)
	v_sub_nc_u32_e32 v7, v3, v7
	v_lshrrev_b32_e32 v3, s53, v6
	s_delay_alu instid0(VALU_DEP_2) | instskip(NEXT) | instid1(VALU_DEP_2)
	v_mul_lo_u32 v8, v7, s48
	v_mul_lo_u32 v6, v3, s47
	s_delay_alu instid0(VALU_DEP_1) | instskip(SKIP_2) | instid1(VALU_DEP_3)
	v_sub_nc_u32_e32 v5, v5, v6
	v_mul_lo_u32 v6, v7, s49
	v_mul_lo_u32 v7, v7, s50
	;; [unrolled: 1-line block ×3, first 2 shown]
	s_waitcnt lgkmcnt(0)
	v_mul_lo_u32 v10, v5, s44
	v_mul_lo_u32 v5, v5, s45
	s_delay_alu instid0(VALU_DEP_3) | instskip(NEXT) | instid1(VALU_DEP_3)
	v_add3_u32 v0, v8, v0, v9
	v_add3_u32 v2, v6, v2, v10
	s_delay_alu instid0(VALU_DEP_3)
	v_add3_u32 v1, v7, v1, v5
	s_cbranch_scc1 .LBB135_5
; %bb.6:
	s_set_inst_prefetch_distance 0x2
	s_bitcmp1_b32 s35, 0
	s_cselect_b32 s39, -1, 0
	s_delay_alu instid0(SALU_CYCLE_1)
	s_and_b32 vcc_lo, exec_lo, s39
	s_cbranch_vccnz .LBB135_9
; %bb.7:
	s_clause 0x3
	s_load_b64 s[44:45], s[2:3], 0x18
	s_load_b32 s39, s[2:3], 0x20
	s_load_b64 s[46:47], s[2:3], 0xd8
	s_load_b32 s2, s[2:3], 0xe0
	s_waitcnt lgkmcnt(0)
	v_mul_hi_u32 v5, s45, v3
	s_delay_alu instid0(VALU_DEP_1) | instskip(NEXT) | instid1(VALU_DEP_1)
	v_add_nc_u32_e32 v5, v3, v5
	v_lshrrev_b32_e32 v5, s39, v5
	s_delay_alu instid0(VALU_DEP_1) | instskip(NEXT) | instid1(VALU_DEP_1)
	v_mul_lo_u32 v5, v5, s44
	v_sub_nc_u32_e32 v3, v3, v5
	s_delay_alu instid0(VALU_DEP_1) | instskip(SKIP_2) | instid1(VALU_DEP_3)
	v_mad_u64_u32 v[5:6], null, v3, s46, v[0:1]
	v_mad_u64_u32 v[6:7], null, v3, s47, v[2:3]
	;; [unrolled: 1-line block ×3, first 2 shown]
	v_mov_b32_e32 v0, v5
	s_delay_alu instid0(VALU_DEP_2)
	v_dual_mov_b32 v2, v6 :: v_dual_mov_b32 v1, v7
	s_branch .LBB135_9
.LBB135_8:
	s_mov_b32 s38, -1
                                        ; implicit-def: $vgpr0
                                        ; implicit-def: $vgpr2
                                        ; implicit-def: $vgpr1
.LBB135_9:
	s_delay_alu instid0(SALU_CYCLE_1)
	s_and_not1_b32 vcc_lo, exec_lo, s38
	s_cbranch_vccnz .LBB135_12
; %bb.10:
	v_mul_hi_u32 v0, s17, v4
	s_and_not1_b32 vcc_lo, exec_lo, s34
	s_delay_alu instid0(VALU_DEP_1) | instskip(NEXT) | instid1(VALU_DEP_1)
	v_add_nc_u32_e32 v0, v4, v0
	v_lshrrev_b32_e32 v3, s18, v0
	s_delay_alu instid0(VALU_DEP_1) | instskip(NEXT) | instid1(VALU_DEP_1)
	v_mul_lo_u32 v0, v3, s16
	v_sub_nc_u32_e32 v1, v4, v0
	s_delay_alu instid0(VALU_DEP_1)
	v_mul_lo_u32 v0, v1, s12
	v_mul_lo_u32 v2, v1, s13
	;; [unrolled: 1-line block ×3, first 2 shown]
	s_cbranch_vccnz .LBB135_12
; %bb.11:
	v_mul_hi_u32 v5, s24, v3
	s_delay_alu instid0(VALU_DEP_1) | instskip(NEXT) | instid1(VALU_DEP_1)
	v_add_nc_u32_e32 v5, v3, v5
	v_lshrrev_b32_e32 v5, s25, v5
	s_delay_alu instid0(VALU_DEP_1) | instskip(NEXT) | instid1(VALU_DEP_1)
	v_mul_lo_u32 v5, v5, s19
	v_sub_nc_u32_e32 v3, v3, v5
	s_delay_alu instid0(VALU_DEP_1) | instskip(SKIP_2) | instid1(VALU_DEP_3)
	v_mad_u64_u32 v[5:6], null, v3, s15, v[0:1]
	v_mad_u64_u32 v[6:7], null, v3, s22, v[2:3]
	;; [unrolled: 1-line block ×3, first 2 shown]
	v_mov_b32_e32 v0, v5
	s_delay_alu instid0(VALU_DEP_2)
	v_dual_mov_b32 v2, v6 :: v_dual_mov_b32 v1, v7
.LBB135_12:
	v_and_b32_e64 v6, 0xff, s33
	s_delay_alu instid0(VALU_DEP_2) | instskip(NEXT) | instid1(VALU_DEP_1)
	v_add_co_u32 v2, s2, s6, v2
	v_add_co_ci_u32_e64 v3, null, s7, 0, s2
	s_delay_alu instid0(VALU_DEP_3)
	v_cmp_gt_i16_e32 vcc_lo, 11, v6
	s_mov_b32 s3, 0
	s_cbranch_vccnz .LBB135_19
; %bb.13:
	v_cmp_lt_i16_e32 vcc_lo, 25, v6
	s_cbranch_vccz .LBB135_28
; %bb.14:
	v_cmp_lt_i16_e32 vcc_lo, 28, v6
	s_cbranch_vccz .LBB135_148
; %bb.15:
	v_cmp_lt_i16_e32 vcc_lo, 43, v6
	s_cbranch_vccz .LBB135_150
; %bb.16:
	v_cmp_lt_i16_e32 vcc_lo, 45, v6
	s_cbranch_vccz .LBB135_152
; %bb.17:
	v_cmp_eq_u16_e32 vcc_lo, 46, v6
	s_mov_b32 s38, 0
	s_cbranch_vccz .LBB135_154
; %bb.18:
	global_load_b32 v5, v[2:3], off
	s_mov_b32 s2, -1
	s_waitcnt vmcnt(0)
	v_lshlrev_b32_e32 v5, 16, v5
	s_delay_alu instid0(VALU_DEP_1)
	v_cvt_f16_f32_e32 v5, v5
	s_branch .LBB135_156
.LBB135_19:
	s_mov_b32 s2, 0
                                        ; implicit-def: $vgpr5
	s_cbranch_execnz .LBB135_221
.LBB135_20:
	s_and_not1_b32 vcc_lo, exec_lo, s2
	s_cbranch_vccnz .LBB135_268
.LBB135_21:
	v_and_b32_e64 v3, 0xff, s31
	v_add_co_u32 v1, s2, s8, v1
	s_delay_alu instid0(VALU_DEP_1) | instskip(NEXT) | instid1(VALU_DEP_3)
	v_add_co_ci_u32_e64 v2, null, s9, 0, s2
	v_cmp_gt_i16_e32 vcc_lo, 11, v3
	s_mov_b32 s39, 0
	s_cbranch_vccnz .LBB135_29
; %bb.22:
	v_cmp_lt_i16_e32 vcc_lo, 25, v3
	s_cbranch_vccz .LBB135_149
; %bb.23:
	v_cmp_lt_i16_e32 vcc_lo, 28, v3
	s_cbranch_vccz .LBB135_151
	;; [unrolled: 3-line block ×4, first 2 shown]
; %bb.26:
	v_cmp_eq_u16_e32 vcc_lo, 46, v3
	s_mov_b32 s40, 0
	s_cbranch_vccz .LBB135_269
; %bb.27:
	global_load_b32 v6, v[1:2], off
	s_mov_b32 s2, -1
	s_waitcnt vmcnt(0)
	v_and_b32_e32 v6, 0x7fff7fff, v6
	s_delay_alu instid0(VALU_DEP_1)
	v_cmp_ne_u32_e32 vcc_lo, 0, v6
	s_and_b32 s38, vcc_lo, exec_lo
	s_branch .LBB135_271
.LBB135_28:
	s_mov_b32 s2, 0
                                        ; implicit-def: $vgpr5
	s_cbranch_execnz .LBB135_186
	s_branch .LBB135_220
.LBB135_29:
	s_mov_b32 s2, 0
                                        ; implicit-def: $sgpr38
	s_cbranch_execnz .LBB135_334
.LBB135_30:
	s_and_not1_b32 vcc_lo, exec_lo, s2
	s_cbranch_vccnz .LBB135_382
.LBB135_31:
	v_cndmask_b32_e64 v1, 0, 1.0, s38
	s_waitcnt vmcnt(0)
	v_cvt_f32_f16_e32 v2, v5
	v_and_b32_e64 v3, 0xff, s11
	v_add_co_u32 v0, s38, s4, v0
	s_mov_b32 s2, 0
	s_delay_alu instid0(VALU_DEP_3) | instskip(NEXT) | instid1(VALU_DEP_3)
	v_mul_f32_e32 v2, v2, v1
	v_cmp_gt_i16_e32 vcc_lo, 11, v3
	v_add_co_ci_u32_e64 v1, null, s5, 0, s38
	s_mov_b32 s39, -1
	s_delay_alu instid0(VALU_DEP_3)
	v_fma_mixlo_f16 v2, s10, v2, 0
	s_mov_b32 s38, 0
	s_cbranch_vccnz .LBB135_108
; %bb.32:
	v_cmp_lt_i16_e32 vcc_lo, 25, v3
	s_cbranch_vccz .LBB135_65
; %bb.33:
	v_cmp_lt_i16_e32 vcc_lo, 28, v3
	s_cbranch_vccz .LBB135_48
	;; [unrolled: 3-line block ×4, first 2 shown]
; %bb.36:
	v_cmp_eq_u16_e32 vcc_lo, 46, v3
	s_mov_b32 s39, 0
	s_mov_b32 s2, -1
	s_cbranch_vccz .LBB135_38
; %bb.37:
	v_cvt_f32_f16_e32 v5, v2
	v_cmp_o_f16_e32 vcc_lo, v2, v2
	s_mov_b32 s38, -1
	s_mov_b32 s2, 0
	s_delay_alu instid0(VALU_DEP_2) | instskip(NEXT) | instid1(VALU_DEP_1)
	v_bfe_u32 v6, v5, 16, 1
	v_add3_u32 v5, v5, v6, 0x7fff
	s_delay_alu instid0(VALU_DEP_1) | instskip(NEXT) | instid1(VALU_DEP_1)
	v_lshrrev_b32_e32 v5, 16, v5
	v_cndmask_b32_e32 v5, 0x7fc0, v5, vcc_lo
	global_store_b32 v[0:1], v5, off
.LBB135_38:
	s_and_b32 vcc_lo, exec_lo, s39
	s_cbranch_vccz .LBB135_43
; %bb.39:
	v_cmp_eq_u16_e32 vcc_lo, 44, v3
	s_mov_b32 s2, -1
	s_cbranch_vccz .LBB135_43
; %bb.40:
	v_cvt_f32_f16_e32 v5, v2
	v_mov_b32_e32 v6, 0xff
	s_mov_b32 s38, exec_lo
	s_delay_alu instid0(VALU_DEP_2) | instskip(NEXT) | instid1(VALU_DEP_1)
	v_bfe_u32 v7, v5, 23, 8
	v_cmpx_ne_u32_e32 0xff, v7
; %bb.41:
	v_and_b32_e32 v6, 0x400000, v5
	v_and_or_b32 v7, 0x3fffff, v5, v7
	v_lshrrev_b32_e32 v5, 23, v5
	s_delay_alu instid0(VALU_DEP_3) | instskip(NEXT) | instid1(VALU_DEP_3)
	v_cmp_ne_u32_e32 vcc_lo, 0, v6
	v_cmp_ne_u32_e64 s2, 0, v7
	s_delay_alu instid0(VALU_DEP_1) | instskip(NEXT) | instid1(SALU_CYCLE_1)
	s_and_b32 s2, vcc_lo, s2
	v_cndmask_b32_e64 v6, 0, 1, s2
	s_delay_alu instid0(VALU_DEP_1)
	v_add_nc_u32_e32 v6, v5, v6
; %bb.42:
	s_or_b32 exec_lo, exec_lo, s38
	s_mov_b32 s38, -1
	s_mov_b32 s2, 0
	global_store_b8 v[0:1], v6, off
.LBB135_43:
	s_mov_b32 s39, 0
.LBB135_44:
	s_delay_alu instid0(SALU_CYCLE_1)
	s_and_b32 vcc_lo, exec_lo, s39
	s_cbranch_vccz .LBB135_47
; %bb.45:
	v_cmp_eq_u16_e32 vcc_lo, 29, v3
	s_mov_b32 s2, -1
	s_cbranch_vccz .LBB135_47
; %bb.46:
	v_cvt_f32_f16_e32 v5, v2
	v_mov_b32_e32 v6, 0
	s_mov_b32 s2, 0
	s_mov_b32 s38, -1
	s_delay_alu instid0(VALU_DEP_2)
	v_cvt_u32_f32_e32 v5, v5
	global_store_b64 v[0:1], v[5:6], off
.LBB135_47:
	s_mov_b32 s39, 0
.LBB135_48:
	s_delay_alu instid0(SALU_CYCLE_1)
	s_and_b32 vcc_lo, exec_lo, s39
	s_cbranch_vccz .LBB135_64
; %bb.49:
	v_cmp_gt_i16_e32 vcc_lo, 27, v3
	s_mov_b32 s38, -1
	s_cbranch_vccnz .LBB135_55
; %bb.50:
	v_cmp_lt_i16_e32 vcc_lo, 27, v3
	s_cbranch_vccz .LBB135_52
; %bb.51:
	v_cvt_f32_f16_e32 v5, v2
	s_mov_b32 s38, 0
	s_delay_alu instid0(VALU_DEP_1)
	v_cvt_u32_f32_e32 v5, v5
	global_store_b32 v[0:1], v5, off
.LBB135_52:
	s_and_not1_b32 vcc_lo, exec_lo, s38
	s_cbranch_vccnz .LBB135_54
; %bb.53:
	v_cvt_u16_f16_e32 v5, v2
	global_store_b16 v[0:1], v5, off
.LBB135_54:
	s_mov_b32 s38, 0
.LBB135_55:
	s_delay_alu instid0(SALU_CYCLE_1)
	s_and_not1_b32 vcc_lo, exec_lo, s38
	s_cbranch_vccnz .LBB135_63
; %bb.56:
	v_cvt_f32_f16_e32 v5, v2
	v_mov_b32_e32 v7, 0x80
	s_mov_b32 s38, exec_lo
	s_delay_alu instid0(VALU_DEP_2) | instskip(NEXT) | instid1(VALU_DEP_1)
	v_and_b32_e32 v6, 0x7fffffff, v5
	v_cmpx_gt_u32_e32 0x43800000, v6
	s_cbranch_execz .LBB135_62
; %bb.57:
	v_cmp_lt_u32_e32 vcc_lo, 0x3bffffff, v6
	s_mov_b32 s39, 0
                                        ; implicit-def: $vgpr6
	s_and_saveexec_b32 s40, vcc_lo
	s_delay_alu instid0(SALU_CYCLE_1)
	s_xor_b32 s40, exec_lo, s40
	s_cbranch_execz .LBB135_421
; %bb.58:
	v_bfe_u32 v6, v5, 20, 1
	s_mov_b32 s39, exec_lo
	s_delay_alu instid0(VALU_DEP_1) | instskip(NEXT) | instid1(VALU_DEP_1)
	v_add3_u32 v6, v5, v6, 0x487ffff
	v_lshrrev_b32_e32 v6, 20, v6
	s_or_saveexec_b32 s40, s40
                                        ; implicit-def: $sgpr43
	s_delay_alu instid0(SALU_CYCLE_1)
	s_xor_b32 exec_lo, exec_lo, s40
	s_cbranch_execnz .LBB135_422
.LBB135_59:
	s_or_b32 exec_lo, exec_lo, s40
	v_mov_b32_e32 v7, s43
	s_and_saveexec_b32 s40, s39
.LBB135_60:
	v_lshrrev_b32_e32 v5, 24, v5
	s_delay_alu instid0(VALU_DEP_1)
	v_and_or_b32 v7, 0x80, v5, v6
.LBB135_61:
	s_or_b32 exec_lo, exec_lo, s40
.LBB135_62:
	s_delay_alu instid0(SALU_CYCLE_1)
	s_or_b32 exec_lo, exec_lo, s38
	global_store_b8 v[0:1], v7, off
.LBB135_63:
	s_mov_b32 s38, -1
.LBB135_64:
	s_mov_b32 s39, 0
.LBB135_65:
	s_delay_alu instid0(SALU_CYCLE_1)
	s_and_b32 vcc_lo, exec_lo, s39
	s_cbranch_vccz .LBB135_106
; %bb.66:
	v_cmp_lt_i16_e32 vcc_lo, 22, v3
	s_mov_b32 s39, -1
	s_cbranch_vccz .LBB135_98
; %bb.67:
	v_cmp_gt_i16_e32 vcc_lo, 24, v3
	s_mov_b32 s38, -1
	s_cbranch_vccnz .LBB135_87
; %bb.68:
	v_cmp_lt_i16_e32 vcc_lo, 24, v3
	s_cbranch_vccz .LBB135_76
; %bb.69:
	v_cvt_f32_f16_e32 v5, v2
	v_mov_b32_e32 v7, 0x80
	s_mov_b32 s38, exec_lo
	s_delay_alu instid0(VALU_DEP_2) | instskip(NEXT) | instid1(VALU_DEP_1)
	v_and_b32_e32 v6, 0x7fffffff, v5
	v_cmpx_gt_u32_e32 0x47800000, v6
	s_cbranch_execz .LBB135_75
; %bb.70:
	v_cmp_lt_u32_e32 vcc_lo, 0x37ffffff, v6
	s_mov_b32 s39, 0
                                        ; implicit-def: $vgpr6
	s_and_saveexec_b32 s40, vcc_lo
	s_delay_alu instid0(SALU_CYCLE_1)
	s_xor_b32 s40, exec_lo, s40
	s_cbranch_execz .LBB135_540
; %bb.71:
	v_bfe_u32 v6, v5, 21, 1
	s_mov_b32 s39, exec_lo
	s_delay_alu instid0(VALU_DEP_1) | instskip(NEXT) | instid1(VALU_DEP_1)
	v_add3_u32 v6, v5, v6, 0x88fffff
	v_lshrrev_b32_e32 v6, 21, v6
	s_or_saveexec_b32 s40, s40
                                        ; implicit-def: $sgpr43
	s_delay_alu instid0(SALU_CYCLE_1)
	s_xor_b32 exec_lo, exec_lo, s40
	s_cbranch_execnz .LBB135_541
.LBB135_72:
	s_or_b32 exec_lo, exec_lo, s40
	v_mov_b32_e32 v7, s43
	s_and_saveexec_b32 s40, s39
.LBB135_73:
	v_lshrrev_b32_e32 v5, 24, v5
	s_delay_alu instid0(VALU_DEP_1)
	v_and_or_b32 v7, 0x80, v5, v6
.LBB135_74:
	s_or_b32 exec_lo, exec_lo, s40
.LBB135_75:
	s_delay_alu instid0(SALU_CYCLE_1)
	s_or_b32 exec_lo, exec_lo, s38
	s_mov_b32 s38, 0
	global_store_b8 v[0:1], v7, off
.LBB135_76:
	s_and_b32 vcc_lo, exec_lo, s38
	s_cbranch_vccz .LBB135_86
; %bb.77:
	v_cvt_f32_f16_e32 v5, v2
	s_mov_b32 s38, exec_lo
                                        ; implicit-def: $vgpr6
	s_delay_alu instid0(VALU_DEP_1) | instskip(NEXT) | instid1(VALU_DEP_1)
	v_and_b32_e32 v7, 0x7fffffff, v5
	v_cmpx_gt_u32_e32 0x43f00000, v7
	s_xor_b32 s38, exec_lo, s38
	s_cbranch_execz .LBB135_83
; %bb.78:
	s_mov_b32 s39, exec_lo
                                        ; implicit-def: $vgpr6
	v_cmpx_lt_u32_e32 0x3c7fffff, v7
	s_xor_b32 s39, exec_lo, s39
; %bb.79:
	v_bfe_u32 v6, v5, 20, 1
	s_delay_alu instid0(VALU_DEP_1) | instskip(NEXT) | instid1(VALU_DEP_1)
	v_add3_u32 v6, v5, v6, 0x407ffff
	v_and_b32_e32 v7, 0xff00000, v6
	v_lshrrev_b32_e32 v6, 20, v6
	s_delay_alu instid0(VALU_DEP_2) | instskip(NEXT) | instid1(VALU_DEP_2)
	v_cmp_ne_u32_e32 vcc_lo, 0x7f00000, v7
	v_cndmask_b32_e32 v6, 0x7e, v6, vcc_lo
; %bb.80:
	s_and_not1_saveexec_b32 s39, s39
; %bb.81:
	v_add_f32_e64 v6, 0x46800000, |v5|
; %bb.82:
	s_or_b32 exec_lo, exec_lo, s39
                                        ; implicit-def: $vgpr7
.LBB135_83:
	s_and_not1_saveexec_b32 s38, s38
; %bb.84:
	v_mov_b32_e32 v6, 0x7f
	v_cmp_lt_u32_e32 vcc_lo, 0x7f800000, v7
	s_delay_alu instid0(VALU_DEP_2)
	v_cndmask_b32_e32 v6, 0x7e, v6, vcc_lo
; %bb.85:
	s_or_b32 exec_lo, exec_lo, s38
	v_lshrrev_b32_e32 v5, 24, v5
	s_delay_alu instid0(VALU_DEP_1)
	v_and_or_b32 v5, 0x80, v5, v6
	global_store_b8 v[0:1], v5, off
.LBB135_86:
	s_mov_b32 s38, 0
.LBB135_87:
	s_delay_alu instid0(SALU_CYCLE_1)
	s_and_not1_b32 vcc_lo, exec_lo, s38
	s_cbranch_vccnz .LBB135_97
; %bb.88:
	v_cvt_f32_f16_e32 v5, v2
	s_mov_b32 s38, exec_lo
                                        ; implicit-def: $vgpr6
	s_delay_alu instid0(VALU_DEP_1) | instskip(NEXT) | instid1(VALU_DEP_1)
	v_and_b32_e32 v7, 0x7fffffff, v5
	v_cmpx_gt_u32_e32 0x47800000, v7
	s_xor_b32 s38, exec_lo, s38
	s_cbranch_execz .LBB135_94
; %bb.89:
	s_mov_b32 s39, exec_lo
                                        ; implicit-def: $vgpr6
	v_cmpx_lt_u32_e32 0x387fffff, v7
	s_xor_b32 s39, exec_lo, s39
; %bb.90:
	v_bfe_u32 v6, v5, 21, 1
	s_delay_alu instid0(VALU_DEP_1) | instskip(NEXT) | instid1(VALU_DEP_1)
	v_add3_u32 v6, v5, v6, 0x80fffff
	v_lshrrev_b32_e32 v6, 21, v6
; %bb.91:
	s_and_not1_saveexec_b32 s39, s39
; %bb.92:
	v_add_f32_e64 v6, 0x43000000, |v5|
; %bb.93:
	s_or_b32 exec_lo, exec_lo, s39
                                        ; implicit-def: $vgpr7
.LBB135_94:
	s_and_not1_saveexec_b32 s38, s38
; %bb.95:
	v_mov_b32_e32 v6, 0x7f
	v_cmp_lt_u32_e32 vcc_lo, 0x7f800000, v7
	s_delay_alu instid0(VALU_DEP_2)
	v_cndmask_b32_e32 v6, 0x7c, v6, vcc_lo
; %bb.96:
	s_or_b32 exec_lo, exec_lo, s38
	v_lshrrev_b32_e32 v5, 24, v5
	s_delay_alu instid0(VALU_DEP_1)
	v_and_or_b32 v5, 0x80, v5, v6
	global_store_b8 v[0:1], v5, off
.LBB135_97:
	s_mov_b32 s39, 0
	s_mov_b32 s38, -1
.LBB135_98:
	s_and_not1_b32 vcc_lo, exec_lo, s39
	s_cbranch_vccnz .LBB135_106
; %bb.99:
	v_cmp_lt_i16_e32 vcc_lo, 14, v3
	s_mov_b32 s39, -1
	s_cbranch_vccz .LBB135_103
; %bb.100:
	v_cmp_eq_u16_e32 vcc_lo, 15, v3
	s_mov_b32 s2, -1
	s_cbranch_vccz .LBB135_102
; %bb.101:
	v_cvt_f32_f16_e32 v5, v2
	v_cmp_o_f16_e32 vcc_lo, v2, v2
	s_mov_b32 s38, -1
	s_mov_b32 s2, 0
	s_delay_alu instid0(VALU_DEP_2) | instskip(NEXT) | instid1(VALU_DEP_1)
	v_bfe_u32 v6, v5, 16, 1
	v_add3_u32 v5, v5, v6, 0x7fff
	s_delay_alu instid0(VALU_DEP_1) | instskip(NEXT) | instid1(VALU_DEP_1)
	v_lshrrev_b32_e32 v5, 16, v5
	v_cndmask_b32_e32 v5, 0x7fc0, v5, vcc_lo
	global_store_b16 v[0:1], v5, off
.LBB135_102:
	s_mov_b32 s39, 0
.LBB135_103:
	s_delay_alu instid0(SALU_CYCLE_1)
	s_and_b32 vcc_lo, exec_lo, s39
	s_cbranch_vccz .LBB135_106
; %bb.104:
	v_cmp_eq_u16_e32 vcc_lo, 11, v3
	s_mov_b32 s2, -1
	s_cbranch_vccz .LBB135_106
; %bb.105:
	v_cmp_neq_f16_e32 vcc_lo, 0, v2
	s_mov_b32 s2, 0
	s_mov_b32 s38, -1
	v_cndmask_b32_e64 v5, 0, 1, vcc_lo
	global_store_b8 v[0:1], v5, off
.LBB135_106:
.LBB135_107:
	s_and_not1_b32 vcc_lo, exec_lo, s38
	s_mov_b32 s39, 0
	s_cbranch_vccz .LBB135_147
	s_branch .LBB135_383
.LBB135_108:
	s_and_b32 vcc_lo, exec_lo, s39
	s_cbranch_vccz .LBB135_107
; %bb.109:
	v_cmp_gt_i16_e32 vcc_lo, 5, v3
	s_mov_b32 s38, -1
	s_cbranch_vccnz .LBB135_130
; %bb.110:
	v_cmp_gt_i16_e32 vcc_lo, 8, v3
	s_cbranch_vccnz .LBB135_120
; %bb.111:
	v_cmp_gt_i16_e32 vcc_lo, 9, v3
	s_cbranch_vccnz .LBB135_117
; %bb.112:
	v_cmp_lt_i16_e32 vcc_lo, 9, v3
	s_cbranch_vccz .LBB135_114
; %bb.113:
	v_cvt_f32_f16_e32 v5, v2
	v_mov_b32_e32 v7, 0
	s_mov_b32 s38, 0
	s_delay_alu instid0(VALU_DEP_2) | instskip(NEXT) | instid1(VALU_DEP_2)
	v_cvt_f64_f32_e32 v[5:6], v5
	v_mov_b32_e32 v8, v7
	global_store_b128 v[0:1], v[5:8], off
.LBB135_114:
	s_and_not1_b32 vcc_lo, exec_lo, s38
	s_cbranch_vccnz .LBB135_116
; %bb.115:
	v_cvt_f32_f16_e32 v5, v2
	v_mov_b32_e32 v6, 0
	global_store_b64 v[0:1], v[5:6], off
.LBB135_116:
	s_mov_b32 s38, 0
.LBB135_117:
	s_delay_alu instid0(SALU_CYCLE_1)
	s_and_not1_b32 vcc_lo, exec_lo, s38
	s_cbranch_vccnz .LBB135_119
; %bb.118:
	v_and_b32_e32 v5, 0xffff, v2
	global_store_b32 v[0:1], v5, off
.LBB135_119:
	s_mov_b32 s38, 0
.LBB135_120:
	s_delay_alu instid0(SALU_CYCLE_1)
	s_and_not1_b32 vcc_lo, exec_lo, s38
	s_cbranch_vccnz .LBB135_129
; %bb.121:
	v_cmp_gt_i16_e32 vcc_lo, 6, v3
	s_mov_b32 s38, -1
	s_cbranch_vccnz .LBB135_127
; %bb.122:
	v_cmp_lt_i16_e32 vcc_lo, 6, v3
	s_cbranch_vccz .LBB135_124
; %bb.123:
	v_cvt_f32_f16_e32 v5, v2
	s_mov_b32 s38, 0
	s_delay_alu instid0(VALU_DEP_1)
	v_cvt_f64_f32_e32 v[5:6], v5
	global_store_b64 v[0:1], v[5:6], off
.LBB135_124:
	s_and_not1_b32 vcc_lo, exec_lo, s38
	s_cbranch_vccnz .LBB135_126
; %bb.125:
	v_cvt_f32_f16_e32 v5, v2
	global_store_b32 v[0:1], v5, off
.LBB135_126:
	s_mov_b32 s38, 0
.LBB135_127:
	s_delay_alu instid0(SALU_CYCLE_1)
	s_and_not1_b32 vcc_lo, exec_lo, s38
	s_cbranch_vccnz .LBB135_129
; %bb.128:
	global_store_b16 v[0:1], v2, off
.LBB135_129:
	s_mov_b32 s38, 0
.LBB135_130:
	s_delay_alu instid0(SALU_CYCLE_1)
	s_and_not1_b32 vcc_lo, exec_lo, s38
	s_cbranch_vccnz .LBB135_146
; %bb.131:
	v_cmp_gt_i16_e32 vcc_lo, 2, v3
	s_mov_b32 s38, -1
	s_cbranch_vccnz .LBB135_141
; %bb.132:
	v_cmp_gt_i16_e32 vcc_lo, 3, v3
	s_cbranch_vccnz .LBB135_138
; %bb.133:
	v_cmp_lt_i16_e32 vcc_lo, 3, v3
	s_cbranch_vccz .LBB135_135
; %bb.134:
	v_cvt_f32_f16_e32 v5, v2
	s_mov_b32 s38, 0
	s_delay_alu instid0(VALU_DEP_1) | instskip(NEXT) | instid1(VALU_DEP_1)
	v_cvt_i32_f32_e32 v5, v5
	v_ashrrev_i32_e32 v6, 31, v5
	global_store_b64 v[0:1], v[5:6], off
.LBB135_135:
	s_and_not1_b32 vcc_lo, exec_lo, s38
	s_cbranch_vccnz .LBB135_137
; %bb.136:
	v_cvt_f32_f16_e32 v5, v2
	s_delay_alu instid0(VALU_DEP_1)
	v_cvt_i32_f32_e32 v5, v5
	global_store_b32 v[0:1], v5, off
.LBB135_137:
	s_mov_b32 s38, 0
.LBB135_138:
	s_delay_alu instid0(SALU_CYCLE_1)
	s_and_not1_b32 vcc_lo, exec_lo, s38
	s_cbranch_vccnz .LBB135_140
; %bb.139:
	v_cvt_i16_f16_e32 v5, v2
	global_store_b16 v[0:1], v5, off
.LBB135_140:
	s_mov_b32 s38, 0
.LBB135_141:
	s_delay_alu instid0(SALU_CYCLE_1)
	s_and_not1_b32 vcc_lo, exec_lo, s38
	s_cbranch_vccnz .LBB135_146
; %bb.142:
	v_cmp_lt_i16_e32 vcc_lo, 0, v3
	s_mov_b32 s38, -1
	s_cbranch_vccz .LBB135_144
; %bb.143:
	v_cvt_i16_f16_e32 v3, v2
	s_mov_b32 s38, 0
	global_store_b8 v[0:1], v3, off
.LBB135_144:
	s_and_not1_b32 vcc_lo, exec_lo, s38
	s_cbranch_vccnz .LBB135_146
; %bb.145:
	v_cvt_f32_f16_e32 v2, v2
	s_delay_alu instid0(VALU_DEP_1)
	v_cvt_i32_f32_e32 v2, v2
	global_store_b8 v[0:1], v2, off
.LBB135_146:
	s_mov_b32 s39, 0
.LBB135_147:
	v_add_nc_u32_e32 v4, 0x80, v4
	s_mov_b32 s43, -1
	s_branch .LBB135_384
.LBB135_148:
	s_mov_b32 s38, -1
	s_mov_b32 s2, 0
                                        ; implicit-def: $vgpr5
	s_branch .LBB135_167
.LBB135_149:
	s_mov_b32 s40, -1
	s_mov_b32 s2, 0
                                        ; implicit-def: $sgpr38
	s_branch .LBB135_298
.LBB135_150:
	s_mov_b32 s38, -1
	s_mov_b32 s2, 0
                                        ; implicit-def: $vgpr5
	s_branch .LBB135_162
.LBB135_151:
	s_mov_b32 s40, -1
	s_mov_b32 s2, 0
                                        ; implicit-def: $sgpr38
	s_branch .LBB135_279
.LBB135_152:
	s_mov_b32 s38, -1
	s_branch .LBB135_155
.LBB135_153:
	s_mov_b32 s40, -1
	s_mov_b32 s2, 0
                                        ; implicit-def: $sgpr38
	s_branch .LBB135_274
.LBB135_154:
	s_mov_b32 s3, -1
.LBB135_155:
	s_mov_b32 s2, 0
                                        ; implicit-def: $vgpr5
.LBB135_156:
	s_and_b32 vcc_lo, exec_lo, s38
	s_cbranch_vccz .LBB135_161
; %bb.157:
	v_cmp_eq_u16_e32 vcc_lo, 44, v6
	s_cbranch_vccz .LBB135_160
; %bb.158:
	global_load_u8 v5, v[2:3], off
	s_mov_b32 s3, 0
	s_mov_b32 s2, -1
	s_waitcnt vmcnt(0)
	v_lshlrev_b32_e32 v7, 23, v5
	v_cmp_ne_u32_e32 vcc_lo, 0xff, v5
	s_delay_alu instid0(VALU_DEP_2) | instskip(NEXT) | instid1(VALU_DEP_1)
	v_cvt_f16_f32_e32 v7, v7
	v_cndmask_b32_e32 v7, 0x7e00, v7, vcc_lo
	v_cmp_ne_u32_e32 vcc_lo, 0, v5
	s_delay_alu instid0(VALU_DEP_2)
	v_cndmask_b32_e32 v5, 0, v7, vcc_lo
	s_branch .LBB135_161
.LBB135_159:
	s_mov_b32 s40, -1
	s_branch .LBB135_270
.LBB135_160:
	s_mov_b32 s3, -1
                                        ; implicit-def: $vgpr5
.LBB135_161:
	s_mov_b32 s38, 0
.LBB135_162:
	s_delay_alu instid0(SALU_CYCLE_1)
	s_and_b32 vcc_lo, exec_lo, s38
	s_cbranch_vccz .LBB135_166
; %bb.163:
	v_cmp_eq_u16_e32 vcc_lo, 29, v6
	s_cbranch_vccz .LBB135_165
; %bb.164:
	global_load_b64 v[7:8], v[2:3], off
	s_mov_b32 s2, -1
	s_mov_b32 s3, 0
	s_mov_b32 s38, 0
	s_waitcnt vmcnt(0)
	v_clz_i32_u32_e32 v5, v8
	s_delay_alu instid0(VALU_DEP_1) | instskip(NEXT) | instid1(VALU_DEP_1)
	v_min_u32_e32 v5, 32, v5
	v_lshlrev_b64 v[7:8], v5, v[7:8]
	v_sub_nc_u32_e32 v5, 32, v5
	s_delay_alu instid0(VALU_DEP_2) | instskip(NEXT) | instid1(VALU_DEP_1)
	v_min_u32_e32 v7, 1, v7
	v_or_b32_e32 v7, v8, v7
	s_delay_alu instid0(VALU_DEP_1) | instskip(NEXT) | instid1(VALU_DEP_1)
	v_cvt_f32_u32_e32 v7, v7
	v_ldexp_f32 v5, v7, v5
	s_delay_alu instid0(VALU_DEP_1)
	v_cvt_f16_f32_e32 v5, v5
	s_branch .LBB135_167
.LBB135_165:
	s_mov_b32 s3, -1
                                        ; implicit-def: $vgpr5
.LBB135_166:
	s_mov_b32 s38, 0
.LBB135_167:
	s_delay_alu instid0(SALU_CYCLE_1)
	s_and_b32 vcc_lo, exec_lo, s38
	s_cbranch_vccz .LBB135_185
; %bb.168:
	v_cmp_gt_i16_e32 vcc_lo, 27, v6
	s_cbranch_vccnz .LBB135_171
; %bb.169:
	v_cmp_lt_i16_e32 vcc_lo, 27, v6
	s_cbranch_vccz .LBB135_172
; %bb.170:
	global_load_b32 v5, v[2:3], off
	s_mov_b32 s2, 0
	s_waitcnt vmcnt(0)
	v_cvt_f32_u32_e32 v5, v5
	s_delay_alu instid0(VALU_DEP_1)
	v_cvt_f16_f32_e32 v5, v5
	s_branch .LBB135_173
.LBB135_171:
	s_mov_b32 s2, -1
                                        ; implicit-def: $vgpr5
	s_branch .LBB135_176
.LBB135_172:
	s_mov_b32 s2, -1
                                        ; implicit-def: $vgpr5
.LBB135_173:
	s_delay_alu instid0(SALU_CYCLE_1)
	s_and_not1_b32 vcc_lo, exec_lo, s2
	s_cbranch_vccnz .LBB135_175
; %bb.174:
	global_load_u16 v5, v[2:3], off
	s_waitcnt vmcnt(0)
	v_cvt_f16_u16_e32 v5, v5
.LBB135_175:
	s_mov_b32 s2, 0
.LBB135_176:
	s_delay_alu instid0(SALU_CYCLE_1)
	s_and_not1_b32 vcc_lo, exec_lo, s2
	s_cbranch_vccnz .LBB135_184
; %bb.177:
	global_load_u8 v7, v[2:3], off
	s_mov_b32 s2, 0
	s_mov_b32 s39, exec_lo
                                        ; implicit-def: $sgpr38
	s_waitcnt vmcnt(0)
	v_cmpx_lt_i16_e32 0x7f, v7
	s_xor_b32 s39, exec_lo, s39
	s_cbranch_execz .LBB135_197
; %bb.178:
	s_mov_b32 s2, -1
	s_mov_b32 s40, exec_lo
                                        ; implicit-def: $sgpr38
	v_cmpx_eq_u16_e32 0x80, v7
; %bb.179:
	s_movk_i32 s38, 0x7e00
	s_xor_b32 s2, exec_lo, -1
; %bb.180:
	s_or_b32 exec_lo, exec_lo, s40
	s_delay_alu instid0(SALU_CYCLE_1)
	s_and_b32 s2, s2, exec_lo
	s_or_saveexec_b32 s39, s39
	v_mov_b32_e32 v5, s38
	s_xor_b32 exec_lo, exec_lo, s39
	s_cbranch_execnz .LBB135_198
.LBB135_181:
	s_or_b32 exec_lo, exec_lo, s39
	s_and_saveexec_b32 s38, s2
	s_cbranch_execz .LBB135_183
.LBB135_182:
	v_and_b32_e32 v5, 0xffff, v7
	v_lshlrev_b32_e32 v7, 24, v7
	s_delay_alu instid0(VALU_DEP_2) | instskip(NEXT) | instid1(VALU_DEP_2)
	v_and_b32_e32 v8, 7, v5
	v_and_b32_e32 v7, 0x80000000, v7
	s_delay_alu instid0(VALU_DEP_2) | instskip(NEXT) | instid1(VALU_DEP_1)
	v_clz_i32_u32_e32 v9, v8
	v_min_u32_e32 v9, 32, v9
	s_delay_alu instid0(VALU_DEP_1) | instskip(SKIP_1) | instid1(VALU_DEP_2)
	v_subrev_nc_u32_e32 v10, 28, v9
	v_sub_nc_u32_e32 v9, 29, v9
	v_lshlrev_b32_e32 v10, v10, v5
	v_bfe_u32 v5, v5, 3, 4
	s_delay_alu instid0(VALU_DEP_1) | instskip(NEXT) | instid1(VALU_DEP_3)
	v_cmp_eq_u32_e32 vcc_lo, 0, v5
	v_dual_cndmask_b32 v5, v5, v9 :: v_dual_and_b32 v10, 7, v10
	s_delay_alu instid0(VALU_DEP_1) | instskip(NEXT) | instid1(VALU_DEP_2)
	v_cndmask_b32_e32 v8, v8, v10, vcc_lo
	v_lshl_add_u32 v5, v5, 23, 0x3b800000
	s_delay_alu instid0(VALU_DEP_2) | instskip(NEXT) | instid1(VALU_DEP_1)
	v_lshlrev_b32_e32 v8, 20, v8
	v_or3_b32 v5, v7, v5, v8
	s_delay_alu instid0(VALU_DEP_1)
	v_cvt_f16_f32_e32 v5, v5
.LBB135_183:
	s_or_b32 exec_lo, exec_lo, s38
.LBB135_184:
	s_mov_b32 s2, -1
.LBB135_185:
	s_branch .LBB135_220
.LBB135_186:
	v_cmp_lt_i16_e32 vcc_lo, 22, v6
	s_cbranch_vccz .LBB135_196
; %bb.187:
	v_cmp_gt_i16_e32 vcc_lo, 24, v6
	s_cbranch_vccnz .LBB135_199
; %bb.188:
	v_cmp_lt_i16_e32 vcc_lo, 24, v6
	s_cbranch_vccz .LBB135_200
; %bb.189:
	global_load_u8 v7, v[2:3], off
	s_mov_b32 s2, 0
	s_mov_b32 s39, exec_lo
                                        ; implicit-def: $sgpr38
	s_waitcnt vmcnt(0)
	v_cmpx_lt_i16_e32 0x7f, v7
	s_xor_b32 s39, exec_lo, s39
	s_cbranch_execz .LBB135_212
; %bb.190:
	s_mov_b32 s2, -1
	s_mov_b32 s40, exec_lo
                                        ; implicit-def: $sgpr38
	v_cmpx_eq_u16_e32 0x80, v7
; %bb.191:
	s_movk_i32 s38, 0x7e00
	s_xor_b32 s2, exec_lo, -1
; %bb.192:
	s_or_b32 exec_lo, exec_lo, s40
	s_delay_alu instid0(SALU_CYCLE_1)
	s_and_b32 s2, s2, exec_lo
	s_or_saveexec_b32 s39, s39
	v_mov_b32_e32 v5, s38
	s_xor_b32 exec_lo, exec_lo, s39
	s_cbranch_execnz .LBB135_213
.LBB135_193:
	s_or_b32 exec_lo, exec_lo, s39
	s_and_saveexec_b32 s38, s2
	s_cbranch_execz .LBB135_195
.LBB135_194:
	v_and_b32_e32 v5, 0xffff, v7
	v_lshlrev_b32_e32 v7, 24, v7
	s_delay_alu instid0(VALU_DEP_2) | instskip(NEXT) | instid1(VALU_DEP_2)
	v_and_b32_e32 v8, 3, v5
	v_and_b32_e32 v7, 0x80000000, v7
	s_delay_alu instid0(VALU_DEP_2) | instskip(NEXT) | instid1(VALU_DEP_1)
	v_clz_i32_u32_e32 v9, v8
	v_min_u32_e32 v9, 32, v9
	s_delay_alu instid0(VALU_DEP_1) | instskip(SKIP_1) | instid1(VALU_DEP_2)
	v_subrev_nc_u32_e32 v10, 29, v9
	v_sub_nc_u32_e32 v9, 30, v9
	v_lshlrev_b32_e32 v10, v10, v5
	v_bfe_u32 v5, v5, 2, 5
	s_delay_alu instid0(VALU_DEP_1) | instskip(NEXT) | instid1(VALU_DEP_3)
	v_cmp_eq_u32_e32 vcc_lo, 0, v5
	v_dual_cndmask_b32 v5, v5, v9 :: v_dual_and_b32 v10, 3, v10
	s_delay_alu instid0(VALU_DEP_1) | instskip(NEXT) | instid1(VALU_DEP_2)
	v_cndmask_b32_e32 v8, v8, v10, vcc_lo
	v_lshl_add_u32 v5, v5, 23, 0x37800000
	s_delay_alu instid0(VALU_DEP_2) | instskip(NEXT) | instid1(VALU_DEP_1)
	v_lshlrev_b32_e32 v8, 21, v8
	v_or3_b32 v5, v7, v5, v8
	s_delay_alu instid0(VALU_DEP_1)
	v_cvt_f16_f32_e32 v5, v5
.LBB135_195:
	s_or_b32 exec_lo, exec_lo, s38
	s_mov_b32 s2, 0
	s_branch .LBB135_201
.LBB135_196:
	s_mov_b32 s38, -1
                                        ; implicit-def: $vgpr5
	s_branch .LBB135_207
.LBB135_197:
	s_or_saveexec_b32 s39, s39
	v_mov_b32_e32 v5, s38
	s_xor_b32 exec_lo, exec_lo, s39
	s_cbranch_execz .LBB135_181
.LBB135_198:
	v_cmp_ne_u16_e32 vcc_lo, 0, v7
	v_mov_b32_e32 v5, v7
	s_and_not1_b32 s2, s2, exec_lo
	s_and_b32 s38, vcc_lo, exec_lo
	s_delay_alu instid0(SALU_CYCLE_1)
	s_or_b32 s2, s2, s38
	s_or_b32 exec_lo, exec_lo, s39
	s_and_saveexec_b32 s38, s2
	s_cbranch_execnz .LBB135_182
	s_branch .LBB135_183
.LBB135_199:
	s_mov_b32 s2, -1
                                        ; implicit-def: $vgpr5
	s_branch .LBB135_204
.LBB135_200:
	s_mov_b32 s2, -1
                                        ; implicit-def: $vgpr5
.LBB135_201:
	s_delay_alu instid0(SALU_CYCLE_1)
	s_and_b32 vcc_lo, exec_lo, s2
	s_cbranch_vccz .LBB135_203
; %bb.202:
	global_load_u8 v5, v[2:3], off
	s_waitcnt vmcnt(0)
	v_lshlrev_b32_e32 v5, 24, v5
	s_delay_alu instid0(VALU_DEP_1) | instskip(NEXT) | instid1(VALU_DEP_1)
	v_and_b32_e32 v7, 0x7f000000, v5
	v_clz_i32_u32_e32 v8, v7
	v_cmp_ne_u32_e32 vcc_lo, 0, v7
	v_add_nc_u32_e32 v10, 0x1000000, v7
	s_delay_alu instid0(VALU_DEP_3) | instskip(NEXT) | instid1(VALU_DEP_1)
	v_min_u32_e32 v8, 32, v8
	v_sub_nc_u32_e64 v8, v8, 4 clamp
	s_delay_alu instid0(VALU_DEP_1) | instskip(SKIP_1) | instid1(VALU_DEP_2)
	v_lshlrev_b32_e32 v9, v8, v7
	v_lshlrev_b32_e32 v8, 23, v8
	v_lshrrev_b32_e32 v9, 4, v9
	s_delay_alu instid0(VALU_DEP_1) | instskip(SKIP_1) | instid1(VALU_DEP_2)
	v_sub_nc_u32_e32 v8, v9, v8
	v_ashrrev_i32_e32 v9, 8, v10
	v_add_nc_u32_e32 v8, 0x3c000000, v8
	s_delay_alu instid0(VALU_DEP_1) | instskip(NEXT) | instid1(VALU_DEP_1)
	v_and_or_b32 v8, 0x7f800000, v9, v8
	v_cndmask_b32_e32 v7, 0, v8, vcc_lo
	s_delay_alu instid0(VALU_DEP_1) | instskip(NEXT) | instid1(VALU_DEP_1)
	v_and_or_b32 v5, 0x80000000, v5, v7
	v_cvt_f16_f32_e32 v5, v5
.LBB135_203:
	s_mov_b32 s2, 0
.LBB135_204:
	s_delay_alu instid0(SALU_CYCLE_1)
	s_and_not1_b32 vcc_lo, exec_lo, s2
	s_cbranch_vccnz .LBB135_206
; %bb.205:
	global_load_u8 v5, v[2:3], off
	s_waitcnt vmcnt(0)
	v_lshlrev_b32_e32 v7, 25, v5
	v_lshlrev_b16 v5, 8, v5
	s_delay_alu instid0(VALU_DEP_2) | instskip(NEXT) | instid1(VALU_DEP_2)
	v_lshrrev_b32_e32 v8, 4, v7
	v_and_or_b32 v9, 0x7f00, v5, 0.5
	v_bfe_i32 v5, v5, 0, 16
	s_delay_alu instid0(VALU_DEP_3) | instskip(NEXT) | instid1(VALU_DEP_1)
	v_or_b32_e32 v8, 0x70000000, v8
	v_dual_add_f32 v9, -0.5, v9 :: v_dual_mul_f32 v8, 0x7800000, v8
	v_cmp_gt_u32_e32 vcc_lo, 0x8000000, v7
	s_delay_alu instid0(VALU_DEP_2) | instskip(NEXT) | instid1(VALU_DEP_1)
	v_cndmask_b32_e32 v7, v8, v9, vcc_lo
	v_and_or_b32 v5, 0x80000000, v5, v7
	s_delay_alu instid0(VALU_DEP_1)
	v_cvt_f16_f32_e32 v5, v5
.LBB135_206:
	s_mov_b32 s38, 0
	s_mov_b32 s2, -1
.LBB135_207:
	s_and_not1_b32 vcc_lo, exec_lo, s38
	s_cbranch_vccnz .LBB135_220
; %bb.208:
	v_cmp_lt_i16_e32 vcc_lo, 14, v6
	s_cbranch_vccz .LBB135_211
; %bb.209:
	v_cmp_eq_u16_e32 vcc_lo, 15, v6
	s_cbranch_vccz .LBB135_214
; %bb.210:
	global_load_u16 v5, v[2:3], off
	s_mov_b32 s2, -1
	s_mov_b32 s3, 0
	s_waitcnt vmcnt(0)
	v_lshlrev_b32_e32 v5, 16, v5
	s_delay_alu instid0(VALU_DEP_1)
	v_cvt_f16_f32_e32 v5, v5
	s_branch .LBB135_215
.LBB135_211:
	s_mov_b32 s38, -1
                                        ; implicit-def: $vgpr5
	s_branch .LBB135_216
.LBB135_212:
	s_or_saveexec_b32 s39, s39
	v_mov_b32_e32 v5, s38
	s_xor_b32 exec_lo, exec_lo, s39
	s_cbranch_execz .LBB135_193
.LBB135_213:
	v_cmp_ne_u16_e32 vcc_lo, 0, v7
	v_mov_b32_e32 v5, v7
	s_and_not1_b32 s2, s2, exec_lo
	s_and_b32 s38, vcc_lo, exec_lo
	s_delay_alu instid0(SALU_CYCLE_1)
	s_or_b32 s2, s2, s38
	s_or_b32 exec_lo, exec_lo, s39
	s_and_saveexec_b32 s38, s2
	s_cbranch_execnz .LBB135_194
	s_branch .LBB135_195
.LBB135_214:
	s_mov_b32 s3, -1
                                        ; implicit-def: $vgpr5
.LBB135_215:
	s_mov_b32 s38, 0
.LBB135_216:
	s_delay_alu instid0(SALU_CYCLE_1)
	s_and_b32 vcc_lo, exec_lo, s38
	s_cbranch_vccz .LBB135_220
; %bb.217:
	v_cmp_eq_u16_e32 vcc_lo, 11, v6
	s_cbranch_vccz .LBB135_219
; %bb.218:
	global_load_u8 v5, v[2:3], off
	s_mov_b32 s3, 0
	s_mov_b32 s2, -1
	s_waitcnt vmcnt(0)
	v_cmp_ne_u16_e32 vcc_lo, 0, v5
	v_cndmask_b32_e64 v5, 0, 0x3c00, vcc_lo
	s_branch .LBB135_220
.LBB135_219:
	s_mov_b32 s3, -1
                                        ; implicit-def: $vgpr5
.LBB135_220:
	s_branch .LBB135_20
.LBB135_221:
	v_cmp_gt_i16_e32 vcc_lo, 5, v6
	s_cbranch_vccnz .LBB135_226
; %bb.222:
	v_cmp_gt_i16_e32 vcc_lo, 8, v6
	s_cbranch_vccnz .LBB135_227
; %bb.223:
	;; [unrolled: 3-line block ×3, first 2 shown]
	v_cmp_lt_i16_e32 vcc_lo, 9, v6
	s_cbranch_vccz .LBB135_229
; %bb.225:
	global_load_b64 v[7:8], v[2:3], off
	s_mov_b32 s2, 0
	s_waitcnt vmcnt(0)
	v_cvt_f32_f64_e32 v5, v[7:8]
	s_delay_alu instid0(VALU_DEP_1)
	v_cvt_f16_f32_e32 v5, v5
	s_branch .LBB135_230
.LBB135_226:
                                        ; implicit-def: $vgpr5
	s_branch .LBB135_248
.LBB135_227:
	s_mov_b32 s2, -1
                                        ; implicit-def: $vgpr5
	s_branch .LBB135_236
.LBB135_228:
	s_mov_b32 s2, -1
                                        ; implicit-def: $vgpr5
	s_branch .LBB135_233
.LBB135_229:
	s_mov_b32 s2, -1
                                        ; implicit-def: $vgpr5
.LBB135_230:
	s_delay_alu instid0(SALU_CYCLE_1)
	s_and_not1_b32 vcc_lo, exec_lo, s2
	s_cbranch_vccnz .LBB135_232
; %bb.231:
	global_load_b32 v5, v[2:3], off
	s_waitcnt vmcnt(0)
	v_cvt_f16_f32_e32 v5, v5
.LBB135_232:
	s_mov_b32 s2, 0
.LBB135_233:
	s_delay_alu instid0(SALU_CYCLE_1)
	s_and_not1_b32 vcc_lo, exec_lo, s2
	s_cbranch_vccnz .LBB135_235
; %bb.234:
	global_load_b32 v5, v[2:3], off
.LBB135_235:
	s_mov_b32 s2, 0
.LBB135_236:
	s_delay_alu instid0(SALU_CYCLE_1)
	s_and_not1_b32 vcc_lo, exec_lo, s2
	s_cbranch_vccnz .LBB135_247
; %bb.237:
	v_cmp_gt_i16_e32 vcc_lo, 6, v6
	s_cbranch_vccnz .LBB135_240
; %bb.238:
	v_cmp_lt_i16_e32 vcc_lo, 6, v6
	s_cbranch_vccz .LBB135_241
; %bb.239:
	global_load_b64 v[7:8], v[2:3], off
	s_mov_b32 s2, 0
	s_waitcnt vmcnt(0)
	v_cvt_f32_f64_e32 v5, v[7:8]
	s_delay_alu instid0(VALU_DEP_1)
	v_cvt_f16_f32_e32 v5, v5
	s_branch .LBB135_242
.LBB135_240:
	s_mov_b32 s2, -1
                                        ; implicit-def: $vgpr5
	s_branch .LBB135_245
.LBB135_241:
	s_mov_b32 s2, -1
                                        ; implicit-def: $vgpr5
.LBB135_242:
	s_delay_alu instid0(SALU_CYCLE_1)
	s_and_not1_b32 vcc_lo, exec_lo, s2
	s_cbranch_vccnz .LBB135_244
; %bb.243:
	global_load_b32 v5, v[2:3], off
	s_waitcnt vmcnt(0)
	v_cvt_f16_f32_e32 v5, v5
.LBB135_244:
	s_mov_b32 s2, 0
.LBB135_245:
	s_delay_alu instid0(SALU_CYCLE_1)
	s_and_not1_b32 vcc_lo, exec_lo, s2
	s_cbranch_vccnz .LBB135_247
; %bb.246:
	global_load_u16 v5, v[2:3], off
.LBB135_247:
	s_cbranch_execnz .LBB135_267
.LBB135_248:
	v_cmp_gt_i16_e32 vcc_lo, 2, v6
	s_cbranch_vccnz .LBB135_252
; %bb.249:
	v_cmp_gt_i16_e32 vcc_lo, 3, v6
	s_cbranch_vccnz .LBB135_253
; %bb.250:
	v_cmp_lt_i16_e32 vcc_lo, 3, v6
	s_cbranch_vccz .LBB135_254
; %bb.251:
	global_load_b64 v[7:8], v[2:3], off
	s_mov_b32 s2, 0
	s_waitcnt vmcnt(0)
	v_xor_b32_e32 v5, v7, v8
	v_cls_i32_e32 v9, v8
	s_delay_alu instid0(VALU_DEP_2) | instskip(NEXT) | instid1(VALU_DEP_2)
	v_ashrrev_i32_e32 v5, 31, v5
	v_add_nc_u32_e32 v9, -1, v9
	s_delay_alu instid0(VALU_DEP_2) | instskip(NEXT) | instid1(VALU_DEP_1)
	v_add_nc_u32_e32 v5, 32, v5
	v_min_u32_e32 v5, v9, v5
	s_delay_alu instid0(VALU_DEP_1) | instskip(SKIP_1) | instid1(VALU_DEP_2)
	v_lshlrev_b64 v[7:8], v5, v[7:8]
	v_sub_nc_u32_e32 v5, 32, v5
	v_min_u32_e32 v7, 1, v7
	s_delay_alu instid0(VALU_DEP_1) | instskip(NEXT) | instid1(VALU_DEP_1)
	v_or_b32_e32 v7, v8, v7
	v_cvt_f32_i32_e32 v7, v7
	s_delay_alu instid0(VALU_DEP_1) | instskip(NEXT) | instid1(VALU_DEP_1)
	v_ldexp_f32 v5, v7, v5
	v_cvt_f16_f32_e32 v5, v5
	s_branch .LBB135_255
.LBB135_252:
	s_mov_b32 s2, -1
                                        ; implicit-def: $vgpr5
	s_branch .LBB135_261
.LBB135_253:
	s_mov_b32 s2, -1
                                        ; implicit-def: $vgpr5
	s_branch .LBB135_258
.LBB135_254:
	s_mov_b32 s2, -1
                                        ; implicit-def: $vgpr5
.LBB135_255:
	s_delay_alu instid0(SALU_CYCLE_1)
	s_and_not1_b32 vcc_lo, exec_lo, s2
	s_cbranch_vccnz .LBB135_257
; %bb.256:
	global_load_b32 v5, v[2:3], off
	s_waitcnt vmcnt(0)
	v_cvt_f32_i32_e32 v5, v5
	s_delay_alu instid0(VALU_DEP_1)
	v_cvt_f16_f32_e32 v5, v5
.LBB135_257:
	s_mov_b32 s2, 0
.LBB135_258:
	s_delay_alu instid0(SALU_CYCLE_1)
	s_and_not1_b32 vcc_lo, exec_lo, s2
	s_cbranch_vccnz .LBB135_260
; %bb.259:
	global_load_u16 v5, v[2:3], off
	s_waitcnt vmcnt(0)
	v_cvt_f16_i16_e32 v5, v5
.LBB135_260:
	s_mov_b32 s2, 0
.LBB135_261:
	s_delay_alu instid0(SALU_CYCLE_1)
	s_and_not1_b32 vcc_lo, exec_lo, s2
	s_cbranch_vccnz .LBB135_267
; %bb.262:
	v_cmp_lt_i16_e32 vcc_lo, 0, v6
	s_mov_b32 s2, 0
	s_cbranch_vccz .LBB135_264
; %bb.263:
	global_load_i8 v5, v[2:3], off
	s_waitcnt vmcnt(0)
	v_cvt_f16_i16_e32 v5, v5
	s_branch .LBB135_265
.LBB135_264:
	s_mov_b32 s2, -1
                                        ; implicit-def: $vgpr5
.LBB135_265:
	s_delay_alu instid0(SALU_CYCLE_1)
	s_and_not1_b32 vcc_lo, exec_lo, s2
	s_cbranch_vccnz .LBB135_267
; %bb.266:
	global_load_u8 v2, v[2:3], off
	s_waitcnt vmcnt(0)
	v_cvt_f16_u16_e32 v5, v2
.LBB135_267:
	s_branch .LBB135_21
.LBB135_268:
	s_mov_b32 s2, 0
	s_mov_b32 s39, 0
	s_branch .LBB135_383
.LBB135_269:
	s_mov_b32 s39, -1
.LBB135_270:
	s_mov_b32 s2, 0
                                        ; implicit-def: $sgpr38
.LBB135_271:
	s_and_b32 vcc_lo, exec_lo, s40
	s_cbranch_vccz .LBB135_273
; %bb.272:
	v_cmp_eq_u16_e64 s2, 44, v3
	s_mov_b32 s39, -1
	s_or_b32 s38, s38, exec_lo
.LBB135_273:
	s_mov_b32 s40, 0
.LBB135_274:
	s_delay_alu instid0(SALU_CYCLE_1)
	s_and_b32 vcc_lo, exec_lo, s40
	s_cbranch_vccz .LBB135_278
; %bb.275:
	v_cmp_eq_u16_e32 vcc_lo, 29, v3
	s_cbranch_vccz .LBB135_277
; %bb.276:
	global_load_b64 v[6:7], v[1:2], off
	s_mov_b32 s2, -1
	s_mov_b32 s39, 0
	s_mov_b32 s40, 0
	s_waitcnt vmcnt(0)
	v_cmp_ne_u64_e32 vcc_lo, 0, v[6:7]
	s_and_b32 s38, vcc_lo, exec_lo
	s_branch .LBB135_279
.LBB135_277:
	s_mov_b32 s39, -1
                                        ; implicit-def: $sgpr38
.LBB135_278:
	s_mov_b32 s40, 0
.LBB135_279:
	s_delay_alu instid0(SALU_CYCLE_1)
	s_and_b32 vcc_lo, exec_lo, s40
	s_cbranch_vccz .LBB135_297
; %bb.280:
	v_cmp_gt_i16_e32 vcc_lo, 27, v3
	s_cbranch_vccnz .LBB135_283
; %bb.281:
	v_cmp_lt_i16_e32 vcc_lo, 27, v3
	s_cbranch_vccz .LBB135_284
; %bb.282:
	global_load_b32 v6, v[1:2], off
	s_mov_b32 s2, 0
	s_waitcnt vmcnt(0)
	v_cmp_ne_u32_e32 vcc_lo, 0, v6
	s_and_b32 s38, vcc_lo, exec_lo
	s_branch .LBB135_285
.LBB135_283:
	s_mov_b32 s2, -1
                                        ; implicit-def: $sgpr38
	s_branch .LBB135_288
.LBB135_284:
	s_mov_b32 s2, -1
                                        ; implicit-def: $sgpr38
.LBB135_285:
	s_delay_alu instid0(SALU_CYCLE_1)
	s_and_not1_b32 vcc_lo, exec_lo, s2
	s_cbranch_vccnz .LBB135_287
; %bb.286:
	global_load_u16 v6, v[1:2], off
	s_and_not1_b32 s2, s38, exec_lo
	s_waitcnt vmcnt(0)
	v_cmp_ne_u16_e32 vcc_lo, 0, v6
	s_and_b32 s38, vcc_lo, exec_lo
	s_delay_alu instid0(SALU_CYCLE_1)
	s_or_b32 s38, s2, s38
.LBB135_287:
	s_mov_b32 s2, 0
.LBB135_288:
	s_delay_alu instid0(SALU_CYCLE_1)
	s_and_not1_b32 vcc_lo, exec_lo, s2
	s_cbranch_vccnz .LBB135_296
; %bb.289:
	global_load_u8 v6, v[1:2], off
	s_mov_b32 s2, 0
	s_mov_b32 s40, exec_lo
                                        ; implicit-def: $sgpr38
	s_waitcnt vmcnt(0)
	v_cmpx_lt_i16_e32 0x7f, v6
	s_xor_b32 s40, exec_lo, s40
	s_cbranch_execz .LBB135_310
; %bb.290:
	s_mov_b32 s2, -1
	s_mov_b32 s43, exec_lo
                                        ; implicit-def: $sgpr38
	v_cmpx_eq_u16_e32 0x80, v6
; %bb.291:
	s_mov_b32 s38, -1
	s_xor_b32 s2, exec_lo, -1
; %bb.292:
	s_or_b32 exec_lo, exec_lo, s43
	s_delay_alu instid0(SALU_CYCLE_1)
	s_and_b32 s2, s2, exec_lo
	s_and_not1_saveexec_b32 s40, s40
	s_cbranch_execnz .LBB135_311
.LBB135_293:
	s_or_b32 exec_lo, exec_lo, s40
	s_and_saveexec_b32 s40, s2
	s_cbranch_execz .LBB135_295
.LBB135_294:
	v_and_b32_e32 v6, 0xffff, v6
	s_and_not1_b32 s2, s38, exec_lo
	s_delay_alu instid0(VALU_DEP_1) | instskip(NEXT) | instid1(VALU_DEP_1)
	v_and_b32_e32 v7, 7, v6
	v_clz_i32_u32_e32 v8, v7
	s_delay_alu instid0(VALU_DEP_1) | instskip(NEXT) | instid1(VALU_DEP_1)
	v_min_u32_e32 v8, 32, v8
	v_subrev_nc_u32_e32 v9, 28, v8
	v_sub_nc_u32_e32 v8, 29, v8
	s_delay_alu instid0(VALU_DEP_2) | instskip(SKIP_1) | instid1(VALU_DEP_2)
	v_lshlrev_b32_e32 v9, v9, v6
	v_bfe_u32 v6, v6, 3, 4
	v_and_b32_e32 v9, 7, v9
	s_delay_alu instid0(VALU_DEP_2) | instskip(NEXT) | instid1(VALU_DEP_2)
	v_cmp_eq_u32_e32 vcc_lo, 0, v6
	v_dual_cndmask_b32 v6, v6, v8 :: v_dual_cndmask_b32 v7, v7, v9
	s_delay_alu instid0(VALU_DEP_1) | instskip(NEXT) | instid1(VALU_DEP_2)
	v_lshl_add_u32 v6, v6, 23, 0x3b800000
	v_lshlrev_b32_e32 v7, 20, v7
	s_delay_alu instid0(VALU_DEP_1) | instskip(NEXT) | instid1(VALU_DEP_1)
	v_and_or_b32 v6, 0x7f800000, v6, v7
	v_cmp_ne_u32_e32 vcc_lo, 0, v6
	s_and_b32 s38, vcc_lo, exec_lo
	s_delay_alu instid0(SALU_CYCLE_1)
	s_or_b32 s38, s2, s38
.LBB135_295:
	s_or_b32 exec_lo, exec_lo, s40
.LBB135_296:
	s_mov_b32 s2, -1
.LBB135_297:
	s_mov_b32 s40, 0
.LBB135_298:
	s_delay_alu instid0(SALU_CYCLE_1)
	s_and_b32 vcc_lo, exec_lo, s40
	s_cbranch_vccz .LBB135_333
; %bb.299:
	v_cmp_lt_i16_e32 vcc_lo, 22, v3
	s_cbranch_vccz .LBB135_309
; %bb.300:
	v_cmp_gt_i16_e32 vcc_lo, 24, v3
	s_cbranch_vccnz .LBB135_312
; %bb.301:
	v_cmp_lt_i16_e32 vcc_lo, 24, v3
	s_cbranch_vccz .LBB135_313
; %bb.302:
	global_load_u8 v6, v[1:2], off
	s_mov_b32 s2, 0
	s_mov_b32 s40, exec_lo
                                        ; implicit-def: $sgpr38
	s_waitcnt vmcnt(0)
	v_cmpx_lt_i16_e32 0x7f, v6
	s_xor_b32 s40, exec_lo, s40
	s_cbranch_execz .LBB135_325
; %bb.303:
	s_mov_b32 s2, -1
	s_mov_b32 s43, exec_lo
                                        ; implicit-def: $sgpr38
	v_cmpx_eq_u16_e32 0x80, v6
; %bb.304:
	s_mov_b32 s38, -1
	s_xor_b32 s2, exec_lo, -1
; %bb.305:
	s_or_b32 exec_lo, exec_lo, s43
	s_delay_alu instid0(SALU_CYCLE_1)
	s_and_b32 s2, s2, exec_lo
	s_and_not1_saveexec_b32 s40, s40
	s_cbranch_execnz .LBB135_326
.LBB135_306:
	s_or_b32 exec_lo, exec_lo, s40
	s_and_saveexec_b32 s40, s2
	s_cbranch_execz .LBB135_308
.LBB135_307:
	v_and_b32_e32 v6, 0xffff, v6
	s_and_not1_b32 s2, s38, exec_lo
	s_delay_alu instid0(VALU_DEP_1) | instskip(NEXT) | instid1(VALU_DEP_1)
	v_and_b32_e32 v7, 3, v6
	v_clz_i32_u32_e32 v8, v7
	s_delay_alu instid0(VALU_DEP_1) | instskip(NEXT) | instid1(VALU_DEP_1)
	v_min_u32_e32 v8, 32, v8
	v_subrev_nc_u32_e32 v9, 29, v8
	v_sub_nc_u32_e32 v8, 30, v8
	s_delay_alu instid0(VALU_DEP_2) | instskip(SKIP_1) | instid1(VALU_DEP_2)
	v_lshlrev_b32_e32 v9, v9, v6
	v_bfe_u32 v6, v6, 2, 5
	v_and_b32_e32 v9, 3, v9
	s_delay_alu instid0(VALU_DEP_2) | instskip(NEXT) | instid1(VALU_DEP_2)
	v_cmp_eq_u32_e32 vcc_lo, 0, v6
	v_dual_cndmask_b32 v6, v6, v8 :: v_dual_cndmask_b32 v7, v7, v9
	s_delay_alu instid0(VALU_DEP_1) | instskip(NEXT) | instid1(VALU_DEP_2)
	v_lshl_add_u32 v6, v6, 23, 0x37800000
	v_lshlrev_b32_e32 v7, 21, v7
	s_delay_alu instid0(VALU_DEP_1) | instskip(NEXT) | instid1(VALU_DEP_1)
	v_and_or_b32 v6, 0x7f800000, v6, v7
	v_cmp_ne_u32_e32 vcc_lo, 0, v6
	s_and_b32 s38, vcc_lo, exec_lo
	s_delay_alu instid0(SALU_CYCLE_1)
	s_or_b32 s38, s2, s38
.LBB135_308:
	s_or_b32 exec_lo, exec_lo, s40
	s_mov_b32 s2, 0
	s_branch .LBB135_314
.LBB135_309:
	s_mov_b32 s40, -1
                                        ; implicit-def: $sgpr38
	s_branch .LBB135_320
.LBB135_310:
	s_and_not1_saveexec_b32 s40, s40
	s_cbranch_execz .LBB135_293
.LBB135_311:
	v_cmp_ne_u16_e32 vcc_lo, 0, v6
	s_and_not1_b32 s2, s2, exec_lo
	s_and_not1_b32 s38, s38, exec_lo
	s_and_b32 s43, vcc_lo, exec_lo
	s_delay_alu instid0(SALU_CYCLE_1)
	s_or_b32 s2, s2, s43
	s_or_b32 exec_lo, exec_lo, s40
	s_and_saveexec_b32 s40, s2
	s_cbranch_execnz .LBB135_294
	s_branch .LBB135_295
.LBB135_312:
	s_mov_b32 s2, -1
                                        ; implicit-def: $sgpr38
	s_branch .LBB135_317
.LBB135_313:
	s_mov_b32 s2, -1
                                        ; implicit-def: $sgpr38
.LBB135_314:
	s_delay_alu instid0(SALU_CYCLE_1)
	s_and_b32 vcc_lo, exec_lo, s2
	s_cbranch_vccz .LBB135_316
; %bb.315:
	global_load_u8 v6, v[1:2], off
	s_and_not1_b32 s38, s38, exec_lo
	s_waitcnt vmcnt(0)
	v_lshlrev_b32_e32 v6, 24, v6
	s_delay_alu instid0(VALU_DEP_1) | instskip(NEXT) | instid1(VALU_DEP_1)
	v_and_b32_e32 v6, 0x7f000000, v6
	v_clz_i32_u32_e32 v7, v6
	v_add_nc_u32_e32 v9, 0x1000000, v6
	v_cmp_ne_u32_e32 vcc_lo, 0, v6
	s_delay_alu instid0(VALU_DEP_3) | instskip(NEXT) | instid1(VALU_DEP_3)
	v_min_u32_e32 v7, 32, v7
	v_ashrrev_i32_e32 v9, 8, v9
	s_delay_alu instid0(VALU_DEP_2) | instskip(NEXT) | instid1(VALU_DEP_1)
	v_sub_nc_u32_e64 v7, v7, 4 clamp
	v_lshlrev_b32_e32 v8, v7, v6
	v_lshlrev_b32_e32 v7, 23, v7
	s_delay_alu instid0(VALU_DEP_2) | instskip(NEXT) | instid1(VALU_DEP_1)
	v_lshrrev_b32_e32 v8, 4, v8
	v_sub_nc_u32_e32 v7, v8, v7
	v_and_b32_e32 v8, 0x7f800000, v9
	s_delay_alu instid0(VALU_DEP_2) | instskip(NEXT) | instid1(VALU_DEP_1)
	v_add_nc_u32_e32 v7, 0x3c000000, v7
	v_and_or_b32 v7, 0x7ff00000, v7, v8
	s_delay_alu instid0(VALU_DEP_1) | instskip(NEXT) | instid1(VALU_DEP_1)
	v_cmp_ne_u32_e64 s2, 0, v7
	s_and_b32 s2, vcc_lo, s2
	s_delay_alu instid0(SALU_CYCLE_1) | instskip(NEXT) | instid1(SALU_CYCLE_1)
	s_and_b32 s2, s2, exec_lo
	s_or_b32 s38, s38, s2
.LBB135_316:
	s_mov_b32 s2, 0
.LBB135_317:
	s_delay_alu instid0(SALU_CYCLE_1)
	s_and_not1_b32 vcc_lo, exec_lo, s2
	s_cbranch_vccnz .LBB135_319
; %bb.318:
	global_load_u8 v6, v[1:2], off
	s_and_not1_b32 s2, s38, exec_lo
	s_waitcnt vmcnt(0)
	v_lshlrev_b32_e32 v7, 25, v6
	v_lshlrev_b32_e32 v6, 8, v6
	s_delay_alu instid0(VALU_DEP_2) | instskip(NEXT) | instid1(VALU_DEP_2)
	v_lshrrev_b32_e32 v8, 4, v7
	v_and_or_b32 v6, 0x7f00, v6, 0.5
	s_delay_alu instid0(VALU_DEP_2) | instskip(NEXT) | instid1(VALU_DEP_2)
	v_or_b32_e32 v8, 0x70000000, v8
	v_add_f32_e32 v6, -0.5, v6
	s_delay_alu instid0(VALU_DEP_2) | instskip(SKIP_1) | instid1(VALU_DEP_2)
	v_mul_f32_e32 v8, 0x7800000, v8
	v_cmp_gt_u32_e32 vcc_lo, 0x8000000, v7
	v_cndmask_b32_e32 v6, v8, v6, vcc_lo
	s_delay_alu instid0(VALU_DEP_1) | instskip(SKIP_1) | instid1(SALU_CYCLE_1)
	v_cmp_neq_f32_e32 vcc_lo, 0, v6
	s_and_b32 s38, vcc_lo, exec_lo
	s_or_b32 s38, s2, s38
.LBB135_319:
	s_mov_b32 s40, 0
	s_mov_b32 s2, -1
.LBB135_320:
	s_and_not1_b32 vcc_lo, exec_lo, s40
	s_cbranch_vccnz .LBB135_333
; %bb.321:
	v_cmp_lt_i16_e32 vcc_lo, 14, v3
	s_cbranch_vccz .LBB135_324
; %bb.322:
	v_cmp_eq_u16_e32 vcc_lo, 15, v3
	s_cbranch_vccz .LBB135_327
; %bb.323:
	global_load_u16 v6, v[1:2], off
	s_mov_b32 s39, 0
	s_mov_b32 s2, -1
	s_waitcnt vmcnt(0)
	v_and_b32_e32 v6, 0x7fff, v6
	s_delay_alu instid0(VALU_DEP_1)
	v_cmp_ne_u16_e32 vcc_lo, 0, v6
	s_and_b32 s38, vcc_lo, exec_lo
	s_branch .LBB135_328
.LBB135_324:
	s_mov_b32 s40, -1
                                        ; implicit-def: $sgpr38
	s_branch .LBB135_329
.LBB135_325:
	s_and_not1_saveexec_b32 s40, s40
	s_cbranch_execz .LBB135_306
.LBB135_326:
	v_cmp_ne_u16_e32 vcc_lo, 0, v6
	s_and_not1_b32 s2, s2, exec_lo
	s_and_not1_b32 s38, s38, exec_lo
	s_and_b32 s43, vcc_lo, exec_lo
	s_delay_alu instid0(SALU_CYCLE_1)
	s_or_b32 s2, s2, s43
	s_or_b32 exec_lo, exec_lo, s40
	s_and_saveexec_b32 s40, s2
	s_cbranch_execnz .LBB135_307
	s_branch .LBB135_308
.LBB135_327:
	s_mov_b32 s39, -1
                                        ; implicit-def: $sgpr38
.LBB135_328:
	s_mov_b32 s40, 0
.LBB135_329:
	s_delay_alu instid0(SALU_CYCLE_1)
	s_and_b32 vcc_lo, exec_lo, s40
	s_cbranch_vccz .LBB135_333
; %bb.330:
	v_cmp_eq_u16_e32 vcc_lo, 11, v3
	s_cbranch_vccz .LBB135_332
; %bb.331:
	global_load_u8 v6, v[1:2], off
	s_mov_b32 s39, 0
	s_mov_b32 s2, -1
	s_waitcnt vmcnt(0)
	v_cmp_ne_u16_e32 vcc_lo, 0, v6
	s_and_b32 s38, vcc_lo, exec_lo
	s_branch .LBB135_333
.LBB135_332:
	s_mov_b32 s39, -1
                                        ; implicit-def: $sgpr38
.LBB135_333:
	s_branch .LBB135_30
.LBB135_334:
	v_cmp_gt_i16_e32 vcc_lo, 5, v3
	s_cbranch_vccnz .LBB135_339
; %bb.335:
	v_cmp_gt_i16_e32 vcc_lo, 8, v3
	s_cbranch_vccnz .LBB135_340
; %bb.336:
	;; [unrolled: 3-line block ×3, first 2 shown]
	v_cmp_lt_i16_e32 vcc_lo, 9, v3
	s_cbranch_vccz .LBB135_342
; %bb.338:
	global_load_b128 v[6:9], v[1:2], off
	s_waitcnt vmcnt(0)
	v_cmp_neq_f64_e32 vcc_lo, 0, v[6:7]
	v_cmp_neq_f64_e64 s2, 0, v[8:9]
	s_delay_alu instid0(VALU_DEP_1)
	s_or_b32 s38, vcc_lo, s2
	s_mov_b32 s2, 0
	s_and_b32 s38, s38, exec_lo
	s_branch .LBB135_343
.LBB135_339:
	s_mov_b32 s2, -1
                                        ; implicit-def: $sgpr38
	s_branch .LBB135_361
.LBB135_340:
	s_mov_b32 s2, -1
                                        ; implicit-def: $sgpr38
	s_branch .LBB135_349
.LBB135_341:
	s_mov_b32 s2, -1
                                        ; implicit-def: $sgpr38
	s_branch .LBB135_346
.LBB135_342:
	s_mov_b32 s2, -1
                                        ; implicit-def: $sgpr38
.LBB135_343:
	s_delay_alu instid0(SALU_CYCLE_1)
	s_and_not1_b32 vcc_lo, exec_lo, s2
	s_cbranch_vccnz .LBB135_345
; %bb.344:
	global_load_b64 v[6:7], v[1:2], off
	s_and_not1_b32 s2, s38, exec_lo
	s_waitcnt vmcnt(0)
	v_or_b32_e32 v6, v6, v7
	s_delay_alu instid0(VALU_DEP_1) | instskip(NEXT) | instid1(VALU_DEP_1)
	v_and_b32_e32 v6, 0x7fffffff, v6
	v_cmp_ne_u32_e32 vcc_lo, 0, v6
	s_and_b32 s38, vcc_lo, exec_lo
	s_delay_alu instid0(SALU_CYCLE_1)
	s_or_b32 s38, s2, s38
.LBB135_345:
	s_mov_b32 s2, 0
.LBB135_346:
	s_delay_alu instid0(SALU_CYCLE_1)
	s_and_not1_b32 vcc_lo, exec_lo, s2
	s_cbranch_vccnz .LBB135_348
; %bb.347:
	global_load_b32 v6, v[1:2], off
	s_and_not1_b32 s2, s38, exec_lo
	s_waitcnt vmcnt(0)
	v_and_b32_e32 v6, 0x7fff7fff, v6
	s_delay_alu instid0(VALU_DEP_1) | instskip(SKIP_1) | instid1(SALU_CYCLE_1)
	v_cmp_ne_u32_e32 vcc_lo, 0, v6
	s_and_b32 s38, vcc_lo, exec_lo
	s_or_b32 s38, s2, s38
.LBB135_348:
	s_mov_b32 s2, 0
.LBB135_349:
	s_delay_alu instid0(SALU_CYCLE_1)
	s_and_not1_b32 vcc_lo, exec_lo, s2
	s_cbranch_vccnz .LBB135_360
; %bb.350:
	v_cmp_gt_i16_e32 vcc_lo, 6, v3
	s_cbranch_vccnz .LBB135_353
; %bb.351:
	v_cmp_lt_i16_e32 vcc_lo, 6, v3
	s_cbranch_vccz .LBB135_354
; %bb.352:
	global_load_b64 v[6:7], v[1:2], off
	s_mov_b32 s2, 0
	s_waitcnt vmcnt(0)
	v_cmp_neq_f64_e32 vcc_lo, 0, v[6:7]
	s_and_b32 s38, vcc_lo, exec_lo
	s_branch .LBB135_355
.LBB135_353:
	s_mov_b32 s2, -1
                                        ; implicit-def: $sgpr38
	s_branch .LBB135_358
.LBB135_354:
	s_mov_b32 s2, -1
                                        ; implicit-def: $sgpr38
.LBB135_355:
	s_delay_alu instid0(SALU_CYCLE_1)
	s_and_not1_b32 vcc_lo, exec_lo, s2
	s_cbranch_vccnz .LBB135_357
; %bb.356:
	global_load_b32 v6, v[1:2], off
	s_and_not1_b32 s2, s38, exec_lo
	s_waitcnt vmcnt(0)
	v_cmp_neq_f32_e32 vcc_lo, 0, v6
	s_and_b32 s38, vcc_lo, exec_lo
	s_delay_alu instid0(SALU_CYCLE_1)
	s_or_b32 s38, s2, s38
.LBB135_357:
	s_mov_b32 s2, 0
.LBB135_358:
	s_delay_alu instid0(SALU_CYCLE_1)
	s_and_not1_b32 vcc_lo, exec_lo, s2
	s_cbranch_vccnz .LBB135_360
; %bb.359:
	global_load_u16 v6, v[1:2], off
	s_and_not1_b32 s2, s38, exec_lo
	s_waitcnt vmcnt(0)
	v_and_b32_e32 v6, 0x7fff, v6
	s_delay_alu instid0(VALU_DEP_1) | instskip(SKIP_1) | instid1(SALU_CYCLE_1)
	v_cmp_ne_u16_e32 vcc_lo, 0, v6
	s_and_b32 s38, vcc_lo, exec_lo
	s_or_b32 s38, s2, s38
.LBB135_360:
	s_mov_b32 s2, 0
.LBB135_361:
	s_delay_alu instid0(SALU_CYCLE_1)
	s_and_not1_b32 vcc_lo, exec_lo, s2
	s_cbranch_vccnz .LBB135_381
; %bb.362:
	v_cmp_gt_i16_e32 vcc_lo, 2, v3
	s_cbranch_vccnz .LBB135_366
; %bb.363:
	v_cmp_gt_i16_e32 vcc_lo, 3, v3
	s_cbranch_vccnz .LBB135_367
; %bb.364:
	v_cmp_lt_i16_e32 vcc_lo, 3, v3
	s_cbranch_vccz .LBB135_368
; %bb.365:
	global_load_b64 v[6:7], v[1:2], off
	s_mov_b32 s2, 0
	s_waitcnt vmcnt(0)
	v_cmp_ne_u64_e32 vcc_lo, 0, v[6:7]
	s_and_b32 s38, vcc_lo, exec_lo
	s_branch .LBB135_369
.LBB135_366:
	s_mov_b32 s2, -1
                                        ; implicit-def: $sgpr38
	s_branch .LBB135_375
.LBB135_367:
	s_mov_b32 s2, -1
                                        ; implicit-def: $sgpr38
	s_branch .LBB135_372
.LBB135_368:
	s_mov_b32 s2, -1
                                        ; implicit-def: $sgpr38
.LBB135_369:
	s_delay_alu instid0(SALU_CYCLE_1)
	s_and_not1_b32 vcc_lo, exec_lo, s2
	s_cbranch_vccnz .LBB135_371
; %bb.370:
	global_load_b32 v6, v[1:2], off
	s_and_not1_b32 s2, s38, exec_lo
	s_waitcnt vmcnt(0)
	v_cmp_ne_u32_e32 vcc_lo, 0, v6
	s_and_b32 s38, vcc_lo, exec_lo
	s_delay_alu instid0(SALU_CYCLE_1)
	s_or_b32 s38, s2, s38
.LBB135_371:
	s_mov_b32 s2, 0
.LBB135_372:
	s_delay_alu instid0(SALU_CYCLE_1)
	s_and_not1_b32 vcc_lo, exec_lo, s2
	s_cbranch_vccnz .LBB135_374
; %bb.373:
	global_load_u16 v6, v[1:2], off
	s_and_not1_b32 s2, s38, exec_lo
	s_waitcnt vmcnt(0)
	v_cmp_ne_u16_e32 vcc_lo, 0, v6
	s_and_b32 s38, vcc_lo, exec_lo
	s_delay_alu instid0(SALU_CYCLE_1)
	s_or_b32 s38, s2, s38
.LBB135_374:
	s_mov_b32 s2, 0
.LBB135_375:
	s_delay_alu instid0(SALU_CYCLE_1)
	s_and_not1_b32 vcc_lo, exec_lo, s2
	s_cbranch_vccnz .LBB135_381
; %bb.376:
	v_cmp_lt_i16_e32 vcc_lo, 0, v3
	s_mov_b32 s2, 0
	s_cbranch_vccz .LBB135_378
; %bb.377:
	global_load_u8 v3, v[1:2], off
	s_waitcnt vmcnt(0)
	v_cmp_ne_u16_e32 vcc_lo, 0, v3
	s_and_b32 s38, vcc_lo, exec_lo
	s_branch .LBB135_379
.LBB135_378:
	s_mov_b32 s2, -1
                                        ; implicit-def: $sgpr38
.LBB135_379:
	s_delay_alu instid0(SALU_CYCLE_1)
	s_and_not1_b32 vcc_lo, exec_lo, s2
	s_cbranch_vccnz .LBB135_381
; %bb.380:
	global_load_u8 v1, v[1:2], off
	s_and_not1_b32 s2, s38, exec_lo
	s_waitcnt vmcnt(0)
	v_cmp_ne_u16_e32 vcc_lo, 0, v1
	s_and_b32 s38, vcc_lo, exec_lo
	s_delay_alu instid0(SALU_CYCLE_1)
	s_or_b32 s38, s2, s38
.LBB135_381:
	s_branch .LBB135_31
.LBB135_382:
	s_mov_b32 s2, 0
.LBB135_383:
	s_mov_b32 s43, 0
                                        ; implicit-def: $vgpr4
.LBB135_384:
	s_and_b32 s38, s2, exec_lo
	s_and_b32 s39, s39, exec_lo
	;; [unrolled: 1-line block ×3, first 2 shown]
	s_or_not1_b32 s3, s43, exec_lo
.LBB135_385:
	s_or_b32 exec_lo, exec_lo, s41
	s_mov_b32 s43, 0
	s_mov_b32 s2, 0
                                        ; implicit-def: $vgpr6
                                        ; implicit-def: $vgpr2_vgpr3
                                        ; implicit-def: $vgpr0
                                        ; implicit-def: $vgpr1
                                        ; implicit-def: $vgpr5
	s_and_saveexec_b32 s41, s3
	s_cbranch_execz .LBB135_1275
; %bb.386:
	s_mov_b32 s47, -1
	s_mov_b32 s42, s40
	s_mov_b32 s44, s39
	;; [unrolled: 1-line block ×3, first 2 shown]
	s_mov_b32 s45, exec_lo
	v_cmpx_gt_i32_e64 s36, v4
	s_cbranch_execz .LBB135_707
; %bb.387:
	s_and_not1_b32 vcc_lo, exec_lo, s29
	s_cbranch_vccnz .LBB135_393
; %bb.388:
	v_dual_mov_b32 v0, 0 :: v_dual_mov_b32 v1, 0
	v_mov_b32_e32 v2, 0
	s_and_not1_b32 vcc_lo, exec_lo, s37
	s_mov_b32 s42, 0
	s_cbranch_vccnz .LBB135_394
; %bb.389:
	s_add_i32 s2, s35, 1
	v_dual_mov_b32 v1, 0 :: v_dual_mov_b32 v2, 0
	v_dual_mov_b32 v0, 0 :: v_dual_mov_b32 v3, v4
	s_and_b32 s43, s2, 30
	s_add_u32 s2, s20, 0xffffffec
	s_addc_u32 s3, s21, -1
	s_set_inst_prefetch_distance 0x1
	.p2align	6
.LBB135_390:                            ; =>This Inner Loop Header: Depth=1
	s_clause 0x2
	s_load_b128 s[48:51], s[2:3], 0x18
	s_load_b64 s[46:47], s[2:3], 0x28
	s_load_b128 s[52:55], s[2:3], 0xd8
	s_waitcnt vmcnt(0) lgkmcnt(0)
	v_mul_hi_u32 v5, s49, v3
	s_delay_alu instid0(VALU_DEP_1) | instskip(NEXT) | instid1(VALU_DEP_1)
	v_add_nc_u32_e32 v5, v3, v5
	v_lshrrev_b32_e32 v5, s50, v5
	s_delay_alu instid0(VALU_DEP_1)
	v_mul_hi_u32 v6, s46, v5
	v_mul_lo_u32 v7, v5, s48
	s_load_b64 s[48:49], s[2:3], 0xe8
	s_add_u32 s2, s2, 24
	s_addc_u32 s3, s3, 0
	s_add_i32 s43, s43, -2
	s_delay_alu instid0(SALU_CYCLE_1) | instskip(NEXT) | instid1(VALU_DEP_2)
	s_cmp_eq_u32 s43, 0
	v_add_nc_u32_e32 v6, v5, v6
	s_delay_alu instid0(VALU_DEP_2) | instskip(NEXT) | instid1(VALU_DEP_2)
	v_sub_nc_u32_e32 v7, v3, v7
	v_lshrrev_b32_e32 v3, s47, v6
	s_delay_alu instid0(VALU_DEP_2) | instskip(NEXT) | instid1(VALU_DEP_2)
	v_mul_lo_u32 v8, v7, s52
	v_mul_lo_u32 v6, v3, s51
	s_delay_alu instid0(VALU_DEP_1) | instskip(SKIP_2) | instid1(VALU_DEP_3)
	v_sub_nc_u32_e32 v5, v5, v6
	v_mul_lo_u32 v6, v7, s53
	v_mul_lo_u32 v7, v7, s54
	;; [unrolled: 1-line block ×3, first 2 shown]
	s_waitcnt lgkmcnt(0)
	v_mul_lo_u32 v10, v5, s48
	v_mul_lo_u32 v5, v5, s49
	s_delay_alu instid0(VALU_DEP_3) | instskip(NEXT) | instid1(VALU_DEP_3)
	v_add3_u32 v0, v8, v0, v9
	v_add3_u32 v2, v6, v2, v10
	s_delay_alu instid0(VALU_DEP_3)
	v_add3_u32 v1, v7, v1, v5
	s_cbranch_scc0 .LBB135_390
; %bb.391:
	s_set_inst_prefetch_distance 0x2
	s_bitcmp1_b32 s35, 0
	s_cselect_b32 s43, -1, 0
	s_delay_alu instid0(SALU_CYCLE_1)
	s_and_b32 vcc_lo, exec_lo, s43
	s_cbranch_vccnz .LBB135_394
; %bb.392:
	s_clause 0x3
	s_load_b64 s[46:47], s[2:3], 0x18
	s_load_b32 s43, s[2:3], 0x20
	s_load_b64 s[48:49], s[2:3], 0xd8
	s_load_b32 s2, s[2:3], 0xe0
	s_waitcnt lgkmcnt(0)
	v_mul_hi_u32 v5, s47, v3
	s_delay_alu instid0(VALU_DEP_1) | instskip(NEXT) | instid1(VALU_DEP_1)
	v_add_nc_u32_e32 v5, v3, v5
	v_lshrrev_b32_e32 v5, s43, v5
	s_delay_alu instid0(VALU_DEP_1) | instskip(NEXT) | instid1(VALU_DEP_1)
	v_mul_lo_u32 v5, v5, s46
	v_sub_nc_u32_e32 v3, v3, v5
	s_delay_alu instid0(VALU_DEP_1) | instskip(SKIP_2) | instid1(VALU_DEP_3)
	v_mad_u64_u32 v[5:6], null, v3, s48, v[0:1]
	v_mad_u64_u32 v[6:7], null, v3, s49, v[2:3]
	v_mad_u64_u32 v[7:8], null, v3, s2, v[1:2]
	v_mov_b32_e32 v0, v5
	s_delay_alu instid0(VALU_DEP_2)
	v_dual_mov_b32 v2, v6 :: v_dual_mov_b32 v1, v7
	s_branch .LBB135_394
.LBB135_393:
	s_mov_b32 s42, -1
                                        ; implicit-def: $vgpr0
                                        ; implicit-def: $vgpr2
                                        ; implicit-def: $vgpr1
.LBB135_394:
	s_delay_alu instid0(SALU_CYCLE_1)
	s_and_not1_b32 vcc_lo, exec_lo, s42
	s_cbranch_vccnz .LBB135_397
; %bb.395:
	v_mul_hi_u32 v0, s17, v4
	s_and_not1_b32 vcc_lo, exec_lo, s34
	s_delay_alu instid0(VALU_DEP_1) | instskip(NEXT) | instid1(VALU_DEP_1)
	v_add_nc_u32_e32 v0, v4, v0
	v_lshrrev_b32_e32 v3, s18, v0
	s_delay_alu instid0(VALU_DEP_1) | instskip(NEXT) | instid1(VALU_DEP_1)
	v_mul_lo_u32 v0, v3, s16
	v_sub_nc_u32_e32 v1, v4, v0
	s_delay_alu instid0(VALU_DEP_1)
	v_mul_lo_u32 v0, v1, s12
	v_mul_lo_u32 v2, v1, s13
	;; [unrolled: 1-line block ×3, first 2 shown]
	s_cbranch_vccnz .LBB135_397
; %bb.396:
	s_waitcnt vmcnt(0)
	v_mul_hi_u32 v5, s24, v3
	s_delay_alu instid0(VALU_DEP_1) | instskip(NEXT) | instid1(VALU_DEP_1)
	v_add_nc_u32_e32 v5, v3, v5
	v_lshrrev_b32_e32 v5, s25, v5
	s_delay_alu instid0(VALU_DEP_1) | instskip(NEXT) | instid1(VALU_DEP_1)
	v_mul_lo_u32 v5, v5, s19
	v_sub_nc_u32_e32 v3, v3, v5
	s_delay_alu instid0(VALU_DEP_1) | instskip(SKIP_2) | instid1(VALU_DEP_3)
	v_mad_u64_u32 v[5:6], null, v3, s15, v[0:1]
	v_mad_u64_u32 v[6:7], null, v3, s22, v[2:3]
	;; [unrolled: 1-line block ×3, first 2 shown]
	v_mov_b32_e32 v0, v5
	s_delay_alu instid0(VALU_DEP_2)
	v_dual_mov_b32 v2, v6 :: v_dual_mov_b32 v1, v7
.LBB135_397:
	v_and_b32_e64 v6, 0xff, s33
	s_delay_alu instid0(VALU_DEP_2) | instskip(NEXT) | instid1(VALU_DEP_1)
	v_add_co_u32 v2, s2, s6, v2
	v_add_co_ci_u32_e64 v3, null, s7, 0, s2
	s_delay_alu instid0(VALU_DEP_3)
	v_cmp_gt_i16_e32 vcc_lo, 11, v6
	s_mov_b32 s2, 0
	s_cbranch_vccnz .LBB135_404
; %bb.398:
	v_cmp_lt_i16_e32 vcc_lo, 25, v6
	s_cbranch_vccz .LBB135_413
; %bb.399:
	v_cmp_lt_i16_e32 vcc_lo, 28, v6
	s_cbranch_vccz .LBB135_415
	;; [unrolled: 3-line block ×4, first 2 shown]
; %bb.402:
	v_cmp_eq_u16_e32 vcc_lo, 46, v6
	s_mov_b32 s42, 0
	s_cbranch_vccz .LBB135_423
; %bb.403:
	global_load_b32 v5, v[2:3], off
	s_mov_b32 s2, -1
	s_mov_b32 s3, 0
	s_waitcnt vmcnt(0)
	v_lshlrev_b32_e32 v5, 16, v5
	s_delay_alu instid0(VALU_DEP_1)
	v_cvt_f16_f32_e32 v5, v5
	s_branch .LBB135_425
.LBB135_404:
	s_mov_b32 s3, s40
                                        ; implicit-def: $vgpr5
	s_cbranch_execnz .LBB135_491
.LBB135_405:
	s_and_not1_b32 vcc_lo, exec_lo, s2
	s_cbranch_vccnz .LBB135_539
.LBB135_406:
	v_and_b32_e64 v3, 0xff, s31
	v_add_co_u32 v1, s2, s8, v1
	s_delay_alu instid0(VALU_DEP_1) | instskip(NEXT) | instid1(VALU_DEP_3)
	v_add_co_ci_u32_e64 v2, null, s9, 0, s2
	v_cmp_gt_i16_e32 vcc_lo, 11, v3
	s_mov_b32 s2, 0
	s_cbranch_vccnz .LBB135_414
; %bb.407:
	v_cmp_lt_i16_e32 vcc_lo, 25, v3
	s_cbranch_vccz .LBB135_416
; %bb.408:
	v_cmp_lt_i16_e32 vcc_lo, 28, v3
	s_cbranch_vccz .LBB135_418
	;; [unrolled: 3-line block ×4, first 2 shown]
; %bb.411:
	v_cmp_eq_u16_e32 vcc_lo, 46, v3
	s_mov_b32 s44, 0
	s_cbranch_vccz .LBB135_542
; %bb.412:
	global_load_b32 v6, v[1:2], off
	s_mov_b32 s42, 0
	s_mov_b32 s2, -1
	s_waitcnt vmcnt(0)
	v_and_b32_e32 v6, 0x7fff7fff, v6
	s_delay_alu instid0(VALU_DEP_1)
	v_cmp_ne_u32_e32 vcc_lo, 0, v6
	s_and_b32 s43, vcc_lo, exec_lo
	s_branch .LBB135_544
.LBB135_413:
	s_mov_b32 s42, -1
	s_mov_b32 s3, s40
                                        ; implicit-def: $vgpr5
	s_branch .LBB135_455
.LBB135_414:
	s_mov_b32 s44, -1
	s_mov_b32 s42, s39
                                        ; implicit-def: $sgpr43
	s_branch .LBB135_607
.LBB135_415:
	s_mov_b32 s42, -1
	s_mov_b32 s3, s40
                                        ; implicit-def: $vgpr5
	s_branch .LBB135_436
.LBB135_416:
	s_mov_b32 s44, -1
	s_mov_b32 s42, s39
                                        ; implicit-def: $sgpr43
	s_branch .LBB135_571
.LBB135_417:
	s_mov_b32 s42, -1
	s_mov_b32 s3, s40
                                        ; implicit-def: $vgpr5
	s_branch .LBB135_431
.LBB135_418:
	s_mov_b32 s44, -1
	s_mov_b32 s42, s39
                                        ; implicit-def: $sgpr43
	s_branch .LBB135_552
.LBB135_419:
	s_mov_b32 s42, -1
	s_mov_b32 s3, s40
	s_branch .LBB135_424
.LBB135_420:
	s_mov_b32 s44, -1
	s_mov_b32 s42, s39
                                        ; implicit-def: $sgpr43
	s_branch .LBB135_547
.LBB135_421:
	s_or_saveexec_b32 s40, s40
                                        ; implicit-def: $sgpr43
	s_delay_alu instid0(SALU_CYCLE_1)
	s_xor_b32 exec_lo, exec_lo, s40
	s_cbranch_execz .LBB135_59
.LBB135_422:
	v_add_f32_e64 v6, 0x46000000, |v5|
	s_and_not1_b32 s39, s39, exec_lo
	s_mov_b32 s43, 0
	s_delay_alu instid0(VALU_DEP_1) | instskip(NEXT) | instid1(VALU_DEP_1)
	v_and_b32_e32 v6, 0xff, v6
	v_cmp_ne_u32_e32 vcc_lo, 0, v6
	s_and_b32 s44, vcc_lo, exec_lo
	s_delay_alu instid0(SALU_CYCLE_1)
	s_or_b32 s39, s39, s44
	s_or_b32 exec_lo, exec_lo, s40
	v_mov_b32_e32 v7, s43
	s_and_saveexec_b32 s40, s39
	s_cbranch_execnz .LBB135_60
	s_branch .LBB135_61
.LBB135_423:
	s_mov_b32 s3, -1
.LBB135_424:
                                        ; implicit-def: $vgpr5
.LBB135_425:
	s_and_b32 vcc_lo, exec_lo, s42
	s_cbranch_vccz .LBB135_430
; %bb.426:
	v_cmp_eq_u16_e32 vcc_lo, 44, v6
	s_cbranch_vccz .LBB135_429
; %bb.427:
	global_load_u8 v5, v[2:3], off
	s_mov_b32 s3, 0
	s_mov_b32 s2, -1
	s_waitcnt vmcnt(0)
	v_lshlrev_b32_e32 v7, 23, v5
	v_cmp_ne_u32_e32 vcc_lo, 0xff, v5
	s_delay_alu instid0(VALU_DEP_2) | instskip(NEXT) | instid1(VALU_DEP_1)
	v_cvt_f16_f32_e32 v7, v7
	v_cndmask_b32_e32 v7, 0x7e00, v7, vcc_lo
	v_cmp_ne_u32_e32 vcc_lo, 0, v5
	s_delay_alu instid0(VALU_DEP_2)
	v_cndmask_b32_e32 v5, 0, v7, vcc_lo
	s_branch .LBB135_430
.LBB135_428:
	s_mov_b32 s44, -1
	s_mov_b32 s42, s39
	s_branch .LBB135_543
.LBB135_429:
	s_mov_b32 s3, -1
                                        ; implicit-def: $vgpr5
.LBB135_430:
	s_mov_b32 s42, 0
.LBB135_431:
	s_delay_alu instid0(SALU_CYCLE_1)
	s_and_b32 vcc_lo, exec_lo, s42
	s_cbranch_vccz .LBB135_435
; %bb.432:
	v_cmp_eq_u16_e32 vcc_lo, 29, v6
	s_cbranch_vccz .LBB135_434
; %bb.433:
	global_load_b64 v[7:8], v[2:3], off
	s_mov_b32 s2, -1
	s_mov_b32 s3, 0
	s_mov_b32 s42, 0
	s_waitcnt vmcnt(0)
	v_clz_i32_u32_e32 v5, v8
	s_delay_alu instid0(VALU_DEP_1) | instskip(NEXT) | instid1(VALU_DEP_1)
	v_min_u32_e32 v5, 32, v5
	v_lshlrev_b64 v[7:8], v5, v[7:8]
	v_sub_nc_u32_e32 v5, 32, v5
	s_delay_alu instid0(VALU_DEP_2) | instskip(NEXT) | instid1(VALU_DEP_1)
	v_min_u32_e32 v7, 1, v7
	v_or_b32_e32 v7, v8, v7
	s_delay_alu instid0(VALU_DEP_1) | instskip(NEXT) | instid1(VALU_DEP_1)
	v_cvt_f32_u32_e32 v7, v7
	v_ldexp_f32 v5, v7, v5
	s_delay_alu instid0(VALU_DEP_1)
	v_cvt_f16_f32_e32 v5, v5
	s_branch .LBB135_436
.LBB135_434:
	s_mov_b32 s3, -1
                                        ; implicit-def: $vgpr5
.LBB135_435:
	s_mov_b32 s42, 0
.LBB135_436:
	s_delay_alu instid0(SALU_CYCLE_1)
	s_and_b32 vcc_lo, exec_lo, s42
	s_cbranch_vccz .LBB135_454
; %bb.437:
	v_cmp_gt_i16_e32 vcc_lo, 27, v6
	s_cbranch_vccnz .LBB135_440
; %bb.438:
	v_cmp_lt_i16_e32 vcc_lo, 27, v6
	s_cbranch_vccz .LBB135_441
; %bb.439:
	global_load_b32 v5, v[2:3], off
	s_mov_b32 s2, 0
	s_waitcnt vmcnt(0)
	v_cvt_f32_u32_e32 v5, v5
	s_delay_alu instid0(VALU_DEP_1)
	v_cvt_f16_f32_e32 v5, v5
	s_branch .LBB135_442
.LBB135_440:
	s_mov_b32 s2, -1
                                        ; implicit-def: $vgpr5
	s_branch .LBB135_445
.LBB135_441:
	s_mov_b32 s2, -1
                                        ; implicit-def: $vgpr5
.LBB135_442:
	s_delay_alu instid0(SALU_CYCLE_1)
	s_and_not1_b32 vcc_lo, exec_lo, s2
	s_cbranch_vccnz .LBB135_444
; %bb.443:
	global_load_u16 v5, v[2:3], off
	s_waitcnt vmcnt(0)
	v_cvt_f16_u16_e32 v5, v5
.LBB135_444:
	s_mov_b32 s2, 0
.LBB135_445:
	s_delay_alu instid0(SALU_CYCLE_1)
	s_and_not1_b32 vcc_lo, exec_lo, s2
	s_cbranch_vccnz .LBB135_453
; %bb.446:
	global_load_u8 v7, v[2:3], off
	s_mov_b32 s2, 0
	s_mov_b32 s43, exec_lo
                                        ; implicit-def: $sgpr42
	s_waitcnt vmcnt(0)
	v_cmpx_lt_i16_e32 0x7f, v7
	s_xor_b32 s43, exec_lo, s43
	s_cbranch_execz .LBB135_467
; %bb.447:
	s_mov_b32 s2, -1
	s_mov_b32 s44, exec_lo
                                        ; implicit-def: $sgpr42
	v_cmpx_eq_u16_e32 0x80, v7
; %bb.448:
	s_movk_i32 s42, 0x7e00
	s_xor_b32 s2, exec_lo, -1
; %bb.449:
	s_or_b32 exec_lo, exec_lo, s44
	s_delay_alu instid0(SALU_CYCLE_1)
	s_and_b32 s2, s2, exec_lo
	s_or_saveexec_b32 s43, s43
	v_mov_b32_e32 v5, s42
	s_xor_b32 exec_lo, exec_lo, s43
	s_cbranch_execnz .LBB135_468
.LBB135_450:
	s_or_b32 exec_lo, exec_lo, s43
	s_and_saveexec_b32 s42, s2
	s_cbranch_execz .LBB135_452
.LBB135_451:
	v_and_b32_e32 v5, 0xffff, v7
	v_lshlrev_b32_e32 v7, 24, v7
	s_delay_alu instid0(VALU_DEP_2) | instskip(NEXT) | instid1(VALU_DEP_2)
	v_and_b32_e32 v8, 7, v5
	v_and_b32_e32 v7, 0x80000000, v7
	s_delay_alu instid0(VALU_DEP_2) | instskip(NEXT) | instid1(VALU_DEP_1)
	v_clz_i32_u32_e32 v9, v8
	v_min_u32_e32 v9, 32, v9
	s_delay_alu instid0(VALU_DEP_1) | instskip(SKIP_1) | instid1(VALU_DEP_2)
	v_subrev_nc_u32_e32 v10, 28, v9
	v_sub_nc_u32_e32 v9, 29, v9
	v_lshlrev_b32_e32 v10, v10, v5
	v_bfe_u32 v5, v5, 3, 4
	s_delay_alu instid0(VALU_DEP_1) | instskip(NEXT) | instid1(VALU_DEP_3)
	v_cmp_eq_u32_e32 vcc_lo, 0, v5
	v_dual_cndmask_b32 v5, v5, v9 :: v_dual_and_b32 v10, 7, v10
	s_delay_alu instid0(VALU_DEP_1) | instskip(NEXT) | instid1(VALU_DEP_2)
	v_cndmask_b32_e32 v8, v8, v10, vcc_lo
	v_lshl_add_u32 v5, v5, 23, 0x3b800000
	s_delay_alu instid0(VALU_DEP_2) | instskip(NEXT) | instid1(VALU_DEP_1)
	v_lshlrev_b32_e32 v8, 20, v8
	v_or3_b32 v5, v7, v5, v8
	s_delay_alu instid0(VALU_DEP_1)
	v_cvt_f16_f32_e32 v5, v5
.LBB135_452:
	s_or_b32 exec_lo, exec_lo, s42
.LBB135_453:
	s_mov_b32 s2, -1
.LBB135_454:
	s_mov_b32 s42, 0
.LBB135_455:
	s_delay_alu instid0(SALU_CYCLE_1)
	s_and_b32 vcc_lo, exec_lo, s42
	s_cbranch_vccz .LBB135_490
; %bb.456:
	v_cmp_lt_i16_e32 vcc_lo, 22, v6
	s_cbranch_vccz .LBB135_466
; %bb.457:
	v_cmp_gt_i16_e32 vcc_lo, 24, v6
	s_cbranch_vccnz .LBB135_469
; %bb.458:
	v_cmp_lt_i16_e32 vcc_lo, 24, v6
	s_cbranch_vccz .LBB135_470
; %bb.459:
	global_load_u8 v7, v[2:3], off
	s_mov_b32 s2, 0
	s_mov_b32 s43, exec_lo
                                        ; implicit-def: $sgpr42
	s_waitcnt vmcnt(0)
	v_cmpx_lt_i16_e32 0x7f, v7
	s_xor_b32 s43, exec_lo, s43
	s_cbranch_execz .LBB135_482
; %bb.460:
	s_mov_b32 s2, -1
	s_mov_b32 s44, exec_lo
                                        ; implicit-def: $sgpr42
	v_cmpx_eq_u16_e32 0x80, v7
; %bb.461:
	s_movk_i32 s42, 0x7e00
	s_xor_b32 s2, exec_lo, -1
; %bb.462:
	s_or_b32 exec_lo, exec_lo, s44
	s_delay_alu instid0(SALU_CYCLE_1)
	s_and_b32 s2, s2, exec_lo
	s_or_saveexec_b32 s43, s43
	v_mov_b32_e32 v5, s42
	s_xor_b32 exec_lo, exec_lo, s43
	s_cbranch_execnz .LBB135_483
.LBB135_463:
	s_or_b32 exec_lo, exec_lo, s43
	s_and_saveexec_b32 s42, s2
	s_cbranch_execz .LBB135_465
.LBB135_464:
	v_and_b32_e32 v5, 0xffff, v7
	v_lshlrev_b32_e32 v7, 24, v7
	s_delay_alu instid0(VALU_DEP_2) | instskip(NEXT) | instid1(VALU_DEP_2)
	v_and_b32_e32 v8, 3, v5
	v_and_b32_e32 v7, 0x80000000, v7
	s_delay_alu instid0(VALU_DEP_2) | instskip(NEXT) | instid1(VALU_DEP_1)
	v_clz_i32_u32_e32 v9, v8
	v_min_u32_e32 v9, 32, v9
	s_delay_alu instid0(VALU_DEP_1) | instskip(SKIP_1) | instid1(VALU_DEP_2)
	v_subrev_nc_u32_e32 v10, 29, v9
	v_sub_nc_u32_e32 v9, 30, v9
	v_lshlrev_b32_e32 v10, v10, v5
	v_bfe_u32 v5, v5, 2, 5
	s_delay_alu instid0(VALU_DEP_1) | instskip(NEXT) | instid1(VALU_DEP_3)
	v_cmp_eq_u32_e32 vcc_lo, 0, v5
	v_dual_cndmask_b32 v5, v5, v9 :: v_dual_and_b32 v10, 3, v10
	s_delay_alu instid0(VALU_DEP_1) | instskip(NEXT) | instid1(VALU_DEP_2)
	v_cndmask_b32_e32 v8, v8, v10, vcc_lo
	v_lshl_add_u32 v5, v5, 23, 0x37800000
	s_delay_alu instid0(VALU_DEP_2) | instskip(NEXT) | instid1(VALU_DEP_1)
	v_lshlrev_b32_e32 v8, 21, v8
	v_or3_b32 v5, v7, v5, v8
	s_delay_alu instid0(VALU_DEP_1)
	v_cvt_f16_f32_e32 v5, v5
.LBB135_465:
	s_or_b32 exec_lo, exec_lo, s42
	s_mov_b32 s2, 0
	s_branch .LBB135_471
.LBB135_466:
	s_mov_b32 s42, -1
                                        ; implicit-def: $vgpr5
	s_branch .LBB135_477
.LBB135_467:
	s_or_saveexec_b32 s43, s43
	v_mov_b32_e32 v5, s42
	s_xor_b32 exec_lo, exec_lo, s43
	s_cbranch_execz .LBB135_450
.LBB135_468:
	v_cmp_ne_u16_e32 vcc_lo, 0, v7
	v_mov_b32_e32 v5, v7
	s_and_not1_b32 s2, s2, exec_lo
	s_and_b32 s42, vcc_lo, exec_lo
	s_delay_alu instid0(SALU_CYCLE_1)
	s_or_b32 s2, s2, s42
	s_or_b32 exec_lo, exec_lo, s43
	s_and_saveexec_b32 s42, s2
	s_cbranch_execnz .LBB135_451
	s_branch .LBB135_452
.LBB135_469:
	s_mov_b32 s2, -1
                                        ; implicit-def: $vgpr5
	s_branch .LBB135_474
.LBB135_470:
	s_mov_b32 s2, -1
                                        ; implicit-def: $vgpr5
.LBB135_471:
	s_delay_alu instid0(SALU_CYCLE_1)
	s_and_b32 vcc_lo, exec_lo, s2
	s_cbranch_vccz .LBB135_473
; %bb.472:
	global_load_u8 v5, v[2:3], off
	s_waitcnt vmcnt(0)
	v_lshlrev_b32_e32 v5, 24, v5
	s_delay_alu instid0(VALU_DEP_1) | instskip(NEXT) | instid1(VALU_DEP_1)
	v_and_b32_e32 v7, 0x7f000000, v5
	v_clz_i32_u32_e32 v8, v7
	v_cmp_ne_u32_e32 vcc_lo, 0, v7
	v_add_nc_u32_e32 v10, 0x1000000, v7
	s_delay_alu instid0(VALU_DEP_3) | instskip(NEXT) | instid1(VALU_DEP_1)
	v_min_u32_e32 v8, 32, v8
	v_sub_nc_u32_e64 v8, v8, 4 clamp
	s_delay_alu instid0(VALU_DEP_1) | instskip(SKIP_1) | instid1(VALU_DEP_2)
	v_lshlrev_b32_e32 v9, v8, v7
	v_lshlrev_b32_e32 v8, 23, v8
	v_lshrrev_b32_e32 v9, 4, v9
	s_delay_alu instid0(VALU_DEP_1) | instskip(SKIP_1) | instid1(VALU_DEP_2)
	v_sub_nc_u32_e32 v8, v9, v8
	v_ashrrev_i32_e32 v9, 8, v10
	v_add_nc_u32_e32 v8, 0x3c000000, v8
	s_delay_alu instid0(VALU_DEP_1) | instskip(NEXT) | instid1(VALU_DEP_1)
	v_and_or_b32 v8, 0x7f800000, v9, v8
	v_cndmask_b32_e32 v7, 0, v8, vcc_lo
	s_delay_alu instid0(VALU_DEP_1) | instskip(NEXT) | instid1(VALU_DEP_1)
	v_and_or_b32 v5, 0x80000000, v5, v7
	v_cvt_f16_f32_e32 v5, v5
.LBB135_473:
	s_mov_b32 s2, 0
.LBB135_474:
	s_delay_alu instid0(SALU_CYCLE_1)
	s_and_not1_b32 vcc_lo, exec_lo, s2
	s_cbranch_vccnz .LBB135_476
; %bb.475:
	global_load_u8 v5, v[2:3], off
	s_waitcnt vmcnt(0)
	v_lshlrev_b32_e32 v7, 25, v5
	v_lshlrev_b16 v5, 8, v5
	s_delay_alu instid0(VALU_DEP_2) | instskip(NEXT) | instid1(VALU_DEP_2)
	v_lshrrev_b32_e32 v8, 4, v7
	v_and_or_b32 v9, 0x7f00, v5, 0.5
	v_bfe_i32 v5, v5, 0, 16
	s_delay_alu instid0(VALU_DEP_3) | instskip(NEXT) | instid1(VALU_DEP_1)
	v_or_b32_e32 v8, 0x70000000, v8
	v_dual_add_f32 v9, -0.5, v9 :: v_dual_mul_f32 v8, 0x7800000, v8
	v_cmp_gt_u32_e32 vcc_lo, 0x8000000, v7
	s_delay_alu instid0(VALU_DEP_2) | instskip(NEXT) | instid1(VALU_DEP_1)
	v_cndmask_b32_e32 v7, v8, v9, vcc_lo
	v_and_or_b32 v5, 0x80000000, v5, v7
	s_delay_alu instid0(VALU_DEP_1)
	v_cvt_f16_f32_e32 v5, v5
.LBB135_476:
	s_mov_b32 s42, 0
	s_mov_b32 s2, -1
.LBB135_477:
	s_and_not1_b32 vcc_lo, exec_lo, s42
	s_cbranch_vccnz .LBB135_490
; %bb.478:
	v_cmp_lt_i16_e32 vcc_lo, 14, v6
	s_cbranch_vccz .LBB135_481
; %bb.479:
	v_cmp_eq_u16_e32 vcc_lo, 15, v6
	s_cbranch_vccz .LBB135_484
; %bb.480:
	global_load_u16 v5, v[2:3], off
	s_mov_b32 s2, -1
	s_mov_b32 s3, 0
	s_waitcnt vmcnt(0)
	v_lshlrev_b32_e32 v5, 16, v5
	s_delay_alu instid0(VALU_DEP_1)
	v_cvt_f16_f32_e32 v5, v5
	s_branch .LBB135_485
.LBB135_481:
	s_mov_b32 s42, -1
                                        ; implicit-def: $vgpr5
	s_branch .LBB135_486
.LBB135_482:
	s_or_saveexec_b32 s43, s43
	v_mov_b32_e32 v5, s42
	s_xor_b32 exec_lo, exec_lo, s43
	s_cbranch_execz .LBB135_463
.LBB135_483:
	v_cmp_ne_u16_e32 vcc_lo, 0, v7
	v_mov_b32_e32 v5, v7
	s_and_not1_b32 s2, s2, exec_lo
	s_and_b32 s42, vcc_lo, exec_lo
	s_delay_alu instid0(SALU_CYCLE_1)
	s_or_b32 s2, s2, s42
	s_or_b32 exec_lo, exec_lo, s43
	s_and_saveexec_b32 s42, s2
	s_cbranch_execnz .LBB135_464
	s_branch .LBB135_465
.LBB135_484:
	s_mov_b32 s3, -1
                                        ; implicit-def: $vgpr5
.LBB135_485:
	s_mov_b32 s42, 0
.LBB135_486:
	s_delay_alu instid0(SALU_CYCLE_1)
	s_and_b32 vcc_lo, exec_lo, s42
	s_cbranch_vccz .LBB135_490
; %bb.487:
	v_cmp_eq_u16_e32 vcc_lo, 11, v6
	s_cbranch_vccz .LBB135_489
; %bb.488:
	global_load_u8 v5, v[2:3], off
	s_mov_b32 s3, 0
	s_mov_b32 s2, -1
	s_waitcnt vmcnt(0)
	v_cmp_ne_u16_e32 vcc_lo, 0, v5
	v_cndmask_b32_e64 v5, 0, 0x3c00, vcc_lo
	s_branch .LBB135_490
.LBB135_489:
	s_mov_b32 s3, -1
                                        ; implicit-def: $vgpr5
.LBB135_490:
	s_branch .LBB135_405
.LBB135_491:
	v_cmp_gt_i16_e32 vcc_lo, 5, v6
	s_cbranch_vccnz .LBB135_496
; %bb.492:
	v_cmp_gt_i16_e32 vcc_lo, 8, v6
	s_cbranch_vccnz .LBB135_497
; %bb.493:
	;; [unrolled: 3-line block ×3, first 2 shown]
	v_cmp_lt_i16_e32 vcc_lo, 9, v6
	s_cbranch_vccz .LBB135_499
; %bb.495:
	global_load_b64 v[7:8], v[2:3], off
	s_mov_b32 s2, 0
	s_waitcnt vmcnt(0)
	v_cvt_f32_f64_e32 v5, v[7:8]
	s_delay_alu instid0(VALU_DEP_1)
	v_cvt_f16_f32_e32 v5, v5
	s_branch .LBB135_500
.LBB135_496:
	s_mov_b32 s2, -1
                                        ; implicit-def: $vgpr5
	s_branch .LBB135_518
.LBB135_497:
	s_mov_b32 s2, -1
                                        ; implicit-def: $vgpr5
	s_branch .LBB135_506
.LBB135_498:
	s_mov_b32 s2, -1
                                        ; implicit-def: $vgpr5
	s_branch .LBB135_503
.LBB135_499:
	s_mov_b32 s2, -1
                                        ; implicit-def: $vgpr5
.LBB135_500:
	s_delay_alu instid0(SALU_CYCLE_1)
	s_and_not1_b32 vcc_lo, exec_lo, s2
	s_cbranch_vccnz .LBB135_502
; %bb.501:
	global_load_b32 v5, v[2:3], off
	s_waitcnt vmcnt(0)
	v_cvt_f16_f32_e32 v5, v5
.LBB135_502:
	s_mov_b32 s2, 0
.LBB135_503:
	s_delay_alu instid0(SALU_CYCLE_1)
	s_and_not1_b32 vcc_lo, exec_lo, s2
	s_cbranch_vccnz .LBB135_505
; %bb.504:
	global_load_b32 v5, v[2:3], off
.LBB135_505:
	s_mov_b32 s2, 0
.LBB135_506:
	s_delay_alu instid0(SALU_CYCLE_1)
	s_and_not1_b32 vcc_lo, exec_lo, s2
	s_cbranch_vccnz .LBB135_517
; %bb.507:
	v_cmp_gt_i16_e32 vcc_lo, 6, v6
	s_cbranch_vccnz .LBB135_510
; %bb.508:
	v_cmp_lt_i16_e32 vcc_lo, 6, v6
	s_cbranch_vccz .LBB135_511
; %bb.509:
	global_load_b64 v[7:8], v[2:3], off
	s_mov_b32 s2, 0
	s_waitcnt vmcnt(0)
	v_cvt_f32_f64_e32 v5, v[7:8]
	s_delay_alu instid0(VALU_DEP_1)
	v_cvt_f16_f32_e32 v5, v5
	s_branch .LBB135_512
.LBB135_510:
	s_mov_b32 s2, -1
                                        ; implicit-def: $vgpr5
	s_branch .LBB135_515
.LBB135_511:
	s_mov_b32 s2, -1
                                        ; implicit-def: $vgpr5
.LBB135_512:
	s_delay_alu instid0(SALU_CYCLE_1)
	s_and_not1_b32 vcc_lo, exec_lo, s2
	s_cbranch_vccnz .LBB135_514
; %bb.513:
	global_load_b32 v5, v[2:3], off
	s_waitcnt vmcnt(0)
	v_cvt_f16_f32_e32 v5, v5
.LBB135_514:
	s_mov_b32 s2, 0
.LBB135_515:
	s_delay_alu instid0(SALU_CYCLE_1)
	s_and_not1_b32 vcc_lo, exec_lo, s2
	s_cbranch_vccnz .LBB135_517
; %bb.516:
	global_load_u16 v5, v[2:3], off
.LBB135_517:
	s_mov_b32 s2, 0
.LBB135_518:
	s_delay_alu instid0(SALU_CYCLE_1)
	s_and_not1_b32 vcc_lo, exec_lo, s2
	s_cbranch_vccnz .LBB135_538
; %bb.519:
	v_cmp_gt_i16_e32 vcc_lo, 2, v6
	s_cbranch_vccnz .LBB135_523
; %bb.520:
	v_cmp_gt_i16_e32 vcc_lo, 3, v6
	s_cbranch_vccnz .LBB135_524
; %bb.521:
	v_cmp_lt_i16_e32 vcc_lo, 3, v6
	s_cbranch_vccz .LBB135_525
; %bb.522:
	global_load_b64 v[7:8], v[2:3], off
	s_mov_b32 s2, 0
	s_waitcnt vmcnt(0)
	v_xor_b32_e32 v5, v7, v8
	v_cls_i32_e32 v9, v8
	s_delay_alu instid0(VALU_DEP_2) | instskip(NEXT) | instid1(VALU_DEP_2)
	v_ashrrev_i32_e32 v5, 31, v5
	v_add_nc_u32_e32 v9, -1, v9
	s_delay_alu instid0(VALU_DEP_2) | instskip(NEXT) | instid1(VALU_DEP_1)
	v_add_nc_u32_e32 v5, 32, v5
	v_min_u32_e32 v5, v9, v5
	s_delay_alu instid0(VALU_DEP_1) | instskip(SKIP_1) | instid1(VALU_DEP_2)
	v_lshlrev_b64 v[7:8], v5, v[7:8]
	v_sub_nc_u32_e32 v5, 32, v5
	v_min_u32_e32 v7, 1, v7
	s_delay_alu instid0(VALU_DEP_1) | instskip(NEXT) | instid1(VALU_DEP_1)
	v_or_b32_e32 v7, v8, v7
	v_cvt_f32_i32_e32 v7, v7
	s_delay_alu instid0(VALU_DEP_1) | instskip(NEXT) | instid1(VALU_DEP_1)
	v_ldexp_f32 v5, v7, v5
	v_cvt_f16_f32_e32 v5, v5
	s_branch .LBB135_526
.LBB135_523:
	s_mov_b32 s2, -1
                                        ; implicit-def: $vgpr5
	s_branch .LBB135_532
.LBB135_524:
	s_mov_b32 s2, -1
                                        ; implicit-def: $vgpr5
	s_branch .LBB135_529
.LBB135_525:
	s_mov_b32 s2, -1
                                        ; implicit-def: $vgpr5
.LBB135_526:
	s_delay_alu instid0(SALU_CYCLE_1)
	s_and_not1_b32 vcc_lo, exec_lo, s2
	s_cbranch_vccnz .LBB135_528
; %bb.527:
	global_load_b32 v5, v[2:3], off
	s_waitcnt vmcnt(0)
	v_cvt_f32_i32_e32 v5, v5
	s_delay_alu instid0(VALU_DEP_1)
	v_cvt_f16_f32_e32 v5, v5
.LBB135_528:
	s_mov_b32 s2, 0
.LBB135_529:
	s_delay_alu instid0(SALU_CYCLE_1)
	s_and_not1_b32 vcc_lo, exec_lo, s2
	s_cbranch_vccnz .LBB135_531
; %bb.530:
	global_load_u16 v5, v[2:3], off
	s_waitcnt vmcnt(0)
	v_cvt_f16_i16_e32 v5, v5
.LBB135_531:
	s_mov_b32 s2, 0
.LBB135_532:
	s_delay_alu instid0(SALU_CYCLE_1)
	s_and_not1_b32 vcc_lo, exec_lo, s2
	s_cbranch_vccnz .LBB135_538
; %bb.533:
	v_cmp_lt_i16_e32 vcc_lo, 0, v6
	s_mov_b32 s2, 0
	s_cbranch_vccz .LBB135_535
; %bb.534:
	global_load_i8 v5, v[2:3], off
	s_waitcnt vmcnt(0)
	v_cvt_f16_i16_e32 v5, v5
	s_branch .LBB135_536
.LBB135_535:
	s_mov_b32 s2, -1
                                        ; implicit-def: $vgpr5
.LBB135_536:
	s_delay_alu instid0(SALU_CYCLE_1)
	s_and_not1_b32 vcc_lo, exec_lo, s2
	s_cbranch_vccnz .LBB135_538
; %bb.537:
	global_load_u8 v2, v[2:3], off
	s_waitcnt vmcnt(0)
	v_cvt_f16_u16_e32 v5, v2
.LBB135_538:
	s_branch .LBB135_406
.LBB135_539:
	s_mov_b32 s46, 0
	s_mov_b32 s2, s38
	;; [unrolled: 1-line block ×3, first 2 shown]
	s_branch .LBB135_705
.LBB135_540:
	s_or_saveexec_b32 s40, s40
                                        ; implicit-def: $sgpr43
	s_delay_alu instid0(SALU_CYCLE_1)
	s_xor_b32 exec_lo, exec_lo, s40
	s_cbranch_execz .LBB135_72
.LBB135_541:
	v_add_f32_e64 v6, 0x42800000, |v5|
	s_and_not1_b32 s39, s39, exec_lo
	s_mov_b32 s43, 0
	s_delay_alu instid0(VALU_DEP_1) | instskip(NEXT) | instid1(VALU_DEP_1)
	v_and_b32_e32 v6, 0xff, v6
	v_cmp_ne_u32_e32 vcc_lo, 0, v6
	s_and_b32 s44, vcc_lo, exec_lo
	s_delay_alu instid0(SALU_CYCLE_1)
	s_or_b32 s39, s39, s44
	s_or_b32 exec_lo, exec_lo, s40
	v_mov_b32_e32 v7, s43
	s_and_saveexec_b32 s40, s39
	s_cbranch_execnz .LBB135_73
	s_branch .LBB135_74
.LBB135_542:
	s_mov_b32 s42, -1
.LBB135_543:
                                        ; implicit-def: $sgpr43
.LBB135_544:
	s_and_b32 vcc_lo, exec_lo, s44
	s_cbranch_vccz .LBB135_546
; %bb.545:
	v_cmp_eq_u16_e64 s2, 44, v3
	s_or_b32 s43, s43, exec_lo
	s_or_b32 s42, s42, exec_lo
.LBB135_546:
	s_mov_b32 s44, 0
.LBB135_547:
	s_delay_alu instid0(SALU_CYCLE_1)
	s_and_b32 vcc_lo, exec_lo, s44
	s_cbranch_vccz .LBB135_551
; %bb.548:
	v_cmp_eq_u16_e32 vcc_lo, 29, v3
	s_cbranch_vccz .LBB135_550
; %bb.549:
	global_load_b64 v[6:7], v[1:2], off
	s_mov_b32 s2, -1
	s_mov_b32 s42, 0
	s_mov_b32 s44, 0
	s_waitcnt vmcnt(0)
	v_cmp_ne_u64_e32 vcc_lo, 0, v[6:7]
	s_and_b32 s43, vcc_lo, exec_lo
	s_branch .LBB135_552
.LBB135_550:
	s_mov_b32 s42, -1
                                        ; implicit-def: $sgpr43
.LBB135_551:
	s_mov_b32 s44, 0
.LBB135_552:
	s_delay_alu instid0(SALU_CYCLE_1)
	s_and_b32 vcc_lo, exec_lo, s44
	s_cbranch_vccz .LBB135_570
; %bb.553:
	v_cmp_gt_i16_e32 vcc_lo, 27, v3
	s_cbranch_vccnz .LBB135_556
; %bb.554:
	v_cmp_lt_i16_e32 vcc_lo, 27, v3
	s_cbranch_vccz .LBB135_557
; %bb.555:
	global_load_b32 v6, v[1:2], off
	s_mov_b32 s2, 0
	s_waitcnt vmcnt(0)
	v_cmp_ne_u32_e32 vcc_lo, 0, v6
	s_and_b32 s43, vcc_lo, exec_lo
	s_branch .LBB135_558
.LBB135_556:
	s_mov_b32 s2, -1
                                        ; implicit-def: $sgpr43
	s_branch .LBB135_561
.LBB135_557:
	s_mov_b32 s2, -1
                                        ; implicit-def: $sgpr43
.LBB135_558:
	s_delay_alu instid0(SALU_CYCLE_1)
	s_and_not1_b32 vcc_lo, exec_lo, s2
	s_cbranch_vccnz .LBB135_560
; %bb.559:
	global_load_u16 v6, v[1:2], off
	s_and_not1_b32 s2, s43, exec_lo
	s_waitcnt vmcnt(0)
	v_cmp_ne_u16_e32 vcc_lo, 0, v6
	s_and_b32 s43, vcc_lo, exec_lo
	s_delay_alu instid0(SALU_CYCLE_1)
	s_or_b32 s43, s2, s43
.LBB135_560:
	s_mov_b32 s2, 0
.LBB135_561:
	s_delay_alu instid0(SALU_CYCLE_1)
	s_and_not1_b32 vcc_lo, exec_lo, s2
	s_cbranch_vccnz .LBB135_569
; %bb.562:
	global_load_u8 v6, v[1:2], off
	s_mov_b32 s2, 0
	s_mov_b32 s44, exec_lo
                                        ; implicit-def: $sgpr43
	s_waitcnt vmcnt(0)
	v_cmpx_lt_i16_e32 0x7f, v6
	s_xor_b32 s44, exec_lo, s44
	s_cbranch_execz .LBB135_583
; %bb.563:
	s_mov_b32 s2, -1
	s_mov_b32 s46, exec_lo
                                        ; implicit-def: $sgpr43
	v_cmpx_eq_u16_e32 0x80, v6
; %bb.564:
	s_mov_b32 s43, -1
	s_xor_b32 s2, exec_lo, -1
; %bb.565:
	s_or_b32 exec_lo, exec_lo, s46
	s_delay_alu instid0(SALU_CYCLE_1)
	s_and_b32 s2, s2, exec_lo
	s_and_not1_saveexec_b32 s44, s44
	s_cbranch_execnz .LBB135_584
.LBB135_566:
	s_or_b32 exec_lo, exec_lo, s44
	s_and_saveexec_b32 s44, s2
	s_cbranch_execz .LBB135_568
.LBB135_567:
	v_and_b32_e32 v6, 0xffff, v6
	s_and_not1_b32 s2, s43, exec_lo
	s_delay_alu instid0(VALU_DEP_1) | instskip(NEXT) | instid1(VALU_DEP_1)
	v_and_b32_e32 v7, 7, v6
	v_clz_i32_u32_e32 v8, v7
	s_delay_alu instid0(VALU_DEP_1) | instskip(NEXT) | instid1(VALU_DEP_1)
	v_min_u32_e32 v8, 32, v8
	v_subrev_nc_u32_e32 v9, 28, v8
	v_sub_nc_u32_e32 v8, 29, v8
	s_delay_alu instid0(VALU_DEP_2) | instskip(SKIP_1) | instid1(VALU_DEP_2)
	v_lshlrev_b32_e32 v9, v9, v6
	v_bfe_u32 v6, v6, 3, 4
	v_and_b32_e32 v9, 7, v9
	s_delay_alu instid0(VALU_DEP_2) | instskip(NEXT) | instid1(VALU_DEP_2)
	v_cmp_eq_u32_e32 vcc_lo, 0, v6
	v_dual_cndmask_b32 v6, v6, v8 :: v_dual_cndmask_b32 v7, v7, v9
	s_delay_alu instid0(VALU_DEP_1) | instskip(NEXT) | instid1(VALU_DEP_2)
	v_lshl_add_u32 v6, v6, 23, 0x3b800000
	v_lshlrev_b32_e32 v7, 20, v7
	s_delay_alu instid0(VALU_DEP_1) | instskip(NEXT) | instid1(VALU_DEP_1)
	v_and_or_b32 v6, 0x7f800000, v6, v7
	v_cmp_ne_u32_e32 vcc_lo, 0, v6
	s_and_b32 s43, vcc_lo, exec_lo
	s_delay_alu instid0(SALU_CYCLE_1)
	s_or_b32 s43, s2, s43
.LBB135_568:
	s_or_b32 exec_lo, exec_lo, s44
.LBB135_569:
	s_mov_b32 s2, -1
.LBB135_570:
	s_mov_b32 s44, 0
.LBB135_571:
	s_delay_alu instid0(SALU_CYCLE_1)
	s_and_b32 vcc_lo, exec_lo, s44
	s_cbranch_vccz .LBB135_606
; %bb.572:
	v_cmp_lt_i16_e32 vcc_lo, 22, v3
	s_cbranch_vccz .LBB135_582
; %bb.573:
	v_cmp_gt_i16_e32 vcc_lo, 24, v3
	s_cbranch_vccnz .LBB135_585
; %bb.574:
	v_cmp_lt_i16_e32 vcc_lo, 24, v3
	s_cbranch_vccz .LBB135_586
; %bb.575:
	global_load_u8 v6, v[1:2], off
	s_mov_b32 s2, 0
	s_mov_b32 s44, exec_lo
                                        ; implicit-def: $sgpr43
	s_waitcnt vmcnt(0)
	v_cmpx_lt_i16_e32 0x7f, v6
	s_xor_b32 s44, exec_lo, s44
	s_cbranch_execz .LBB135_598
; %bb.576:
	s_mov_b32 s2, -1
	s_mov_b32 s46, exec_lo
                                        ; implicit-def: $sgpr43
	v_cmpx_eq_u16_e32 0x80, v6
; %bb.577:
	s_mov_b32 s43, -1
	s_xor_b32 s2, exec_lo, -1
; %bb.578:
	s_or_b32 exec_lo, exec_lo, s46
	s_delay_alu instid0(SALU_CYCLE_1)
	s_and_b32 s2, s2, exec_lo
	s_and_not1_saveexec_b32 s44, s44
	s_cbranch_execnz .LBB135_599
.LBB135_579:
	s_or_b32 exec_lo, exec_lo, s44
	s_and_saveexec_b32 s44, s2
	s_cbranch_execz .LBB135_581
.LBB135_580:
	v_and_b32_e32 v6, 0xffff, v6
	s_and_not1_b32 s2, s43, exec_lo
	s_delay_alu instid0(VALU_DEP_1) | instskip(NEXT) | instid1(VALU_DEP_1)
	v_and_b32_e32 v7, 3, v6
	v_clz_i32_u32_e32 v8, v7
	s_delay_alu instid0(VALU_DEP_1) | instskip(NEXT) | instid1(VALU_DEP_1)
	v_min_u32_e32 v8, 32, v8
	v_subrev_nc_u32_e32 v9, 29, v8
	v_sub_nc_u32_e32 v8, 30, v8
	s_delay_alu instid0(VALU_DEP_2) | instskip(SKIP_1) | instid1(VALU_DEP_2)
	v_lshlrev_b32_e32 v9, v9, v6
	v_bfe_u32 v6, v6, 2, 5
	v_and_b32_e32 v9, 3, v9
	s_delay_alu instid0(VALU_DEP_2) | instskip(NEXT) | instid1(VALU_DEP_2)
	v_cmp_eq_u32_e32 vcc_lo, 0, v6
	v_dual_cndmask_b32 v6, v6, v8 :: v_dual_cndmask_b32 v7, v7, v9
	s_delay_alu instid0(VALU_DEP_1) | instskip(NEXT) | instid1(VALU_DEP_2)
	v_lshl_add_u32 v6, v6, 23, 0x37800000
	v_lshlrev_b32_e32 v7, 21, v7
	s_delay_alu instid0(VALU_DEP_1) | instskip(NEXT) | instid1(VALU_DEP_1)
	v_and_or_b32 v6, 0x7f800000, v6, v7
	v_cmp_ne_u32_e32 vcc_lo, 0, v6
	s_and_b32 s43, vcc_lo, exec_lo
	s_delay_alu instid0(SALU_CYCLE_1)
	s_or_b32 s43, s2, s43
.LBB135_581:
	s_or_b32 exec_lo, exec_lo, s44
	s_mov_b32 s2, 0
	s_branch .LBB135_587
.LBB135_582:
	s_mov_b32 s44, -1
                                        ; implicit-def: $sgpr43
	s_branch .LBB135_593
.LBB135_583:
	s_and_not1_saveexec_b32 s44, s44
	s_cbranch_execz .LBB135_566
.LBB135_584:
	v_cmp_ne_u16_e32 vcc_lo, 0, v6
	s_and_not1_b32 s2, s2, exec_lo
	s_and_not1_b32 s43, s43, exec_lo
	s_and_b32 s46, vcc_lo, exec_lo
	s_delay_alu instid0(SALU_CYCLE_1)
	s_or_b32 s2, s2, s46
	s_or_b32 exec_lo, exec_lo, s44
	s_and_saveexec_b32 s44, s2
	s_cbranch_execnz .LBB135_567
	s_branch .LBB135_568
.LBB135_585:
	s_mov_b32 s2, -1
                                        ; implicit-def: $sgpr43
	s_branch .LBB135_590
.LBB135_586:
	s_mov_b32 s2, -1
                                        ; implicit-def: $sgpr43
.LBB135_587:
	s_delay_alu instid0(SALU_CYCLE_1)
	s_and_b32 vcc_lo, exec_lo, s2
	s_cbranch_vccz .LBB135_589
; %bb.588:
	global_load_u8 v6, v[1:2], off
	s_and_not1_b32 s43, s43, exec_lo
	s_waitcnt vmcnt(0)
	v_lshlrev_b32_e32 v6, 24, v6
	s_delay_alu instid0(VALU_DEP_1) | instskip(NEXT) | instid1(VALU_DEP_1)
	v_and_b32_e32 v6, 0x7f000000, v6
	v_clz_i32_u32_e32 v7, v6
	v_add_nc_u32_e32 v9, 0x1000000, v6
	v_cmp_ne_u32_e32 vcc_lo, 0, v6
	s_delay_alu instid0(VALU_DEP_3) | instskip(NEXT) | instid1(VALU_DEP_3)
	v_min_u32_e32 v7, 32, v7
	v_ashrrev_i32_e32 v9, 8, v9
	s_delay_alu instid0(VALU_DEP_2) | instskip(NEXT) | instid1(VALU_DEP_1)
	v_sub_nc_u32_e64 v7, v7, 4 clamp
	v_lshlrev_b32_e32 v8, v7, v6
	v_lshlrev_b32_e32 v7, 23, v7
	s_delay_alu instid0(VALU_DEP_2) | instskip(NEXT) | instid1(VALU_DEP_1)
	v_lshrrev_b32_e32 v8, 4, v8
	v_sub_nc_u32_e32 v7, v8, v7
	v_and_b32_e32 v8, 0x7f800000, v9
	s_delay_alu instid0(VALU_DEP_2) | instskip(NEXT) | instid1(VALU_DEP_1)
	v_add_nc_u32_e32 v7, 0x3c000000, v7
	v_and_or_b32 v7, 0x7ff00000, v7, v8
	s_delay_alu instid0(VALU_DEP_1) | instskip(NEXT) | instid1(VALU_DEP_1)
	v_cmp_ne_u32_e64 s2, 0, v7
	s_and_b32 s2, vcc_lo, s2
	s_delay_alu instid0(SALU_CYCLE_1) | instskip(NEXT) | instid1(SALU_CYCLE_1)
	s_and_b32 s2, s2, exec_lo
	s_or_b32 s43, s43, s2
.LBB135_589:
	s_mov_b32 s2, 0
.LBB135_590:
	s_delay_alu instid0(SALU_CYCLE_1)
	s_and_not1_b32 vcc_lo, exec_lo, s2
	s_cbranch_vccnz .LBB135_592
; %bb.591:
	global_load_u8 v6, v[1:2], off
	s_and_not1_b32 s2, s43, exec_lo
	s_waitcnt vmcnt(0)
	v_lshlrev_b32_e32 v7, 25, v6
	v_lshlrev_b32_e32 v6, 8, v6
	s_delay_alu instid0(VALU_DEP_2) | instskip(NEXT) | instid1(VALU_DEP_2)
	v_lshrrev_b32_e32 v8, 4, v7
	v_and_or_b32 v6, 0x7f00, v6, 0.5
	s_delay_alu instid0(VALU_DEP_2) | instskip(NEXT) | instid1(VALU_DEP_2)
	v_or_b32_e32 v8, 0x70000000, v8
	v_add_f32_e32 v6, -0.5, v6
	s_delay_alu instid0(VALU_DEP_2) | instskip(SKIP_1) | instid1(VALU_DEP_2)
	v_mul_f32_e32 v8, 0x7800000, v8
	v_cmp_gt_u32_e32 vcc_lo, 0x8000000, v7
	v_cndmask_b32_e32 v6, v8, v6, vcc_lo
	s_delay_alu instid0(VALU_DEP_1) | instskip(SKIP_1) | instid1(SALU_CYCLE_1)
	v_cmp_neq_f32_e32 vcc_lo, 0, v6
	s_and_b32 s43, vcc_lo, exec_lo
	s_or_b32 s43, s2, s43
.LBB135_592:
	s_mov_b32 s44, 0
	s_mov_b32 s2, -1
.LBB135_593:
	s_and_not1_b32 vcc_lo, exec_lo, s44
	s_cbranch_vccnz .LBB135_606
; %bb.594:
	v_cmp_lt_i16_e32 vcc_lo, 14, v3
	s_cbranch_vccz .LBB135_597
; %bb.595:
	v_cmp_eq_u16_e32 vcc_lo, 15, v3
	s_cbranch_vccz .LBB135_600
; %bb.596:
	global_load_u16 v6, v[1:2], off
	s_mov_b32 s42, 0
	s_mov_b32 s2, -1
	s_waitcnt vmcnt(0)
	v_and_b32_e32 v6, 0x7fff, v6
	s_delay_alu instid0(VALU_DEP_1)
	v_cmp_ne_u16_e32 vcc_lo, 0, v6
	s_and_b32 s43, vcc_lo, exec_lo
	s_branch .LBB135_601
.LBB135_597:
	s_mov_b32 s44, -1
                                        ; implicit-def: $sgpr43
	s_branch .LBB135_602
.LBB135_598:
	s_and_not1_saveexec_b32 s44, s44
	s_cbranch_execz .LBB135_579
.LBB135_599:
	v_cmp_ne_u16_e32 vcc_lo, 0, v6
	s_and_not1_b32 s2, s2, exec_lo
	s_and_not1_b32 s43, s43, exec_lo
	s_and_b32 s46, vcc_lo, exec_lo
	s_delay_alu instid0(SALU_CYCLE_1)
	s_or_b32 s2, s2, s46
	s_or_b32 exec_lo, exec_lo, s44
	s_and_saveexec_b32 s44, s2
	s_cbranch_execnz .LBB135_580
	s_branch .LBB135_581
.LBB135_600:
	s_mov_b32 s42, -1
                                        ; implicit-def: $sgpr43
.LBB135_601:
	s_mov_b32 s44, 0
.LBB135_602:
	s_delay_alu instid0(SALU_CYCLE_1)
	s_and_b32 vcc_lo, exec_lo, s44
	s_cbranch_vccz .LBB135_606
; %bb.603:
	v_cmp_eq_u16_e32 vcc_lo, 11, v3
	s_cbranch_vccz .LBB135_605
; %bb.604:
	global_load_u8 v6, v[1:2], off
	s_mov_b32 s42, 0
	s_mov_b32 s2, -1
	s_waitcnt vmcnt(0)
	v_cmp_ne_u16_e32 vcc_lo, 0, v6
	s_and_b32 s43, vcc_lo, exec_lo
	s_branch .LBB135_606
.LBB135_605:
	s_mov_b32 s42, -1
                                        ; implicit-def: $sgpr43
.LBB135_606:
	s_mov_b32 s44, 0
.LBB135_607:
	s_delay_alu instid0(SALU_CYCLE_1)
	s_and_b32 vcc_lo, exec_lo, s44
	s_cbranch_vccz .LBB135_656
; %bb.608:
	v_cmp_gt_i16_e32 vcc_lo, 5, v3
	s_cbranch_vccnz .LBB135_613
; %bb.609:
	v_cmp_gt_i16_e32 vcc_lo, 8, v3
	s_cbranch_vccnz .LBB135_614
	;; [unrolled: 3-line block ×3, first 2 shown]
; %bb.611:
	v_cmp_lt_i16_e32 vcc_lo, 9, v3
	s_cbranch_vccz .LBB135_616
; %bb.612:
	global_load_b128 v[6:9], v[1:2], off
	s_waitcnt vmcnt(0)
	v_cmp_neq_f64_e32 vcc_lo, 0, v[6:7]
	v_cmp_neq_f64_e64 s2, 0, v[8:9]
	s_delay_alu instid0(VALU_DEP_1)
	s_or_b32 s43, vcc_lo, s2
	s_mov_b32 s2, 0
	s_and_b32 s43, s43, exec_lo
	s_branch .LBB135_617
.LBB135_613:
	s_mov_b32 s2, -1
                                        ; implicit-def: $sgpr43
	s_branch .LBB135_635
.LBB135_614:
	s_mov_b32 s2, -1
                                        ; implicit-def: $sgpr43
	s_branch .LBB135_623
.LBB135_615:
	s_mov_b32 s2, -1
                                        ; implicit-def: $sgpr43
	s_branch .LBB135_620
.LBB135_616:
	s_mov_b32 s2, -1
                                        ; implicit-def: $sgpr43
.LBB135_617:
	s_delay_alu instid0(SALU_CYCLE_1)
	s_and_not1_b32 vcc_lo, exec_lo, s2
	s_cbranch_vccnz .LBB135_619
; %bb.618:
	global_load_b64 v[6:7], v[1:2], off
	s_and_not1_b32 s2, s43, exec_lo
	s_waitcnt vmcnt(0)
	v_or_b32_e32 v6, v6, v7
	s_delay_alu instid0(VALU_DEP_1) | instskip(NEXT) | instid1(VALU_DEP_1)
	v_and_b32_e32 v6, 0x7fffffff, v6
	v_cmp_ne_u32_e32 vcc_lo, 0, v6
	s_and_b32 s43, vcc_lo, exec_lo
	s_delay_alu instid0(SALU_CYCLE_1)
	s_or_b32 s43, s2, s43
.LBB135_619:
	s_mov_b32 s2, 0
.LBB135_620:
	s_delay_alu instid0(SALU_CYCLE_1)
	s_and_not1_b32 vcc_lo, exec_lo, s2
	s_cbranch_vccnz .LBB135_622
; %bb.621:
	global_load_b32 v6, v[1:2], off
	s_and_not1_b32 s2, s43, exec_lo
	s_waitcnt vmcnt(0)
	v_and_b32_e32 v6, 0x7fff7fff, v6
	s_delay_alu instid0(VALU_DEP_1) | instskip(SKIP_1) | instid1(SALU_CYCLE_1)
	v_cmp_ne_u32_e32 vcc_lo, 0, v6
	s_and_b32 s43, vcc_lo, exec_lo
	s_or_b32 s43, s2, s43
.LBB135_622:
	s_mov_b32 s2, 0
.LBB135_623:
	s_delay_alu instid0(SALU_CYCLE_1)
	s_and_not1_b32 vcc_lo, exec_lo, s2
	s_cbranch_vccnz .LBB135_634
; %bb.624:
	v_cmp_gt_i16_e32 vcc_lo, 6, v3
	s_cbranch_vccnz .LBB135_627
; %bb.625:
	v_cmp_lt_i16_e32 vcc_lo, 6, v3
	s_cbranch_vccz .LBB135_628
; %bb.626:
	global_load_b64 v[6:7], v[1:2], off
	s_mov_b32 s2, 0
	s_waitcnt vmcnt(0)
	v_cmp_neq_f64_e32 vcc_lo, 0, v[6:7]
	s_and_b32 s43, vcc_lo, exec_lo
	s_branch .LBB135_629
.LBB135_627:
	s_mov_b32 s2, -1
                                        ; implicit-def: $sgpr43
	s_branch .LBB135_632
.LBB135_628:
	s_mov_b32 s2, -1
                                        ; implicit-def: $sgpr43
.LBB135_629:
	s_delay_alu instid0(SALU_CYCLE_1)
	s_and_not1_b32 vcc_lo, exec_lo, s2
	s_cbranch_vccnz .LBB135_631
; %bb.630:
	global_load_b32 v6, v[1:2], off
	s_and_not1_b32 s2, s43, exec_lo
	s_waitcnt vmcnt(0)
	v_cmp_neq_f32_e32 vcc_lo, 0, v6
	s_and_b32 s43, vcc_lo, exec_lo
	s_delay_alu instid0(SALU_CYCLE_1)
	s_or_b32 s43, s2, s43
.LBB135_631:
	s_mov_b32 s2, 0
.LBB135_632:
	s_delay_alu instid0(SALU_CYCLE_1)
	s_and_not1_b32 vcc_lo, exec_lo, s2
	s_cbranch_vccnz .LBB135_634
; %bb.633:
	global_load_u16 v6, v[1:2], off
	s_and_not1_b32 s2, s43, exec_lo
	s_waitcnt vmcnt(0)
	v_and_b32_e32 v6, 0x7fff, v6
	s_delay_alu instid0(VALU_DEP_1) | instskip(SKIP_1) | instid1(SALU_CYCLE_1)
	v_cmp_ne_u16_e32 vcc_lo, 0, v6
	s_and_b32 s43, vcc_lo, exec_lo
	s_or_b32 s43, s2, s43
.LBB135_634:
	s_mov_b32 s2, 0
.LBB135_635:
	s_delay_alu instid0(SALU_CYCLE_1)
	s_and_not1_b32 vcc_lo, exec_lo, s2
	s_cbranch_vccnz .LBB135_655
; %bb.636:
	v_cmp_gt_i16_e32 vcc_lo, 2, v3
	s_cbranch_vccnz .LBB135_640
; %bb.637:
	v_cmp_gt_i16_e32 vcc_lo, 3, v3
	s_cbranch_vccnz .LBB135_641
; %bb.638:
	v_cmp_lt_i16_e32 vcc_lo, 3, v3
	s_cbranch_vccz .LBB135_642
; %bb.639:
	global_load_b64 v[6:7], v[1:2], off
	s_mov_b32 s2, 0
	s_waitcnt vmcnt(0)
	v_cmp_ne_u64_e32 vcc_lo, 0, v[6:7]
	s_and_b32 s43, vcc_lo, exec_lo
	s_branch .LBB135_643
.LBB135_640:
	s_mov_b32 s2, -1
                                        ; implicit-def: $sgpr43
	s_branch .LBB135_649
.LBB135_641:
	s_mov_b32 s2, -1
                                        ; implicit-def: $sgpr43
	s_branch .LBB135_646
.LBB135_642:
	s_mov_b32 s2, -1
                                        ; implicit-def: $sgpr43
.LBB135_643:
	s_delay_alu instid0(SALU_CYCLE_1)
	s_and_not1_b32 vcc_lo, exec_lo, s2
	s_cbranch_vccnz .LBB135_645
; %bb.644:
	global_load_b32 v6, v[1:2], off
	s_and_not1_b32 s2, s43, exec_lo
	s_waitcnt vmcnt(0)
	v_cmp_ne_u32_e32 vcc_lo, 0, v6
	s_and_b32 s43, vcc_lo, exec_lo
	s_delay_alu instid0(SALU_CYCLE_1)
	s_or_b32 s43, s2, s43
.LBB135_645:
	s_mov_b32 s2, 0
.LBB135_646:
	s_delay_alu instid0(SALU_CYCLE_1)
	s_and_not1_b32 vcc_lo, exec_lo, s2
	s_cbranch_vccnz .LBB135_648
; %bb.647:
	global_load_u16 v6, v[1:2], off
	s_and_not1_b32 s2, s43, exec_lo
	s_waitcnt vmcnt(0)
	v_cmp_ne_u16_e32 vcc_lo, 0, v6
	s_and_b32 s43, vcc_lo, exec_lo
	s_delay_alu instid0(SALU_CYCLE_1)
	s_or_b32 s43, s2, s43
.LBB135_648:
	s_mov_b32 s2, 0
.LBB135_649:
	s_delay_alu instid0(SALU_CYCLE_1)
	s_and_not1_b32 vcc_lo, exec_lo, s2
	s_cbranch_vccnz .LBB135_655
; %bb.650:
	v_cmp_lt_i16_e32 vcc_lo, 0, v3
	s_mov_b32 s2, 0
	s_cbranch_vccz .LBB135_652
; %bb.651:
	global_load_u8 v3, v[1:2], off
	s_waitcnt vmcnt(0)
	v_cmp_ne_u16_e32 vcc_lo, 0, v3
	s_and_b32 s43, vcc_lo, exec_lo
	s_branch .LBB135_653
.LBB135_652:
	s_mov_b32 s2, -1
                                        ; implicit-def: $sgpr43
.LBB135_653:
	s_delay_alu instid0(SALU_CYCLE_1)
	s_and_not1_b32 vcc_lo, exec_lo, s2
	s_cbranch_vccnz .LBB135_655
; %bb.654:
	global_load_u8 v1, v[1:2], off
	s_and_not1_b32 s2, s43, exec_lo
	s_waitcnt vmcnt(0)
	v_cmp_ne_u16_e32 vcc_lo, 0, v1
	s_and_b32 s43, vcc_lo, exec_lo
	s_delay_alu instid0(SALU_CYCLE_1)
	s_or_b32 s43, s2, s43
.LBB135_655:
	s_mov_b32 s2, -1
.LBB135_656:
	s_delay_alu instid0(SALU_CYCLE_1)
	s_and_not1_b32 vcc_lo, exec_lo, s2
	s_cbranch_vccnz .LBB135_664
; %bb.657:
	v_cndmask_b32_e64 v1, 0, 1.0, s43
	s_waitcnt vmcnt(0)
	v_cvt_f32_f16_e32 v2, v5
	v_and_b32_e64 v3, 0xff, s11
	v_add_co_u32 v0, s2, s4, v0
	s_mov_b32 s42, 0
	s_delay_alu instid0(VALU_DEP_3) | instskip(NEXT) | instid1(VALU_DEP_3)
	v_mul_f32_e32 v2, v2, v1
	v_cmp_gt_i16_e32 vcc_lo, 11, v3
	v_add_co_ci_u32_e64 v1, null, s5, 0, s2
	s_mov_b32 s43, -1
	s_delay_alu instid0(VALU_DEP_3)
	v_fma_mixlo_f16 v2, s10, v2, 0
	s_mov_b32 s2, s38
	s_cbranch_vccnz .LBB135_665
; %bb.658:
	v_cmp_lt_i16_e32 vcc_lo, 25, v3
	s_cbranch_vccz .LBB135_728
; %bb.659:
	v_cmp_lt_i16_e32 vcc_lo, 28, v3
	s_cbranch_vccz .LBB135_730
	;; [unrolled: 3-line block ×4, first 2 shown]
; %bb.662:
	v_cmp_eq_u16_e32 vcc_lo, 46, v3
	s_mov_b32 s43, 0
	s_mov_b32 s2, -1
	s_cbranch_vccz .LBB135_735
; %bb.663:
	v_cvt_f32_f16_e32 v5, v2
	v_cmp_o_f16_e32 vcc_lo, v2, v2
	s_mov_b32 s42, -1
	s_mov_b32 s2, 0
	s_delay_alu instid0(VALU_DEP_2) | instskip(NEXT) | instid1(VALU_DEP_1)
	v_bfe_u32 v6, v5, 16, 1
	v_add3_u32 v5, v5, v6, 0x7fff
	s_delay_alu instid0(VALU_DEP_1) | instskip(NEXT) | instid1(VALU_DEP_1)
	v_lshrrev_b32_e32 v5, 16, v5
	v_cndmask_b32_e32 v5, 0x7fc0, v5, vcc_lo
	global_store_b32 v[0:1], v5, off
	s_branch .LBB135_735
.LBB135_664:
	s_mov_b32 s46, 0
	s_mov_b32 s2, s38
	s_branch .LBB135_705
.LBB135_665:
	s_and_b32 vcc_lo, exec_lo, s43
	s_cbranch_vccz .LBB135_804
; %bb.666:
	v_cmp_gt_i16_e32 vcc_lo, 5, v3
	s_mov_b32 s42, -1
	s_cbranch_vccnz .LBB135_687
; %bb.667:
	v_cmp_gt_i16_e32 vcc_lo, 8, v3
	s_cbranch_vccnz .LBB135_677
; %bb.668:
	v_cmp_gt_i16_e32 vcc_lo, 9, v3
	s_cbranch_vccnz .LBB135_674
; %bb.669:
	v_cmp_lt_i16_e32 vcc_lo, 9, v3
	s_cbranch_vccz .LBB135_671
; %bb.670:
	v_cvt_f32_f16_e32 v5, v2
	v_mov_b32_e32 v7, 0
	s_mov_b32 s42, 0
	s_delay_alu instid0(VALU_DEP_2) | instskip(NEXT) | instid1(VALU_DEP_2)
	v_cvt_f64_f32_e32 v[5:6], v5
	v_mov_b32_e32 v8, v7
	global_store_b128 v[0:1], v[5:8], off
.LBB135_671:
	s_and_not1_b32 vcc_lo, exec_lo, s42
	s_cbranch_vccnz .LBB135_673
; %bb.672:
	v_cvt_f32_f16_e32 v5, v2
	v_mov_b32_e32 v6, 0
	global_store_b64 v[0:1], v[5:6], off
.LBB135_673:
	s_mov_b32 s42, 0
.LBB135_674:
	s_delay_alu instid0(SALU_CYCLE_1)
	s_and_not1_b32 vcc_lo, exec_lo, s42
	s_cbranch_vccnz .LBB135_676
; %bb.675:
	v_and_b32_e32 v5, 0xffff, v2
	global_store_b32 v[0:1], v5, off
.LBB135_676:
	s_mov_b32 s42, 0
.LBB135_677:
	s_delay_alu instid0(SALU_CYCLE_1)
	s_and_not1_b32 vcc_lo, exec_lo, s42
	s_cbranch_vccnz .LBB135_686
; %bb.678:
	v_cmp_gt_i16_e32 vcc_lo, 6, v3
	s_mov_b32 s42, -1
	s_cbranch_vccnz .LBB135_684
; %bb.679:
	v_cmp_lt_i16_e32 vcc_lo, 6, v3
	s_cbranch_vccz .LBB135_681
; %bb.680:
	v_cvt_f32_f16_e32 v5, v2
	s_mov_b32 s42, 0
	s_delay_alu instid0(VALU_DEP_1)
	v_cvt_f64_f32_e32 v[5:6], v5
	global_store_b64 v[0:1], v[5:6], off
.LBB135_681:
	s_and_not1_b32 vcc_lo, exec_lo, s42
	s_cbranch_vccnz .LBB135_683
; %bb.682:
	v_cvt_f32_f16_e32 v5, v2
	global_store_b32 v[0:1], v5, off
.LBB135_683:
	s_mov_b32 s42, 0
.LBB135_684:
	s_delay_alu instid0(SALU_CYCLE_1)
	s_and_not1_b32 vcc_lo, exec_lo, s42
	s_cbranch_vccnz .LBB135_686
; %bb.685:
	global_store_b16 v[0:1], v2, off
.LBB135_686:
	s_mov_b32 s42, 0
.LBB135_687:
	s_delay_alu instid0(SALU_CYCLE_1)
	s_and_not1_b32 vcc_lo, exec_lo, s42
	s_cbranch_vccnz .LBB135_703
; %bb.688:
	v_cmp_gt_i16_e32 vcc_lo, 2, v3
	s_mov_b32 s42, -1
	s_cbranch_vccnz .LBB135_698
; %bb.689:
	v_cmp_gt_i16_e32 vcc_lo, 3, v3
	s_cbranch_vccnz .LBB135_695
; %bb.690:
	v_cmp_lt_i16_e32 vcc_lo, 3, v3
	s_cbranch_vccz .LBB135_692
; %bb.691:
	v_cvt_f32_f16_e32 v5, v2
	s_mov_b32 s42, 0
	s_delay_alu instid0(VALU_DEP_1) | instskip(NEXT) | instid1(VALU_DEP_1)
	v_cvt_i32_f32_e32 v5, v5
	v_ashrrev_i32_e32 v6, 31, v5
	global_store_b64 v[0:1], v[5:6], off
.LBB135_692:
	s_and_not1_b32 vcc_lo, exec_lo, s42
	s_cbranch_vccnz .LBB135_694
; %bb.693:
	v_cvt_f32_f16_e32 v5, v2
	s_delay_alu instid0(VALU_DEP_1)
	v_cvt_i32_f32_e32 v5, v5
	global_store_b32 v[0:1], v5, off
.LBB135_694:
	s_mov_b32 s42, 0
.LBB135_695:
	s_delay_alu instid0(SALU_CYCLE_1)
	s_and_not1_b32 vcc_lo, exec_lo, s42
	s_cbranch_vccnz .LBB135_697
; %bb.696:
	v_cvt_i16_f16_e32 v5, v2
	global_store_b16 v[0:1], v5, off
.LBB135_697:
	s_mov_b32 s42, 0
.LBB135_698:
	s_delay_alu instid0(SALU_CYCLE_1)
	s_and_not1_b32 vcc_lo, exec_lo, s42
	s_cbranch_vccnz .LBB135_703
; %bb.699:
	v_cmp_lt_i16_e32 vcc_lo, 0, v3
	s_mov_b32 s42, -1
	s_cbranch_vccz .LBB135_701
; %bb.700:
	v_cvt_i16_f16_e32 v3, v2
	s_mov_b32 s42, 0
	global_store_b8 v[0:1], v3, off
.LBB135_701:
	s_and_not1_b32 vcc_lo, exec_lo, s42
	s_cbranch_vccnz .LBB135_703
; %bb.702:
	v_cvt_f32_f16_e32 v2, v2
	s_delay_alu instid0(VALU_DEP_1)
	v_cvt_i32_f32_e32 v2, v2
	global_store_b8 v[0:1], v2, off
.LBB135_703:
	s_mov_b32 s42, 0
	s_branch .LBB135_805
.LBB135_704:
	s_mov_b32 s46, 0
.LBB135_705:
                                        ; implicit-def: $vgpr4
.LBB135_706:
	s_and_not1_b32 s43, s38, exec_lo
	s_and_b32 s2, s2, exec_lo
	s_and_b32 s42, s42, exec_lo
	s_or_b32 s43, s43, s2
	s_and_not1_b32 s2, s39, exec_lo
	s_and_not1_b32 s47, s40, exec_lo
	s_and_b32 s3, s3, exec_lo
	s_or_b32 s44, s2, s42
	s_or_b32 s42, s47, s3
	s_or_not1_b32 s47, s46, exec_lo
.LBB135_707:
	s_or_b32 exec_lo, exec_lo, s45
	s_mov_b32 s3, 0
	s_mov_b32 s46, 0
	;; [unrolled: 1-line block ×3, first 2 shown]
                                        ; implicit-def: $vgpr6
                                        ; implicit-def: $vgpr2_vgpr3
                                        ; implicit-def: $vgpr0
                                        ; implicit-def: $vgpr1
                                        ; implicit-def: $vgpr5
	s_and_saveexec_b32 s45, s47
	s_cbranch_execz .LBB135_1274
; %bb.708:
	s_mov_b32 s51, -1
	s_mov_b32 s47, s42
	s_mov_b32 s49, s44
	;; [unrolled: 1-line block ×3, first 2 shown]
	s_mov_b32 s46, exec_lo
	v_cmpx_gt_i32_e64 s36, v4
	s_cbranch_execz .LBB135_1105
; %bb.709:
	s_and_not1_b32 vcc_lo, exec_lo, s29
	s_cbranch_vccnz .LBB135_715
; %bb.710:
	v_dual_mov_b32 v0, 0 :: v_dual_mov_b32 v1, 0
	v_mov_b32_e32 v2, 0
	s_and_not1_b32 vcc_lo, exec_lo, s37
	s_mov_b32 s47, 0
	s_cbranch_vccnz .LBB135_716
; %bb.711:
	s_add_i32 s2, s35, 1
	v_dual_mov_b32 v1, 0 :: v_dual_mov_b32 v2, 0
	v_dual_mov_b32 v0, 0 :: v_dual_mov_b32 v3, v4
	s_and_b32 s48, s2, 30
	s_add_u32 s2, s20, 0xffffffec
	s_addc_u32 s3, s21, -1
	s_set_inst_prefetch_distance 0x1
	.p2align	6
.LBB135_712:                            ; =>This Inner Loop Header: Depth=1
	s_clause 0x2
	s_load_b128 s[52:55], s[2:3], 0x18
	s_load_b64 s[50:51], s[2:3], 0x28
	s_load_b128 s[56:59], s[2:3], 0xd8
	s_waitcnt vmcnt(0) lgkmcnt(0)
	v_mul_hi_u32 v5, s53, v3
	s_delay_alu instid0(VALU_DEP_1) | instskip(NEXT) | instid1(VALU_DEP_1)
	v_add_nc_u32_e32 v5, v3, v5
	v_lshrrev_b32_e32 v5, s54, v5
	s_delay_alu instid0(VALU_DEP_1)
	v_mul_hi_u32 v6, s50, v5
	v_mul_lo_u32 v7, v5, s52
	s_load_b64 s[52:53], s[2:3], 0xe8
	s_add_u32 s2, s2, 24
	s_addc_u32 s3, s3, 0
	s_add_i32 s48, s48, -2
	s_delay_alu instid0(SALU_CYCLE_1) | instskip(NEXT) | instid1(VALU_DEP_2)
	s_cmp_eq_u32 s48, 0
	v_add_nc_u32_e32 v6, v5, v6
	s_delay_alu instid0(VALU_DEP_2) | instskip(NEXT) | instid1(VALU_DEP_2)
	v_sub_nc_u32_e32 v7, v3, v7
	v_lshrrev_b32_e32 v3, s51, v6
	s_delay_alu instid0(VALU_DEP_2) | instskip(NEXT) | instid1(VALU_DEP_2)
	v_mul_lo_u32 v8, v7, s56
	v_mul_lo_u32 v6, v3, s55
	s_delay_alu instid0(VALU_DEP_1) | instskip(SKIP_2) | instid1(VALU_DEP_3)
	v_sub_nc_u32_e32 v5, v5, v6
	v_mul_lo_u32 v6, v7, s57
	v_mul_lo_u32 v7, v7, s58
	;; [unrolled: 1-line block ×3, first 2 shown]
	s_waitcnt lgkmcnt(0)
	v_mul_lo_u32 v10, v5, s52
	v_mul_lo_u32 v5, v5, s53
	s_delay_alu instid0(VALU_DEP_3) | instskip(NEXT) | instid1(VALU_DEP_3)
	v_add3_u32 v0, v8, v0, v9
	v_add3_u32 v2, v6, v2, v10
	s_delay_alu instid0(VALU_DEP_3)
	v_add3_u32 v1, v7, v1, v5
	s_cbranch_scc0 .LBB135_712
; %bb.713:
	s_set_inst_prefetch_distance 0x2
	s_bitcmp1_b32 s35, 0
	s_cselect_b32 s48, -1, 0
	s_delay_alu instid0(SALU_CYCLE_1)
	s_and_b32 vcc_lo, exec_lo, s48
	s_cbranch_vccnz .LBB135_716
; %bb.714:
	s_clause 0x3
	s_load_b64 s[48:49], s[2:3], 0x18
	s_load_b32 s52, s[2:3], 0x20
	s_load_b64 s[50:51], s[2:3], 0xd8
	s_load_b32 s2, s[2:3], 0xe0
	s_waitcnt lgkmcnt(0)
	v_mul_hi_u32 v5, s49, v3
	s_delay_alu instid0(VALU_DEP_1) | instskip(NEXT) | instid1(VALU_DEP_1)
	v_add_nc_u32_e32 v5, v3, v5
	v_lshrrev_b32_e32 v5, s52, v5
	s_delay_alu instid0(VALU_DEP_1) | instskip(NEXT) | instid1(VALU_DEP_1)
	v_mul_lo_u32 v5, v5, s48
	v_sub_nc_u32_e32 v3, v3, v5
	s_delay_alu instid0(VALU_DEP_1) | instskip(SKIP_2) | instid1(VALU_DEP_3)
	v_mad_u64_u32 v[5:6], null, v3, s50, v[0:1]
	v_mad_u64_u32 v[6:7], null, v3, s51, v[2:3]
	v_mad_u64_u32 v[7:8], null, v3, s2, v[1:2]
	v_mov_b32_e32 v0, v5
	s_delay_alu instid0(VALU_DEP_2)
	v_dual_mov_b32 v2, v6 :: v_dual_mov_b32 v1, v7
	s_branch .LBB135_716
.LBB135_715:
	s_mov_b32 s47, -1
                                        ; implicit-def: $vgpr0
                                        ; implicit-def: $vgpr2
                                        ; implicit-def: $vgpr1
.LBB135_716:
	s_delay_alu instid0(SALU_CYCLE_1)
	s_and_not1_b32 vcc_lo, exec_lo, s47
	s_cbranch_vccnz .LBB135_719
; %bb.717:
	v_mul_hi_u32 v0, s17, v4
	s_and_not1_b32 vcc_lo, exec_lo, s34
	s_delay_alu instid0(VALU_DEP_1) | instskip(NEXT) | instid1(VALU_DEP_1)
	v_add_nc_u32_e32 v0, v4, v0
	v_lshrrev_b32_e32 v3, s18, v0
	s_delay_alu instid0(VALU_DEP_1) | instskip(NEXT) | instid1(VALU_DEP_1)
	v_mul_lo_u32 v0, v3, s16
	v_sub_nc_u32_e32 v1, v4, v0
	s_delay_alu instid0(VALU_DEP_1)
	v_mul_lo_u32 v0, v1, s12
	v_mul_lo_u32 v2, v1, s13
	;; [unrolled: 1-line block ×3, first 2 shown]
	s_cbranch_vccnz .LBB135_719
; %bb.718:
	s_waitcnt vmcnt(0)
	v_mul_hi_u32 v5, s24, v3
	s_delay_alu instid0(VALU_DEP_1) | instskip(NEXT) | instid1(VALU_DEP_1)
	v_add_nc_u32_e32 v5, v3, v5
	v_lshrrev_b32_e32 v5, s25, v5
	s_delay_alu instid0(VALU_DEP_1) | instskip(NEXT) | instid1(VALU_DEP_1)
	v_mul_lo_u32 v5, v5, s19
	v_sub_nc_u32_e32 v3, v3, v5
	s_delay_alu instid0(VALU_DEP_1) | instskip(SKIP_2) | instid1(VALU_DEP_3)
	v_mad_u64_u32 v[5:6], null, v3, s15, v[0:1]
	v_mad_u64_u32 v[6:7], null, v3, s22, v[2:3]
	;; [unrolled: 1-line block ×3, first 2 shown]
	v_mov_b32_e32 v0, v5
	s_delay_alu instid0(VALU_DEP_2)
	v_dual_mov_b32 v2, v6 :: v_dual_mov_b32 v1, v7
.LBB135_719:
	v_and_b32_e64 v6, 0xff, s33
	s_delay_alu instid0(VALU_DEP_2) | instskip(NEXT) | instid1(VALU_DEP_1)
	v_add_co_u32 v2, s2, s6, v2
	v_add_co_ci_u32_e64 v3, null, s7, 0, s2
	s_delay_alu instid0(VALU_DEP_3)
	v_cmp_gt_i16_e32 vcc_lo, 11, v6
	s_mov_b32 s2, 0
	s_cbranch_vccnz .LBB135_726
; %bb.720:
	v_cmp_lt_i16_e32 vcc_lo, 25, v6
	s_cbranch_vccz .LBB135_727
; %bb.721:
	v_cmp_lt_i16_e32 vcc_lo, 28, v6
	s_cbranch_vccz .LBB135_729
	;; [unrolled: 3-line block ×4, first 2 shown]
; %bb.724:
	v_cmp_eq_u16_e32 vcc_lo, 46, v6
	s_mov_b32 s47, 0
	s_cbranch_vccz .LBB135_806
; %bb.725:
	global_load_b32 v5, v[2:3], off
	s_mov_b32 s2, -1
	s_mov_b32 s3, 0
	s_waitcnt vmcnt(0)
	v_lshlrev_b32_e32 v5, 16, v5
	s_delay_alu instid0(VALU_DEP_1)
	v_cvt_f16_f32_e32 v5, v5
	s_branch .LBB135_808
.LBB135_726:
	s_mov_b32 s47, -1
	s_mov_b32 s3, s42
                                        ; implicit-def: $vgpr5
	s_branch .LBB135_875
.LBB135_727:
	s_mov_b32 s47, -1
	s_mov_b32 s3, s42
                                        ; implicit-def: $vgpr5
	s_branch .LBB135_839
.LBB135_728:
	s_mov_b32 s2, s38
	s_branch .LBB135_762
.LBB135_729:
	s_mov_b32 s47, -1
	s_mov_b32 s3, s42
                                        ; implicit-def: $vgpr5
	s_branch .LBB135_820
.LBB135_730:
	s_mov_b32 s2, s38
	s_branch .LBB135_745
.LBB135_731:
	s_mov_b32 s47, -1
	s_mov_b32 s3, s42
                                        ; implicit-def: $vgpr5
	s_branch .LBB135_815
.LBB135_732:
	s_mov_b32 s2, s38
	s_branch .LBB135_741
.LBB135_733:
	s_mov_b32 s47, -1
	s_mov_b32 s3, s42
	s_branch .LBB135_807
.LBB135_734:
	s_mov_b32 s2, s38
.LBB135_735:
	s_and_b32 vcc_lo, exec_lo, s43
	s_cbranch_vccz .LBB135_740
; %bb.736:
	v_cmp_eq_u16_e32 vcc_lo, 44, v3
	s_mov_b32 s2, -1
	s_cbranch_vccz .LBB135_740
; %bb.737:
	v_cvt_f32_f16_e32 v5, v2
	v_mov_b32_e32 v6, 0xff
	s_mov_b32 s42, exec_lo
	s_delay_alu instid0(VALU_DEP_2) | instskip(NEXT) | instid1(VALU_DEP_1)
	v_bfe_u32 v7, v5, 23, 8
	v_cmpx_ne_u32_e32 0xff, v7
; %bb.738:
	v_and_b32_e32 v6, 0x400000, v5
	v_and_or_b32 v7, 0x3fffff, v5, v7
	v_lshrrev_b32_e32 v5, 23, v5
	s_delay_alu instid0(VALU_DEP_3) | instskip(NEXT) | instid1(VALU_DEP_3)
	v_cmp_ne_u32_e32 vcc_lo, 0, v6
	v_cmp_ne_u32_e64 s2, 0, v7
	s_delay_alu instid0(VALU_DEP_1) | instskip(NEXT) | instid1(SALU_CYCLE_1)
	s_and_b32 s2, vcc_lo, s2
	v_cndmask_b32_e64 v6, 0, 1, s2
	s_delay_alu instid0(VALU_DEP_1)
	v_add_nc_u32_e32 v6, v5, v6
; %bb.739:
	s_or_b32 exec_lo, exec_lo, s42
	s_mov_b32 s42, -1
	s_mov_b32 s2, 0
	global_store_b8 v[0:1], v6, off
.LBB135_740:
	s_mov_b32 s43, 0
.LBB135_741:
	s_delay_alu instid0(SALU_CYCLE_1)
	s_and_b32 vcc_lo, exec_lo, s43
	s_cbranch_vccz .LBB135_744
; %bb.742:
	v_cmp_eq_u16_e32 vcc_lo, 29, v3
	s_mov_b32 s2, -1
	s_cbranch_vccz .LBB135_744
; %bb.743:
	v_cvt_f32_f16_e32 v5, v2
	v_mov_b32_e32 v6, 0
	s_mov_b32 s2, 0
	s_mov_b32 s42, -1
	s_mov_b32 s43, 0
	v_cvt_u32_f32_e32 v5, v5
	global_store_b64 v[0:1], v[5:6], off
	s_branch .LBB135_745
.LBB135_744:
	s_mov_b32 s43, 0
.LBB135_745:
	s_delay_alu instid0(SALU_CYCLE_1)
	s_and_b32 vcc_lo, exec_lo, s43
	s_cbranch_vccz .LBB135_761
; %bb.746:
	v_cmp_gt_i16_e32 vcc_lo, 27, v3
	s_mov_b32 s42, -1
	s_cbranch_vccnz .LBB135_752
; %bb.747:
	v_cmp_lt_i16_e32 vcc_lo, 27, v3
	s_cbranch_vccz .LBB135_749
; %bb.748:
	v_cvt_f32_f16_e32 v5, v2
	s_mov_b32 s42, 0
	s_delay_alu instid0(VALU_DEP_1)
	v_cvt_u32_f32_e32 v5, v5
	global_store_b32 v[0:1], v5, off
.LBB135_749:
	s_and_not1_b32 vcc_lo, exec_lo, s42
	s_cbranch_vccnz .LBB135_751
; %bb.750:
	v_cvt_u16_f16_e32 v5, v2
	global_store_b16 v[0:1], v5, off
.LBB135_751:
	s_mov_b32 s42, 0
.LBB135_752:
	s_delay_alu instid0(SALU_CYCLE_1)
	s_and_not1_b32 vcc_lo, exec_lo, s42
	s_cbranch_vccnz .LBB135_760
; %bb.753:
	v_cvt_f32_f16_e32 v5, v2
	v_mov_b32_e32 v7, 0x80
	s_mov_b32 s42, exec_lo
	s_delay_alu instid0(VALU_DEP_2) | instskip(NEXT) | instid1(VALU_DEP_1)
	v_and_b32_e32 v6, 0x7fffffff, v5
	v_cmpx_gt_u32_e32 0x43800000, v6
	s_cbranch_execz .LBB135_759
; %bb.754:
	v_cmp_lt_u32_e32 vcc_lo, 0x3bffffff, v6
	s_mov_b32 s43, 0
                                        ; implicit-def: $vgpr6
	s_and_saveexec_b32 s44, vcc_lo
	s_delay_alu instid0(SALU_CYCLE_1)
	s_xor_b32 s44, exec_lo, s44
	s_cbranch_execz .LBB135_811
; %bb.755:
	v_bfe_u32 v6, v5, 20, 1
	s_mov_b32 s43, exec_lo
	s_delay_alu instid0(VALU_DEP_1) | instskip(NEXT) | instid1(VALU_DEP_1)
	v_add3_u32 v6, v5, v6, 0x487ffff
	v_lshrrev_b32_e32 v6, 20, v6
	s_or_saveexec_b32 s44, s44
                                        ; implicit-def: $sgpr46
	s_delay_alu instid0(SALU_CYCLE_1)
	s_xor_b32 exec_lo, exec_lo, s44
	s_cbranch_execnz .LBB135_812
.LBB135_756:
	s_or_b32 exec_lo, exec_lo, s44
	v_mov_b32_e32 v7, s46
	s_and_saveexec_b32 s44, s43
.LBB135_757:
	v_lshrrev_b32_e32 v5, 24, v5
	s_delay_alu instid0(VALU_DEP_1)
	v_and_or_b32 v7, 0x80, v5, v6
.LBB135_758:
	s_or_b32 exec_lo, exec_lo, s44
.LBB135_759:
	s_delay_alu instid0(SALU_CYCLE_1)
	s_or_b32 exec_lo, exec_lo, s42
	global_store_b8 v[0:1], v7, off
.LBB135_760:
	s_mov_b32 s42, -1
.LBB135_761:
	s_mov_b32 s43, 0
.LBB135_762:
	s_delay_alu instid0(SALU_CYCLE_1)
	s_and_b32 vcc_lo, exec_lo, s43
	s_cbranch_vccz .LBB135_803
; %bb.763:
	v_cmp_lt_i16_e32 vcc_lo, 22, v3
	s_mov_b32 s43, -1
	s_cbranch_vccz .LBB135_795
; %bb.764:
	v_cmp_gt_i16_e32 vcc_lo, 24, v3
	s_mov_b32 s42, -1
	s_cbranch_vccnz .LBB135_784
; %bb.765:
	v_cmp_lt_i16_e32 vcc_lo, 24, v3
	s_cbranch_vccz .LBB135_773
; %bb.766:
	v_cvt_f32_f16_e32 v5, v2
	v_mov_b32_e32 v7, 0x80
	s_mov_b32 s42, exec_lo
	s_delay_alu instid0(VALU_DEP_2) | instskip(NEXT) | instid1(VALU_DEP_1)
	v_and_b32_e32 v6, 0x7fffffff, v5
	v_cmpx_gt_u32_e32 0x47800000, v6
	s_cbranch_execz .LBB135_772
; %bb.767:
	v_cmp_lt_u32_e32 vcc_lo, 0x37ffffff, v6
	s_mov_b32 s43, 0
                                        ; implicit-def: $vgpr6
	s_and_saveexec_b32 s44, vcc_lo
	s_delay_alu instid0(SALU_CYCLE_1)
	s_xor_b32 s44, exec_lo, s44
	s_cbranch_execz .LBB135_938
; %bb.768:
	v_bfe_u32 v6, v5, 21, 1
	s_mov_b32 s43, exec_lo
	s_delay_alu instid0(VALU_DEP_1) | instskip(NEXT) | instid1(VALU_DEP_1)
	v_add3_u32 v6, v5, v6, 0x88fffff
	v_lshrrev_b32_e32 v6, 21, v6
	s_or_saveexec_b32 s44, s44
                                        ; implicit-def: $sgpr46
	s_delay_alu instid0(SALU_CYCLE_1)
	s_xor_b32 exec_lo, exec_lo, s44
	s_cbranch_execnz .LBB135_939
.LBB135_769:
	s_or_b32 exec_lo, exec_lo, s44
	v_mov_b32_e32 v7, s46
	s_and_saveexec_b32 s44, s43
.LBB135_770:
	v_lshrrev_b32_e32 v5, 24, v5
	s_delay_alu instid0(VALU_DEP_1)
	v_and_or_b32 v7, 0x80, v5, v6
.LBB135_771:
	s_or_b32 exec_lo, exec_lo, s44
.LBB135_772:
	s_delay_alu instid0(SALU_CYCLE_1)
	s_or_b32 exec_lo, exec_lo, s42
	s_mov_b32 s42, 0
	global_store_b8 v[0:1], v7, off
.LBB135_773:
	s_and_b32 vcc_lo, exec_lo, s42
	s_cbranch_vccz .LBB135_783
; %bb.774:
	v_cvt_f32_f16_e32 v5, v2
	s_mov_b32 s42, exec_lo
                                        ; implicit-def: $vgpr6
	s_delay_alu instid0(VALU_DEP_1) | instskip(NEXT) | instid1(VALU_DEP_1)
	v_and_b32_e32 v7, 0x7fffffff, v5
	v_cmpx_gt_u32_e32 0x43f00000, v7
	s_xor_b32 s42, exec_lo, s42
	s_cbranch_execz .LBB135_780
; %bb.775:
	s_mov_b32 s43, exec_lo
                                        ; implicit-def: $vgpr6
	v_cmpx_lt_u32_e32 0x3c7fffff, v7
	s_xor_b32 s43, exec_lo, s43
; %bb.776:
	v_bfe_u32 v6, v5, 20, 1
	s_delay_alu instid0(VALU_DEP_1) | instskip(NEXT) | instid1(VALU_DEP_1)
	v_add3_u32 v6, v5, v6, 0x407ffff
	v_and_b32_e32 v7, 0xff00000, v6
	v_lshrrev_b32_e32 v6, 20, v6
	s_delay_alu instid0(VALU_DEP_2) | instskip(NEXT) | instid1(VALU_DEP_2)
	v_cmp_ne_u32_e32 vcc_lo, 0x7f00000, v7
	v_cndmask_b32_e32 v6, 0x7e, v6, vcc_lo
; %bb.777:
	s_and_not1_saveexec_b32 s43, s43
; %bb.778:
	v_add_f32_e64 v6, 0x46800000, |v5|
; %bb.779:
	s_or_b32 exec_lo, exec_lo, s43
                                        ; implicit-def: $vgpr7
.LBB135_780:
	s_and_not1_saveexec_b32 s42, s42
; %bb.781:
	v_mov_b32_e32 v6, 0x7f
	v_cmp_lt_u32_e32 vcc_lo, 0x7f800000, v7
	s_delay_alu instid0(VALU_DEP_2)
	v_cndmask_b32_e32 v6, 0x7e, v6, vcc_lo
; %bb.782:
	s_or_b32 exec_lo, exec_lo, s42
	v_lshrrev_b32_e32 v5, 24, v5
	s_delay_alu instid0(VALU_DEP_1)
	v_and_or_b32 v5, 0x80, v5, v6
	global_store_b8 v[0:1], v5, off
.LBB135_783:
	s_mov_b32 s42, 0
.LBB135_784:
	s_delay_alu instid0(SALU_CYCLE_1)
	s_and_not1_b32 vcc_lo, exec_lo, s42
	s_cbranch_vccnz .LBB135_794
; %bb.785:
	v_cvt_f32_f16_e32 v5, v2
	s_mov_b32 s42, exec_lo
                                        ; implicit-def: $vgpr6
	s_delay_alu instid0(VALU_DEP_1) | instskip(NEXT) | instid1(VALU_DEP_1)
	v_and_b32_e32 v7, 0x7fffffff, v5
	v_cmpx_gt_u32_e32 0x47800000, v7
	s_xor_b32 s42, exec_lo, s42
	s_cbranch_execz .LBB135_791
; %bb.786:
	s_mov_b32 s43, exec_lo
                                        ; implicit-def: $vgpr6
	v_cmpx_lt_u32_e32 0x387fffff, v7
	s_xor_b32 s43, exec_lo, s43
; %bb.787:
	v_bfe_u32 v6, v5, 21, 1
	s_delay_alu instid0(VALU_DEP_1) | instskip(NEXT) | instid1(VALU_DEP_1)
	v_add3_u32 v6, v5, v6, 0x80fffff
	v_lshrrev_b32_e32 v6, 21, v6
; %bb.788:
	s_and_not1_saveexec_b32 s43, s43
; %bb.789:
	v_add_f32_e64 v6, 0x43000000, |v5|
; %bb.790:
	s_or_b32 exec_lo, exec_lo, s43
                                        ; implicit-def: $vgpr7
.LBB135_791:
	s_and_not1_saveexec_b32 s42, s42
; %bb.792:
	v_mov_b32_e32 v6, 0x7f
	v_cmp_lt_u32_e32 vcc_lo, 0x7f800000, v7
	s_delay_alu instid0(VALU_DEP_2)
	v_cndmask_b32_e32 v6, 0x7c, v6, vcc_lo
; %bb.793:
	s_or_b32 exec_lo, exec_lo, s42
	v_lshrrev_b32_e32 v5, 24, v5
	s_delay_alu instid0(VALU_DEP_1)
	v_and_or_b32 v5, 0x80, v5, v6
	global_store_b8 v[0:1], v5, off
.LBB135_794:
	s_mov_b32 s43, 0
	s_mov_b32 s42, -1
.LBB135_795:
	s_and_not1_b32 vcc_lo, exec_lo, s43
	s_cbranch_vccnz .LBB135_803
; %bb.796:
	v_cmp_lt_i16_e32 vcc_lo, 14, v3
	s_mov_b32 s43, -1
	s_cbranch_vccz .LBB135_800
; %bb.797:
	v_cmp_eq_u16_e32 vcc_lo, 15, v3
	s_mov_b32 s2, -1
	s_cbranch_vccz .LBB135_799
; %bb.798:
	v_cvt_f32_f16_e32 v5, v2
	v_cmp_o_f16_e32 vcc_lo, v2, v2
	s_mov_b32 s42, -1
	s_mov_b32 s2, 0
	s_delay_alu instid0(VALU_DEP_2) | instskip(NEXT) | instid1(VALU_DEP_1)
	v_bfe_u32 v6, v5, 16, 1
	v_add3_u32 v5, v5, v6, 0x7fff
	s_delay_alu instid0(VALU_DEP_1) | instskip(NEXT) | instid1(VALU_DEP_1)
	v_lshrrev_b32_e32 v5, 16, v5
	v_cndmask_b32_e32 v5, 0x7fc0, v5, vcc_lo
	global_store_b16 v[0:1], v5, off
.LBB135_799:
	s_mov_b32 s43, 0
.LBB135_800:
	s_delay_alu instid0(SALU_CYCLE_1)
	s_and_b32 vcc_lo, exec_lo, s43
	s_cbranch_vccz .LBB135_803
; %bb.801:
	v_cmp_eq_u16_e32 vcc_lo, 11, v3
	s_mov_b32 s2, -1
	s_cbranch_vccz .LBB135_803
; %bb.802:
	v_cmp_neq_f16_e32 vcc_lo, 0, v2
	s_mov_b32 s2, 0
	s_mov_b32 s42, -1
	v_cndmask_b32_e64 v5, 0, 1, vcc_lo
	global_store_b8 v[0:1], v5, off
.LBB135_803:
.LBB135_804:
	s_and_not1_b32 vcc_lo, exec_lo, s42
	s_mov_b32 s42, 0
	s_cbranch_vccnz .LBB135_704
.LBB135_805:
	v_add_nc_u32_e32 v4, 0x80, v4
	s_mov_b32 s46, -1
	s_branch .LBB135_706
.LBB135_806:
	s_mov_b32 s3, -1
.LBB135_807:
                                        ; implicit-def: $vgpr5
.LBB135_808:
	s_and_b32 vcc_lo, exec_lo, s47
	s_cbranch_vccz .LBB135_814
; %bb.809:
	v_cmp_eq_u16_e32 vcc_lo, 44, v6
	s_cbranch_vccz .LBB135_813
; %bb.810:
	global_load_u8 v5, v[2:3], off
	s_mov_b32 s3, 0
	s_mov_b32 s2, -1
	s_waitcnt vmcnt(0)
	v_lshlrev_b32_e32 v7, 23, v5
	v_cmp_ne_u32_e32 vcc_lo, 0xff, v5
	s_delay_alu instid0(VALU_DEP_2) | instskip(NEXT) | instid1(VALU_DEP_1)
	v_cvt_f16_f32_e32 v7, v7
	v_cndmask_b32_e32 v7, 0x7e00, v7, vcc_lo
	v_cmp_ne_u32_e32 vcc_lo, 0, v5
	s_delay_alu instid0(VALU_DEP_2)
	v_cndmask_b32_e32 v5, 0, v7, vcc_lo
	s_branch .LBB135_814
.LBB135_811:
	s_or_saveexec_b32 s44, s44
                                        ; implicit-def: $sgpr46
	s_delay_alu instid0(SALU_CYCLE_1)
	s_xor_b32 exec_lo, exec_lo, s44
	s_cbranch_execz .LBB135_756
.LBB135_812:
	v_add_f32_e64 v6, 0x46000000, |v5|
	s_and_not1_b32 s43, s43, exec_lo
	s_mov_b32 s46, 0
	s_delay_alu instid0(VALU_DEP_1) | instskip(NEXT) | instid1(VALU_DEP_1)
	v_and_b32_e32 v6, 0xff, v6
	v_cmp_ne_u32_e32 vcc_lo, 0, v6
	s_and_b32 s47, vcc_lo, exec_lo
	s_delay_alu instid0(SALU_CYCLE_1)
	s_or_b32 s43, s43, s47
	s_or_b32 exec_lo, exec_lo, s44
	v_mov_b32_e32 v7, s46
	s_and_saveexec_b32 s44, s43
	s_cbranch_execnz .LBB135_757
	s_branch .LBB135_758
.LBB135_813:
	s_mov_b32 s3, -1
                                        ; implicit-def: $vgpr5
.LBB135_814:
	s_mov_b32 s47, 0
.LBB135_815:
	s_delay_alu instid0(SALU_CYCLE_1)
	s_and_b32 vcc_lo, exec_lo, s47
	s_cbranch_vccz .LBB135_819
; %bb.816:
	v_cmp_eq_u16_e32 vcc_lo, 29, v6
	s_cbranch_vccz .LBB135_818
; %bb.817:
	global_load_b64 v[7:8], v[2:3], off
	s_mov_b32 s2, -1
	s_mov_b32 s3, 0
	s_mov_b32 s47, 0
	s_waitcnt vmcnt(0)
	v_clz_i32_u32_e32 v5, v8
	s_delay_alu instid0(VALU_DEP_1) | instskip(NEXT) | instid1(VALU_DEP_1)
	v_min_u32_e32 v5, 32, v5
	v_lshlrev_b64 v[7:8], v5, v[7:8]
	v_sub_nc_u32_e32 v5, 32, v5
	s_delay_alu instid0(VALU_DEP_2) | instskip(NEXT) | instid1(VALU_DEP_1)
	v_min_u32_e32 v7, 1, v7
	v_or_b32_e32 v7, v8, v7
	s_delay_alu instid0(VALU_DEP_1) | instskip(NEXT) | instid1(VALU_DEP_1)
	v_cvt_f32_u32_e32 v7, v7
	v_ldexp_f32 v5, v7, v5
	s_delay_alu instid0(VALU_DEP_1)
	v_cvt_f16_f32_e32 v5, v5
	s_branch .LBB135_820
.LBB135_818:
	s_mov_b32 s3, -1
                                        ; implicit-def: $vgpr5
.LBB135_819:
	s_mov_b32 s47, 0
.LBB135_820:
	s_delay_alu instid0(SALU_CYCLE_1)
	s_and_b32 vcc_lo, exec_lo, s47
	s_cbranch_vccz .LBB135_838
; %bb.821:
	v_cmp_gt_i16_e32 vcc_lo, 27, v6
	s_cbranch_vccnz .LBB135_824
; %bb.822:
	v_cmp_lt_i16_e32 vcc_lo, 27, v6
	s_cbranch_vccz .LBB135_825
; %bb.823:
	global_load_b32 v5, v[2:3], off
	s_mov_b32 s2, 0
	s_waitcnt vmcnt(0)
	v_cvt_f32_u32_e32 v5, v5
	s_delay_alu instid0(VALU_DEP_1)
	v_cvt_f16_f32_e32 v5, v5
	s_branch .LBB135_826
.LBB135_824:
	s_mov_b32 s2, -1
                                        ; implicit-def: $vgpr5
	s_branch .LBB135_829
.LBB135_825:
	s_mov_b32 s2, -1
                                        ; implicit-def: $vgpr5
.LBB135_826:
	s_delay_alu instid0(SALU_CYCLE_1)
	s_and_not1_b32 vcc_lo, exec_lo, s2
	s_cbranch_vccnz .LBB135_828
; %bb.827:
	global_load_u16 v5, v[2:3], off
	s_waitcnt vmcnt(0)
	v_cvt_f16_u16_e32 v5, v5
.LBB135_828:
	s_mov_b32 s2, 0
.LBB135_829:
	s_delay_alu instid0(SALU_CYCLE_1)
	s_and_not1_b32 vcc_lo, exec_lo, s2
	s_cbranch_vccnz .LBB135_837
; %bb.830:
	global_load_u8 v7, v[2:3], off
	s_mov_b32 s2, 0
	s_mov_b32 s48, exec_lo
                                        ; implicit-def: $sgpr47
	s_waitcnt vmcnt(0)
	v_cmpx_lt_i16_e32 0x7f, v7
	s_xor_b32 s48, exec_lo, s48
	s_cbranch_execz .LBB135_851
; %bb.831:
	s_mov_b32 s2, -1
	s_mov_b32 s49, exec_lo
                                        ; implicit-def: $sgpr47
	v_cmpx_eq_u16_e32 0x80, v7
; %bb.832:
	s_movk_i32 s47, 0x7e00
	s_xor_b32 s2, exec_lo, -1
; %bb.833:
	s_or_b32 exec_lo, exec_lo, s49
	s_delay_alu instid0(SALU_CYCLE_1)
	s_and_b32 s2, s2, exec_lo
	s_or_saveexec_b32 s48, s48
	v_mov_b32_e32 v5, s47
	s_xor_b32 exec_lo, exec_lo, s48
	s_cbranch_execnz .LBB135_852
.LBB135_834:
	s_or_b32 exec_lo, exec_lo, s48
	s_and_saveexec_b32 s47, s2
	s_cbranch_execz .LBB135_836
.LBB135_835:
	v_and_b32_e32 v5, 0xffff, v7
	v_lshlrev_b32_e32 v7, 24, v7
	s_delay_alu instid0(VALU_DEP_2) | instskip(NEXT) | instid1(VALU_DEP_2)
	v_and_b32_e32 v8, 7, v5
	v_and_b32_e32 v7, 0x80000000, v7
	s_delay_alu instid0(VALU_DEP_2) | instskip(NEXT) | instid1(VALU_DEP_1)
	v_clz_i32_u32_e32 v9, v8
	v_min_u32_e32 v9, 32, v9
	s_delay_alu instid0(VALU_DEP_1) | instskip(SKIP_1) | instid1(VALU_DEP_2)
	v_subrev_nc_u32_e32 v10, 28, v9
	v_sub_nc_u32_e32 v9, 29, v9
	v_lshlrev_b32_e32 v10, v10, v5
	v_bfe_u32 v5, v5, 3, 4
	s_delay_alu instid0(VALU_DEP_1) | instskip(NEXT) | instid1(VALU_DEP_3)
	v_cmp_eq_u32_e32 vcc_lo, 0, v5
	v_dual_cndmask_b32 v5, v5, v9 :: v_dual_and_b32 v10, 7, v10
	s_delay_alu instid0(VALU_DEP_1) | instskip(NEXT) | instid1(VALU_DEP_2)
	v_cndmask_b32_e32 v8, v8, v10, vcc_lo
	v_lshl_add_u32 v5, v5, 23, 0x3b800000
	s_delay_alu instid0(VALU_DEP_2) | instskip(NEXT) | instid1(VALU_DEP_1)
	v_lshlrev_b32_e32 v8, 20, v8
	v_or3_b32 v5, v7, v5, v8
	s_delay_alu instid0(VALU_DEP_1)
	v_cvt_f16_f32_e32 v5, v5
.LBB135_836:
	s_or_b32 exec_lo, exec_lo, s47
.LBB135_837:
	s_mov_b32 s2, -1
.LBB135_838:
	s_mov_b32 s47, 0
.LBB135_839:
	s_delay_alu instid0(SALU_CYCLE_1)
	s_and_b32 vcc_lo, exec_lo, s47
	s_cbranch_vccz .LBB135_874
; %bb.840:
	v_cmp_lt_i16_e32 vcc_lo, 22, v6
	s_cbranch_vccz .LBB135_850
; %bb.841:
	v_cmp_gt_i16_e32 vcc_lo, 24, v6
	s_cbranch_vccnz .LBB135_853
; %bb.842:
	v_cmp_lt_i16_e32 vcc_lo, 24, v6
	s_cbranch_vccz .LBB135_854
; %bb.843:
	global_load_u8 v7, v[2:3], off
	s_mov_b32 s2, 0
	s_mov_b32 s48, exec_lo
                                        ; implicit-def: $sgpr47
	s_waitcnt vmcnt(0)
	v_cmpx_lt_i16_e32 0x7f, v7
	s_xor_b32 s48, exec_lo, s48
	s_cbranch_execz .LBB135_866
; %bb.844:
	s_mov_b32 s2, -1
	s_mov_b32 s49, exec_lo
                                        ; implicit-def: $sgpr47
	v_cmpx_eq_u16_e32 0x80, v7
; %bb.845:
	s_movk_i32 s47, 0x7e00
	s_xor_b32 s2, exec_lo, -1
; %bb.846:
	s_or_b32 exec_lo, exec_lo, s49
	s_delay_alu instid0(SALU_CYCLE_1)
	s_and_b32 s2, s2, exec_lo
	s_or_saveexec_b32 s48, s48
	v_mov_b32_e32 v5, s47
	s_xor_b32 exec_lo, exec_lo, s48
	s_cbranch_execnz .LBB135_867
.LBB135_847:
	s_or_b32 exec_lo, exec_lo, s48
	s_and_saveexec_b32 s47, s2
	s_cbranch_execz .LBB135_849
.LBB135_848:
	v_and_b32_e32 v5, 0xffff, v7
	v_lshlrev_b32_e32 v7, 24, v7
	s_delay_alu instid0(VALU_DEP_2) | instskip(NEXT) | instid1(VALU_DEP_2)
	v_and_b32_e32 v8, 3, v5
	v_and_b32_e32 v7, 0x80000000, v7
	s_delay_alu instid0(VALU_DEP_2) | instskip(NEXT) | instid1(VALU_DEP_1)
	v_clz_i32_u32_e32 v9, v8
	v_min_u32_e32 v9, 32, v9
	s_delay_alu instid0(VALU_DEP_1) | instskip(SKIP_1) | instid1(VALU_DEP_2)
	v_subrev_nc_u32_e32 v10, 29, v9
	v_sub_nc_u32_e32 v9, 30, v9
	v_lshlrev_b32_e32 v10, v10, v5
	v_bfe_u32 v5, v5, 2, 5
	s_delay_alu instid0(VALU_DEP_1) | instskip(NEXT) | instid1(VALU_DEP_3)
	v_cmp_eq_u32_e32 vcc_lo, 0, v5
	v_dual_cndmask_b32 v5, v5, v9 :: v_dual_and_b32 v10, 3, v10
	s_delay_alu instid0(VALU_DEP_1) | instskip(NEXT) | instid1(VALU_DEP_2)
	v_cndmask_b32_e32 v8, v8, v10, vcc_lo
	v_lshl_add_u32 v5, v5, 23, 0x37800000
	s_delay_alu instid0(VALU_DEP_2) | instskip(NEXT) | instid1(VALU_DEP_1)
	v_lshlrev_b32_e32 v8, 21, v8
	v_or3_b32 v5, v7, v5, v8
	s_delay_alu instid0(VALU_DEP_1)
	v_cvt_f16_f32_e32 v5, v5
.LBB135_849:
	s_or_b32 exec_lo, exec_lo, s47
	s_mov_b32 s2, 0
	s_branch .LBB135_855
.LBB135_850:
	s_mov_b32 s47, -1
                                        ; implicit-def: $vgpr5
	s_branch .LBB135_861
.LBB135_851:
	s_or_saveexec_b32 s48, s48
	v_mov_b32_e32 v5, s47
	s_xor_b32 exec_lo, exec_lo, s48
	s_cbranch_execz .LBB135_834
.LBB135_852:
	v_cmp_ne_u16_e32 vcc_lo, 0, v7
	v_mov_b32_e32 v5, v7
	s_and_not1_b32 s2, s2, exec_lo
	s_and_b32 s47, vcc_lo, exec_lo
	s_delay_alu instid0(SALU_CYCLE_1)
	s_or_b32 s2, s2, s47
	s_or_b32 exec_lo, exec_lo, s48
	s_and_saveexec_b32 s47, s2
	s_cbranch_execnz .LBB135_835
	s_branch .LBB135_836
.LBB135_853:
	s_mov_b32 s2, -1
                                        ; implicit-def: $vgpr5
	s_branch .LBB135_858
.LBB135_854:
	s_mov_b32 s2, -1
                                        ; implicit-def: $vgpr5
.LBB135_855:
	s_delay_alu instid0(SALU_CYCLE_1)
	s_and_b32 vcc_lo, exec_lo, s2
	s_cbranch_vccz .LBB135_857
; %bb.856:
	global_load_u8 v5, v[2:3], off
	s_waitcnt vmcnt(0)
	v_lshlrev_b32_e32 v5, 24, v5
	s_delay_alu instid0(VALU_DEP_1) | instskip(NEXT) | instid1(VALU_DEP_1)
	v_and_b32_e32 v7, 0x7f000000, v5
	v_clz_i32_u32_e32 v8, v7
	v_cmp_ne_u32_e32 vcc_lo, 0, v7
	v_add_nc_u32_e32 v10, 0x1000000, v7
	s_delay_alu instid0(VALU_DEP_3) | instskip(NEXT) | instid1(VALU_DEP_1)
	v_min_u32_e32 v8, 32, v8
	v_sub_nc_u32_e64 v8, v8, 4 clamp
	s_delay_alu instid0(VALU_DEP_1) | instskip(SKIP_1) | instid1(VALU_DEP_2)
	v_lshlrev_b32_e32 v9, v8, v7
	v_lshlrev_b32_e32 v8, 23, v8
	v_lshrrev_b32_e32 v9, 4, v9
	s_delay_alu instid0(VALU_DEP_1) | instskip(SKIP_1) | instid1(VALU_DEP_2)
	v_sub_nc_u32_e32 v8, v9, v8
	v_ashrrev_i32_e32 v9, 8, v10
	v_add_nc_u32_e32 v8, 0x3c000000, v8
	s_delay_alu instid0(VALU_DEP_1) | instskip(NEXT) | instid1(VALU_DEP_1)
	v_and_or_b32 v8, 0x7f800000, v9, v8
	v_cndmask_b32_e32 v7, 0, v8, vcc_lo
	s_delay_alu instid0(VALU_DEP_1) | instskip(NEXT) | instid1(VALU_DEP_1)
	v_and_or_b32 v5, 0x80000000, v5, v7
	v_cvt_f16_f32_e32 v5, v5
.LBB135_857:
	s_mov_b32 s2, 0
.LBB135_858:
	s_delay_alu instid0(SALU_CYCLE_1)
	s_and_not1_b32 vcc_lo, exec_lo, s2
	s_cbranch_vccnz .LBB135_860
; %bb.859:
	global_load_u8 v5, v[2:3], off
	s_waitcnt vmcnt(0)
	v_lshlrev_b32_e32 v7, 25, v5
	v_lshlrev_b16 v5, 8, v5
	s_delay_alu instid0(VALU_DEP_2) | instskip(NEXT) | instid1(VALU_DEP_2)
	v_lshrrev_b32_e32 v8, 4, v7
	v_and_or_b32 v9, 0x7f00, v5, 0.5
	v_bfe_i32 v5, v5, 0, 16
	s_delay_alu instid0(VALU_DEP_3) | instskip(NEXT) | instid1(VALU_DEP_1)
	v_or_b32_e32 v8, 0x70000000, v8
	v_dual_add_f32 v9, -0.5, v9 :: v_dual_mul_f32 v8, 0x7800000, v8
	v_cmp_gt_u32_e32 vcc_lo, 0x8000000, v7
	s_delay_alu instid0(VALU_DEP_2) | instskip(NEXT) | instid1(VALU_DEP_1)
	v_cndmask_b32_e32 v7, v8, v9, vcc_lo
	v_and_or_b32 v5, 0x80000000, v5, v7
	s_delay_alu instid0(VALU_DEP_1)
	v_cvt_f16_f32_e32 v5, v5
.LBB135_860:
	s_mov_b32 s47, 0
	s_mov_b32 s2, -1
.LBB135_861:
	s_and_not1_b32 vcc_lo, exec_lo, s47
	s_cbranch_vccnz .LBB135_874
; %bb.862:
	v_cmp_lt_i16_e32 vcc_lo, 14, v6
	s_cbranch_vccz .LBB135_865
; %bb.863:
	v_cmp_eq_u16_e32 vcc_lo, 15, v6
	s_cbranch_vccz .LBB135_868
; %bb.864:
	global_load_u16 v5, v[2:3], off
	s_mov_b32 s2, -1
	s_mov_b32 s3, 0
	s_waitcnt vmcnt(0)
	v_lshlrev_b32_e32 v5, 16, v5
	s_delay_alu instid0(VALU_DEP_1)
	v_cvt_f16_f32_e32 v5, v5
	s_branch .LBB135_869
.LBB135_865:
	s_mov_b32 s47, -1
                                        ; implicit-def: $vgpr5
	s_branch .LBB135_870
.LBB135_866:
	s_or_saveexec_b32 s48, s48
	v_mov_b32_e32 v5, s47
	s_xor_b32 exec_lo, exec_lo, s48
	s_cbranch_execz .LBB135_847
.LBB135_867:
	v_cmp_ne_u16_e32 vcc_lo, 0, v7
	v_mov_b32_e32 v5, v7
	s_and_not1_b32 s2, s2, exec_lo
	s_and_b32 s47, vcc_lo, exec_lo
	s_delay_alu instid0(SALU_CYCLE_1)
	s_or_b32 s2, s2, s47
	s_or_b32 exec_lo, exec_lo, s48
	s_and_saveexec_b32 s47, s2
	s_cbranch_execnz .LBB135_848
	s_branch .LBB135_849
.LBB135_868:
	s_mov_b32 s3, -1
                                        ; implicit-def: $vgpr5
.LBB135_869:
	s_mov_b32 s47, 0
.LBB135_870:
	s_delay_alu instid0(SALU_CYCLE_1)
	s_and_b32 vcc_lo, exec_lo, s47
	s_cbranch_vccz .LBB135_874
; %bb.871:
	v_cmp_eq_u16_e32 vcc_lo, 11, v6
	s_cbranch_vccz .LBB135_873
; %bb.872:
	global_load_u8 v5, v[2:3], off
	s_mov_b32 s3, 0
	s_mov_b32 s2, -1
	s_waitcnt vmcnt(0)
	v_cmp_ne_u16_e32 vcc_lo, 0, v5
	v_cndmask_b32_e64 v5, 0, 0x3c00, vcc_lo
	s_branch .LBB135_874
.LBB135_873:
	s_mov_b32 s3, -1
                                        ; implicit-def: $vgpr5
.LBB135_874:
	s_mov_b32 s47, 0
.LBB135_875:
	s_delay_alu instid0(SALU_CYCLE_1)
	s_and_b32 vcc_lo, exec_lo, s47
	s_cbranch_vccz .LBB135_924
; %bb.876:
	v_cmp_gt_i16_e32 vcc_lo, 5, v6
	s_cbranch_vccnz .LBB135_881
; %bb.877:
	v_cmp_gt_i16_e32 vcc_lo, 8, v6
	s_cbranch_vccnz .LBB135_882
	;; [unrolled: 3-line block ×3, first 2 shown]
; %bb.879:
	v_cmp_lt_i16_e32 vcc_lo, 9, v6
	s_cbranch_vccz .LBB135_884
; %bb.880:
	global_load_b64 v[7:8], v[2:3], off
	s_mov_b32 s2, 0
	s_waitcnt vmcnt(0)
	v_cvt_f32_f64_e32 v5, v[7:8]
	s_delay_alu instid0(VALU_DEP_1)
	v_cvt_f16_f32_e32 v5, v5
	s_branch .LBB135_885
.LBB135_881:
	s_mov_b32 s2, -1
                                        ; implicit-def: $vgpr5
	s_branch .LBB135_903
.LBB135_882:
	s_mov_b32 s2, -1
                                        ; implicit-def: $vgpr5
	s_branch .LBB135_891
.LBB135_883:
	s_mov_b32 s2, -1
                                        ; implicit-def: $vgpr5
	s_branch .LBB135_888
.LBB135_884:
	s_mov_b32 s2, -1
                                        ; implicit-def: $vgpr5
.LBB135_885:
	s_delay_alu instid0(SALU_CYCLE_1)
	s_and_not1_b32 vcc_lo, exec_lo, s2
	s_cbranch_vccnz .LBB135_887
; %bb.886:
	global_load_b32 v5, v[2:3], off
	s_waitcnt vmcnt(0)
	v_cvt_f16_f32_e32 v5, v5
.LBB135_887:
	s_mov_b32 s2, 0
.LBB135_888:
	s_delay_alu instid0(SALU_CYCLE_1)
	s_and_not1_b32 vcc_lo, exec_lo, s2
	s_cbranch_vccnz .LBB135_890
; %bb.889:
	global_load_b32 v5, v[2:3], off
.LBB135_890:
	s_mov_b32 s2, 0
.LBB135_891:
	s_delay_alu instid0(SALU_CYCLE_1)
	s_and_not1_b32 vcc_lo, exec_lo, s2
	s_cbranch_vccnz .LBB135_902
; %bb.892:
	v_cmp_gt_i16_e32 vcc_lo, 6, v6
	s_cbranch_vccnz .LBB135_895
; %bb.893:
	v_cmp_lt_i16_e32 vcc_lo, 6, v6
	s_cbranch_vccz .LBB135_896
; %bb.894:
	global_load_b64 v[7:8], v[2:3], off
	s_mov_b32 s2, 0
	s_waitcnt vmcnt(0)
	v_cvt_f32_f64_e32 v5, v[7:8]
	s_delay_alu instid0(VALU_DEP_1)
	v_cvt_f16_f32_e32 v5, v5
	s_branch .LBB135_897
.LBB135_895:
	s_mov_b32 s2, -1
                                        ; implicit-def: $vgpr5
	s_branch .LBB135_900
.LBB135_896:
	s_mov_b32 s2, -1
                                        ; implicit-def: $vgpr5
.LBB135_897:
	s_delay_alu instid0(SALU_CYCLE_1)
	s_and_not1_b32 vcc_lo, exec_lo, s2
	s_cbranch_vccnz .LBB135_899
; %bb.898:
	global_load_b32 v5, v[2:3], off
	s_waitcnt vmcnt(0)
	v_cvt_f16_f32_e32 v5, v5
.LBB135_899:
	s_mov_b32 s2, 0
.LBB135_900:
	s_delay_alu instid0(SALU_CYCLE_1)
	s_and_not1_b32 vcc_lo, exec_lo, s2
	s_cbranch_vccnz .LBB135_902
; %bb.901:
	global_load_u16 v5, v[2:3], off
.LBB135_902:
	s_mov_b32 s2, 0
.LBB135_903:
	s_delay_alu instid0(SALU_CYCLE_1)
	s_and_not1_b32 vcc_lo, exec_lo, s2
	s_cbranch_vccnz .LBB135_923
; %bb.904:
	v_cmp_gt_i16_e32 vcc_lo, 2, v6
	s_cbranch_vccnz .LBB135_908
; %bb.905:
	v_cmp_gt_i16_e32 vcc_lo, 3, v6
	s_cbranch_vccnz .LBB135_909
; %bb.906:
	v_cmp_lt_i16_e32 vcc_lo, 3, v6
	s_cbranch_vccz .LBB135_910
; %bb.907:
	global_load_b64 v[7:8], v[2:3], off
	s_mov_b32 s2, 0
	s_waitcnt vmcnt(0)
	v_xor_b32_e32 v5, v7, v8
	v_cls_i32_e32 v9, v8
	s_delay_alu instid0(VALU_DEP_2) | instskip(NEXT) | instid1(VALU_DEP_2)
	v_ashrrev_i32_e32 v5, 31, v5
	v_add_nc_u32_e32 v9, -1, v9
	s_delay_alu instid0(VALU_DEP_2) | instskip(NEXT) | instid1(VALU_DEP_1)
	v_add_nc_u32_e32 v5, 32, v5
	v_min_u32_e32 v5, v9, v5
	s_delay_alu instid0(VALU_DEP_1) | instskip(SKIP_1) | instid1(VALU_DEP_2)
	v_lshlrev_b64 v[7:8], v5, v[7:8]
	v_sub_nc_u32_e32 v5, 32, v5
	v_min_u32_e32 v7, 1, v7
	s_delay_alu instid0(VALU_DEP_1) | instskip(NEXT) | instid1(VALU_DEP_1)
	v_or_b32_e32 v7, v8, v7
	v_cvt_f32_i32_e32 v7, v7
	s_delay_alu instid0(VALU_DEP_1) | instskip(NEXT) | instid1(VALU_DEP_1)
	v_ldexp_f32 v5, v7, v5
	v_cvt_f16_f32_e32 v5, v5
	s_branch .LBB135_911
.LBB135_908:
	s_mov_b32 s2, -1
                                        ; implicit-def: $vgpr5
	s_branch .LBB135_917
.LBB135_909:
	s_mov_b32 s2, -1
                                        ; implicit-def: $vgpr5
	s_branch .LBB135_914
.LBB135_910:
	s_mov_b32 s2, -1
                                        ; implicit-def: $vgpr5
.LBB135_911:
	s_delay_alu instid0(SALU_CYCLE_1)
	s_and_not1_b32 vcc_lo, exec_lo, s2
	s_cbranch_vccnz .LBB135_913
; %bb.912:
	global_load_b32 v5, v[2:3], off
	s_waitcnt vmcnt(0)
	v_cvt_f32_i32_e32 v5, v5
	s_delay_alu instid0(VALU_DEP_1)
	v_cvt_f16_f32_e32 v5, v5
.LBB135_913:
	s_mov_b32 s2, 0
.LBB135_914:
	s_delay_alu instid0(SALU_CYCLE_1)
	s_and_not1_b32 vcc_lo, exec_lo, s2
	s_cbranch_vccnz .LBB135_916
; %bb.915:
	global_load_u16 v5, v[2:3], off
	s_waitcnt vmcnt(0)
	v_cvt_f16_i16_e32 v5, v5
.LBB135_916:
	s_mov_b32 s2, 0
.LBB135_917:
	s_delay_alu instid0(SALU_CYCLE_1)
	s_and_not1_b32 vcc_lo, exec_lo, s2
	s_cbranch_vccnz .LBB135_923
; %bb.918:
	v_cmp_lt_i16_e32 vcc_lo, 0, v6
	s_mov_b32 s2, 0
	s_cbranch_vccz .LBB135_920
; %bb.919:
	global_load_i8 v5, v[2:3], off
	s_waitcnt vmcnt(0)
	v_cvt_f16_i16_e32 v5, v5
	s_branch .LBB135_921
.LBB135_920:
	s_mov_b32 s2, -1
                                        ; implicit-def: $vgpr5
.LBB135_921:
	s_delay_alu instid0(SALU_CYCLE_1)
	s_and_not1_b32 vcc_lo, exec_lo, s2
	s_cbranch_vccnz .LBB135_923
; %bb.922:
	global_load_u8 v2, v[2:3], off
	s_waitcnt vmcnt(0)
	v_cvt_f16_u16_e32 v5, v2
.LBB135_923:
	s_mov_b32 s2, -1
.LBB135_924:
	s_delay_alu instid0(SALU_CYCLE_1)
	s_and_not1_b32 vcc_lo, exec_lo, s2
	s_cbranch_vccnz .LBB135_932
; %bb.925:
	v_and_b32_e64 v3, 0xff, s31
	v_add_co_u32 v1, s2, s8, v1
	s_delay_alu instid0(VALU_DEP_1) | instskip(NEXT) | instid1(VALU_DEP_3)
	v_add_co_ci_u32_e64 v2, null, s9, 0, s2
	v_cmp_gt_i16_e32 vcc_lo, 11, v3
	s_mov_b32 s2, 0
	s_cbranch_vccnz .LBB135_933
; %bb.926:
	v_cmp_lt_i16_e32 vcc_lo, 25, v3
	s_cbranch_vccz .LBB135_934
; %bb.927:
	v_cmp_lt_i16_e32 vcc_lo, 28, v3
	s_cbranch_vccz .LBB135_935
; %bb.928:
	v_cmp_lt_i16_e32 vcc_lo, 43, v3
	s_cbranch_vccz .LBB135_936
; %bb.929:
	v_cmp_lt_i16_e32 vcc_lo, 45, v3
	s_cbranch_vccz .LBB135_937
; %bb.930:
	v_cmp_eq_u16_e32 vcc_lo, 46, v3
	s_mov_b32 s49, 0
	s_cbranch_vccz .LBB135_940
; %bb.931:
	global_load_b32 v6, v[1:2], off
	s_mov_b32 s47, 0
	s_mov_b32 s2, -1
	s_waitcnt vmcnt(0)
	v_and_b32_e32 v6, 0x7fff7fff, v6
	s_delay_alu instid0(VALU_DEP_1)
	v_cmp_ne_u32_e32 vcc_lo, 0, v6
	s_and_b32 s48, vcc_lo, exec_lo
	s_branch .LBB135_942
.LBB135_932:
	s_mov_b32 s50, 0
	s_mov_b32 s2, s43
	;; [unrolled: 1-line block ×3, first 2 shown]
	s_branch .LBB135_1103
.LBB135_933:
	s_mov_b32 s49, -1
	s_mov_b32 s47, s44
                                        ; implicit-def: $sgpr48
	s_branch .LBB135_1005
.LBB135_934:
	s_mov_b32 s49, -1
	s_mov_b32 s47, s44
                                        ; implicit-def: $sgpr48
	s_branch .LBB135_969
.LBB135_935:
	s_mov_b32 s49, -1
	s_mov_b32 s47, s44
                                        ; implicit-def: $sgpr48
	s_branch .LBB135_950
.LBB135_936:
	s_mov_b32 s49, -1
	s_mov_b32 s47, s44
                                        ; implicit-def: $sgpr48
	s_branch .LBB135_945
.LBB135_937:
	s_mov_b32 s49, -1
	s_mov_b32 s47, s44
	s_branch .LBB135_941
.LBB135_938:
	s_or_saveexec_b32 s44, s44
                                        ; implicit-def: $sgpr46
	s_delay_alu instid0(SALU_CYCLE_1)
	s_xor_b32 exec_lo, exec_lo, s44
	s_cbranch_execz .LBB135_769
.LBB135_939:
	v_add_f32_e64 v6, 0x42800000, |v5|
	s_and_not1_b32 s43, s43, exec_lo
	s_mov_b32 s46, 0
	s_delay_alu instid0(VALU_DEP_1) | instskip(NEXT) | instid1(VALU_DEP_1)
	v_and_b32_e32 v6, 0xff, v6
	v_cmp_ne_u32_e32 vcc_lo, 0, v6
	s_and_b32 s47, vcc_lo, exec_lo
	s_delay_alu instid0(SALU_CYCLE_1)
	s_or_b32 s43, s43, s47
	s_or_b32 exec_lo, exec_lo, s44
	v_mov_b32_e32 v7, s46
	s_and_saveexec_b32 s44, s43
	s_cbranch_execnz .LBB135_770
	s_branch .LBB135_771
.LBB135_940:
	s_mov_b32 s47, -1
.LBB135_941:
                                        ; implicit-def: $sgpr48
.LBB135_942:
	s_and_b32 vcc_lo, exec_lo, s49
	s_cbranch_vccz .LBB135_944
; %bb.943:
	v_cmp_eq_u16_e64 s2, 44, v3
	s_or_b32 s48, s48, exec_lo
	s_or_b32 s47, s47, exec_lo
.LBB135_944:
	s_mov_b32 s49, 0
.LBB135_945:
	s_delay_alu instid0(SALU_CYCLE_1)
	s_and_b32 vcc_lo, exec_lo, s49
	s_cbranch_vccz .LBB135_949
; %bb.946:
	v_cmp_eq_u16_e32 vcc_lo, 29, v3
	s_cbranch_vccz .LBB135_948
; %bb.947:
	global_load_b64 v[6:7], v[1:2], off
	s_mov_b32 s2, -1
	s_mov_b32 s47, 0
	s_mov_b32 s49, 0
	s_waitcnt vmcnt(0)
	v_cmp_ne_u64_e32 vcc_lo, 0, v[6:7]
	s_and_b32 s48, vcc_lo, exec_lo
	s_branch .LBB135_950
.LBB135_948:
	s_mov_b32 s47, -1
                                        ; implicit-def: $sgpr48
.LBB135_949:
	s_mov_b32 s49, 0
.LBB135_950:
	s_delay_alu instid0(SALU_CYCLE_1)
	s_and_b32 vcc_lo, exec_lo, s49
	s_cbranch_vccz .LBB135_968
; %bb.951:
	v_cmp_gt_i16_e32 vcc_lo, 27, v3
	s_cbranch_vccnz .LBB135_954
; %bb.952:
	v_cmp_lt_i16_e32 vcc_lo, 27, v3
	s_cbranch_vccz .LBB135_955
; %bb.953:
	global_load_b32 v6, v[1:2], off
	s_mov_b32 s2, 0
	s_waitcnt vmcnt(0)
	v_cmp_ne_u32_e32 vcc_lo, 0, v6
	s_and_b32 s48, vcc_lo, exec_lo
	s_branch .LBB135_956
.LBB135_954:
	s_mov_b32 s2, -1
                                        ; implicit-def: $sgpr48
	s_branch .LBB135_959
.LBB135_955:
	s_mov_b32 s2, -1
                                        ; implicit-def: $sgpr48
.LBB135_956:
	s_delay_alu instid0(SALU_CYCLE_1)
	s_and_not1_b32 vcc_lo, exec_lo, s2
	s_cbranch_vccnz .LBB135_958
; %bb.957:
	global_load_u16 v6, v[1:2], off
	s_and_not1_b32 s2, s48, exec_lo
	s_waitcnt vmcnt(0)
	v_cmp_ne_u16_e32 vcc_lo, 0, v6
	s_and_b32 s48, vcc_lo, exec_lo
	s_delay_alu instid0(SALU_CYCLE_1)
	s_or_b32 s48, s2, s48
.LBB135_958:
	s_mov_b32 s2, 0
.LBB135_959:
	s_delay_alu instid0(SALU_CYCLE_1)
	s_and_not1_b32 vcc_lo, exec_lo, s2
	s_cbranch_vccnz .LBB135_967
; %bb.960:
	global_load_u8 v6, v[1:2], off
	s_mov_b32 s2, 0
	s_mov_b32 s49, exec_lo
                                        ; implicit-def: $sgpr48
	s_waitcnt vmcnt(0)
	v_cmpx_lt_i16_e32 0x7f, v6
	s_xor_b32 s49, exec_lo, s49
	s_cbranch_execz .LBB135_981
; %bb.961:
	s_mov_b32 s2, -1
	s_mov_b32 s50, exec_lo
                                        ; implicit-def: $sgpr48
	v_cmpx_eq_u16_e32 0x80, v6
; %bb.962:
	s_mov_b32 s48, -1
	s_xor_b32 s2, exec_lo, -1
; %bb.963:
	s_or_b32 exec_lo, exec_lo, s50
	s_delay_alu instid0(SALU_CYCLE_1)
	s_and_b32 s2, s2, exec_lo
	s_and_not1_saveexec_b32 s49, s49
	s_cbranch_execnz .LBB135_982
.LBB135_964:
	s_or_b32 exec_lo, exec_lo, s49
	s_and_saveexec_b32 s49, s2
	s_cbranch_execz .LBB135_966
.LBB135_965:
	v_and_b32_e32 v6, 0xffff, v6
	s_and_not1_b32 s2, s48, exec_lo
	s_delay_alu instid0(VALU_DEP_1) | instskip(NEXT) | instid1(VALU_DEP_1)
	v_and_b32_e32 v7, 7, v6
	v_clz_i32_u32_e32 v8, v7
	s_delay_alu instid0(VALU_DEP_1) | instskip(NEXT) | instid1(VALU_DEP_1)
	v_min_u32_e32 v8, 32, v8
	v_subrev_nc_u32_e32 v9, 28, v8
	v_sub_nc_u32_e32 v8, 29, v8
	s_delay_alu instid0(VALU_DEP_2) | instskip(SKIP_1) | instid1(VALU_DEP_2)
	v_lshlrev_b32_e32 v9, v9, v6
	v_bfe_u32 v6, v6, 3, 4
	v_and_b32_e32 v9, 7, v9
	s_delay_alu instid0(VALU_DEP_2) | instskip(NEXT) | instid1(VALU_DEP_2)
	v_cmp_eq_u32_e32 vcc_lo, 0, v6
	v_dual_cndmask_b32 v6, v6, v8 :: v_dual_cndmask_b32 v7, v7, v9
	s_delay_alu instid0(VALU_DEP_1) | instskip(NEXT) | instid1(VALU_DEP_2)
	v_lshl_add_u32 v6, v6, 23, 0x3b800000
	v_lshlrev_b32_e32 v7, 20, v7
	s_delay_alu instid0(VALU_DEP_1) | instskip(NEXT) | instid1(VALU_DEP_1)
	v_and_or_b32 v6, 0x7f800000, v6, v7
	v_cmp_ne_u32_e32 vcc_lo, 0, v6
	s_and_b32 s48, vcc_lo, exec_lo
	s_delay_alu instid0(SALU_CYCLE_1)
	s_or_b32 s48, s2, s48
.LBB135_966:
	s_or_b32 exec_lo, exec_lo, s49
.LBB135_967:
	s_mov_b32 s2, -1
.LBB135_968:
	s_mov_b32 s49, 0
.LBB135_969:
	s_delay_alu instid0(SALU_CYCLE_1)
	s_and_b32 vcc_lo, exec_lo, s49
	s_cbranch_vccz .LBB135_1004
; %bb.970:
	v_cmp_lt_i16_e32 vcc_lo, 22, v3
	s_cbranch_vccz .LBB135_980
; %bb.971:
	v_cmp_gt_i16_e32 vcc_lo, 24, v3
	s_cbranch_vccnz .LBB135_983
; %bb.972:
	v_cmp_lt_i16_e32 vcc_lo, 24, v3
	s_cbranch_vccz .LBB135_984
; %bb.973:
	global_load_u8 v6, v[1:2], off
	s_mov_b32 s2, 0
	s_mov_b32 s49, exec_lo
                                        ; implicit-def: $sgpr48
	s_waitcnt vmcnt(0)
	v_cmpx_lt_i16_e32 0x7f, v6
	s_xor_b32 s49, exec_lo, s49
	s_cbranch_execz .LBB135_996
; %bb.974:
	s_mov_b32 s2, -1
	s_mov_b32 s50, exec_lo
                                        ; implicit-def: $sgpr48
	v_cmpx_eq_u16_e32 0x80, v6
; %bb.975:
	s_mov_b32 s48, -1
	s_xor_b32 s2, exec_lo, -1
; %bb.976:
	s_or_b32 exec_lo, exec_lo, s50
	s_delay_alu instid0(SALU_CYCLE_1)
	s_and_b32 s2, s2, exec_lo
	s_and_not1_saveexec_b32 s49, s49
	s_cbranch_execnz .LBB135_997
.LBB135_977:
	s_or_b32 exec_lo, exec_lo, s49
	s_and_saveexec_b32 s49, s2
	s_cbranch_execz .LBB135_979
.LBB135_978:
	v_and_b32_e32 v6, 0xffff, v6
	s_and_not1_b32 s2, s48, exec_lo
	s_delay_alu instid0(VALU_DEP_1) | instskip(NEXT) | instid1(VALU_DEP_1)
	v_and_b32_e32 v7, 3, v6
	v_clz_i32_u32_e32 v8, v7
	s_delay_alu instid0(VALU_DEP_1) | instskip(NEXT) | instid1(VALU_DEP_1)
	v_min_u32_e32 v8, 32, v8
	v_subrev_nc_u32_e32 v9, 29, v8
	v_sub_nc_u32_e32 v8, 30, v8
	s_delay_alu instid0(VALU_DEP_2) | instskip(SKIP_1) | instid1(VALU_DEP_2)
	v_lshlrev_b32_e32 v9, v9, v6
	v_bfe_u32 v6, v6, 2, 5
	v_and_b32_e32 v9, 3, v9
	s_delay_alu instid0(VALU_DEP_2) | instskip(NEXT) | instid1(VALU_DEP_2)
	v_cmp_eq_u32_e32 vcc_lo, 0, v6
	v_dual_cndmask_b32 v6, v6, v8 :: v_dual_cndmask_b32 v7, v7, v9
	s_delay_alu instid0(VALU_DEP_1) | instskip(NEXT) | instid1(VALU_DEP_2)
	v_lshl_add_u32 v6, v6, 23, 0x37800000
	v_lshlrev_b32_e32 v7, 21, v7
	s_delay_alu instid0(VALU_DEP_1) | instskip(NEXT) | instid1(VALU_DEP_1)
	v_and_or_b32 v6, 0x7f800000, v6, v7
	v_cmp_ne_u32_e32 vcc_lo, 0, v6
	s_and_b32 s48, vcc_lo, exec_lo
	s_delay_alu instid0(SALU_CYCLE_1)
	s_or_b32 s48, s2, s48
.LBB135_979:
	s_or_b32 exec_lo, exec_lo, s49
	s_mov_b32 s2, 0
	s_branch .LBB135_985
.LBB135_980:
	s_mov_b32 s49, -1
                                        ; implicit-def: $sgpr48
	s_branch .LBB135_991
.LBB135_981:
	s_and_not1_saveexec_b32 s49, s49
	s_cbranch_execz .LBB135_964
.LBB135_982:
	v_cmp_ne_u16_e32 vcc_lo, 0, v6
	s_and_not1_b32 s2, s2, exec_lo
	s_and_not1_b32 s48, s48, exec_lo
	s_and_b32 s50, vcc_lo, exec_lo
	s_delay_alu instid0(SALU_CYCLE_1)
	s_or_b32 s2, s2, s50
	s_or_b32 exec_lo, exec_lo, s49
	s_and_saveexec_b32 s49, s2
	s_cbranch_execnz .LBB135_965
	s_branch .LBB135_966
.LBB135_983:
	s_mov_b32 s2, -1
                                        ; implicit-def: $sgpr48
	s_branch .LBB135_988
.LBB135_984:
	s_mov_b32 s2, -1
                                        ; implicit-def: $sgpr48
.LBB135_985:
	s_delay_alu instid0(SALU_CYCLE_1)
	s_and_b32 vcc_lo, exec_lo, s2
	s_cbranch_vccz .LBB135_987
; %bb.986:
	global_load_u8 v6, v[1:2], off
	s_and_not1_b32 s48, s48, exec_lo
	s_waitcnt vmcnt(0)
	v_lshlrev_b32_e32 v6, 24, v6
	s_delay_alu instid0(VALU_DEP_1) | instskip(NEXT) | instid1(VALU_DEP_1)
	v_and_b32_e32 v6, 0x7f000000, v6
	v_clz_i32_u32_e32 v7, v6
	v_add_nc_u32_e32 v9, 0x1000000, v6
	v_cmp_ne_u32_e32 vcc_lo, 0, v6
	s_delay_alu instid0(VALU_DEP_3) | instskip(NEXT) | instid1(VALU_DEP_3)
	v_min_u32_e32 v7, 32, v7
	v_ashrrev_i32_e32 v9, 8, v9
	s_delay_alu instid0(VALU_DEP_2) | instskip(NEXT) | instid1(VALU_DEP_1)
	v_sub_nc_u32_e64 v7, v7, 4 clamp
	v_lshlrev_b32_e32 v8, v7, v6
	v_lshlrev_b32_e32 v7, 23, v7
	s_delay_alu instid0(VALU_DEP_2) | instskip(NEXT) | instid1(VALU_DEP_1)
	v_lshrrev_b32_e32 v8, 4, v8
	v_sub_nc_u32_e32 v7, v8, v7
	v_and_b32_e32 v8, 0x7f800000, v9
	s_delay_alu instid0(VALU_DEP_2) | instskip(NEXT) | instid1(VALU_DEP_1)
	v_add_nc_u32_e32 v7, 0x3c000000, v7
	v_and_or_b32 v7, 0x7ff00000, v7, v8
	s_delay_alu instid0(VALU_DEP_1) | instskip(NEXT) | instid1(VALU_DEP_1)
	v_cmp_ne_u32_e64 s2, 0, v7
	s_and_b32 s2, vcc_lo, s2
	s_delay_alu instid0(SALU_CYCLE_1) | instskip(NEXT) | instid1(SALU_CYCLE_1)
	s_and_b32 s2, s2, exec_lo
	s_or_b32 s48, s48, s2
.LBB135_987:
	s_mov_b32 s2, 0
.LBB135_988:
	s_delay_alu instid0(SALU_CYCLE_1)
	s_and_not1_b32 vcc_lo, exec_lo, s2
	s_cbranch_vccnz .LBB135_990
; %bb.989:
	global_load_u8 v6, v[1:2], off
	s_and_not1_b32 s2, s48, exec_lo
	s_waitcnt vmcnt(0)
	v_lshlrev_b32_e32 v7, 25, v6
	v_lshlrev_b32_e32 v6, 8, v6
	s_delay_alu instid0(VALU_DEP_2) | instskip(NEXT) | instid1(VALU_DEP_2)
	v_lshrrev_b32_e32 v8, 4, v7
	v_and_or_b32 v6, 0x7f00, v6, 0.5
	s_delay_alu instid0(VALU_DEP_2) | instskip(NEXT) | instid1(VALU_DEP_2)
	v_or_b32_e32 v8, 0x70000000, v8
	v_add_f32_e32 v6, -0.5, v6
	s_delay_alu instid0(VALU_DEP_2) | instskip(SKIP_1) | instid1(VALU_DEP_2)
	v_mul_f32_e32 v8, 0x7800000, v8
	v_cmp_gt_u32_e32 vcc_lo, 0x8000000, v7
	v_cndmask_b32_e32 v6, v8, v6, vcc_lo
	s_delay_alu instid0(VALU_DEP_1) | instskip(SKIP_1) | instid1(SALU_CYCLE_1)
	v_cmp_neq_f32_e32 vcc_lo, 0, v6
	s_and_b32 s48, vcc_lo, exec_lo
	s_or_b32 s48, s2, s48
.LBB135_990:
	s_mov_b32 s49, 0
	s_mov_b32 s2, -1
.LBB135_991:
	s_and_not1_b32 vcc_lo, exec_lo, s49
	s_cbranch_vccnz .LBB135_1004
; %bb.992:
	v_cmp_lt_i16_e32 vcc_lo, 14, v3
	s_cbranch_vccz .LBB135_995
; %bb.993:
	v_cmp_eq_u16_e32 vcc_lo, 15, v3
	s_cbranch_vccz .LBB135_998
; %bb.994:
	global_load_u16 v6, v[1:2], off
	s_mov_b32 s47, 0
	s_mov_b32 s2, -1
	s_waitcnt vmcnt(0)
	v_and_b32_e32 v6, 0x7fff, v6
	s_delay_alu instid0(VALU_DEP_1)
	v_cmp_ne_u16_e32 vcc_lo, 0, v6
	s_and_b32 s48, vcc_lo, exec_lo
	s_branch .LBB135_999
.LBB135_995:
	s_mov_b32 s49, -1
                                        ; implicit-def: $sgpr48
	s_branch .LBB135_1000
.LBB135_996:
	s_and_not1_saveexec_b32 s49, s49
	s_cbranch_execz .LBB135_977
.LBB135_997:
	v_cmp_ne_u16_e32 vcc_lo, 0, v6
	s_and_not1_b32 s2, s2, exec_lo
	s_and_not1_b32 s48, s48, exec_lo
	s_and_b32 s50, vcc_lo, exec_lo
	s_delay_alu instid0(SALU_CYCLE_1)
	s_or_b32 s2, s2, s50
	s_or_b32 exec_lo, exec_lo, s49
	s_and_saveexec_b32 s49, s2
	s_cbranch_execnz .LBB135_978
	s_branch .LBB135_979
.LBB135_998:
	s_mov_b32 s47, -1
                                        ; implicit-def: $sgpr48
.LBB135_999:
	s_mov_b32 s49, 0
.LBB135_1000:
	s_delay_alu instid0(SALU_CYCLE_1)
	s_and_b32 vcc_lo, exec_lo, s49
	s_cbranch_vccz .LBB135_1004
; %bb.1001:
	v_cmp_eq_u16_e32 vcc_lo, 11, v3
	s_cbranch_vccz .LBB135_1003
; %bb.1002:
	global_load_u8 v6, v[1:2], off
	s_mov_b32 s47, 0
	s_mov_b32 s2, -1
	s_waitcnt vmcnt(0)
	v_cmp_ne_u16_e32 vcc_lo, 0, v6
	s_and_b32 s48, vcc_lo, exec_lo
	s_branch .LBB135_1004
.LBB135_1003:
	s_mov_b32 s47, -1
                                        ; implicit-def: $sgpr48
.LBB135_1004:
	s_mov_b32 s49, 0
.LBB135_1005:
	s_delay_alu instid0(SALU_CYCLE_1)
	s_and_b32 vcc_lo, exec_lo, s49
	s_cbranch_vccz .LBB135_1054
; %bb.1006:
	v_cmp_gt_i16_e32 vcc_lo, 5, v3
	s_cbranch_vccnz .LBB135_1011
; %bb.1007:
	v_cmp_gt_i16_e32 vcc_lo, 8, v3
	s_cbranch_vccnz .LBB135_1012
	;; [unrolled: 3-line block ×3, first 2 shown]
; %bb.1009:
	v_cmp_lt_i16_e32 vcc_lo, 9, v3
	s_cbranch_vccz .LBB135_1014
; %bb.1010:
	global_load_b128 v[6:9], v[1:2], off
	s_waitcnt vmcnt(0)
	v_cmp_neq_f64_e32 vcc_lo, 0, v[6:7]
	v_cmp_neq_f64_e64 s2, 0, v[8:9]
	s_delay_alu instid0(VALU_DEP_1)
	s_or_b32 s48, vcc_lo, s2
	s_mov_b32 s2, 0
	s_and_b32 s48, s48, exec_lo
	s_branch .LBB135_1015
.LBB135_1011:
	s_mov_b32 s2, -1
                                        ; implicit-def: $sgpr48
	s_branch .LBB135_1033
.LBB135_1012:
	s_mov_b32 s2, -1
                                        ; implicit-def: $sgpr48
	s_branch .LBB135_1021
.LBB135_1013:
	s_mov_b32 s2, -1
                                        ; implicit-def: $sgpr48
	s_branch .LBB135_1018
.LBB135_1014:
	s_mov_b32 s2, -1
                                        ; implicit-def: $sgpr48
.LBB135_1015:
	s_delay_alu instid0(SALU_CYCLE_1)
	s_and_not1_b32 vcc_lo, exec_lo, s2
	s_cbranch_vccnz .LBB135_1017
; %bb.1016:
	global_load_b64 v[6:7], v[1:2], off
	s_and_not1_b32 s2, s48, exec_lo
	s_waitcnt vmcnt(0)
	v_or_b32_e32 v6, v6, v7
	s_delay_alu instid0(VALU_DEP_1) | instskip(NEXT) | instid1(VALU_DEP_1)
	v_and_b32_e32 v6, 0x7fffffff, v6
	v_cmp_ne_u32_e32 vcc_lo, 0, v6
	s_and_b32 s48, vcc_lo, exec_lo
	s_delay_alu instid0(SALU_CYCLE_1)
	s_or_b32 s48, s2, s48
.LBB135_1017:
	s_mov_b32 s2, 0
.LBB135_1018:
	s_delay_alu instid0(SALU_CYCLE_1)
	s_and_not1_b32 vcc_lo, exec_lo, s2
	s_cbranch_vccnz .LBB135_1020
; %bb.1019:
	global_load_b32 v6, v[1:2], off
	s_and_not1_b32 s2, s48, exec_lo
	s_waitcnt vmcnt(0)
	v_and_b32_e32 v6, 0x7fff7fff, v6
	s_delay_alu instid0(VALU_DEP_1) | instskip(SKIP_1) | instid1(SALU_CYCLE_1)
	v_cmp_ne_u32_e32 vcc_lo, 0, v6
	s_and_b32 s48, vcc_lo, exec_lo
	s_or_b32 s48, s2, s48
.LBB135_1020:
	s_mov_b32 s2, 0
.LBB135_1021:
	s_delay_alu instid0(SALU_CYCLE_1)
	s_and_not1_b32 vcc_lo, exec_lo, s2
	s_cbranch_vccnz .LBB135_1032
; %bb.1022:
	v_cmp_gt_i16_e32 vcc_lo, 6, v3
	s_cbranch_vccnz .LBB135_1025
; %bb.1023:
	v_cmp_lt_i16_e32 vcc_lo, 6, v3
	s_cbranch_vccz .LBB135_1026
; %bb.1024:
	global_load_b64 v[6:7], v[1:2], off
	s_mov_b32 s2, 0
	s_waitcnt vmcnt(0)
	v_cmp_neq_f64_e32 vcc_lo, 0, v[6:7]
	s_and_b32 s48, vcc_lo, exec_lo
	s_branch .LBB135_1027
.LBB135_1025:
	s_mov_b32 s2, -1
                                        ; implicit-def: $sgpr48
	s_branch .LBB135_1030
.LBB135_1026:
	s_mov_b32 s2, -1
                                        ; implicit-def: $sgpr48
.LBB135_1027:
	s_delay_alu instid0(SALU_CYCLE_1)
	s_and_not1_b32 vcc_lo, exec_lo, s2
	s_cbranch_vccnz .LBB135_1029
; %bb.1028:
	global_load_b32 v6, v[1:2], off
	s_and_not1_b32 s2, s48, exec_lo
	s_waitcnt vmcnt(0)
	v_cmp_neq_f32_e32 vcc_lo, 0, v6
	s_and_b32 s48, vcc_lo, exec_lo
	s_delay_alu instid0(SALU_CYCLE_1)
	s_or_b32 s48, s2, s48
.LBB135_1029:
	s_mov_b32 s2, 0
.LBB135_1030:
	s_delay_alu instid0(SALU_CYCLE_1)
	s_and_not1_b32 vcc_lo, exec_lo, s2
	s_cbranch_vccnz .LBB135_1032
; %bb.1031:
	global_load_u16 v6, v[1:2], off
	s_and_not1_b32 s2, s48, exec_lo
	s_waitcnt vmcnt(0)
	v_and_b32_e32 v6, 0x7fff, v6
	s_delay_alu instid0(VALU_DEP_1) | instskip(SKIP_1) | instid1(SALU_CYCLE_1)
	v_cmp_ne_u16_e32 vcc_lo, 0, v6
	s_and_b32 s48, vcc_lo, exec_lo
	s_or_b32 s48, s2, s48
.LBB135_1032:
	s_mov_b32 s2, 0
.LBB135_1033:
	s_delay_alu instid0(SALU_CYCLE_1)
	s_and_not1_b32 vcc_lo, exec_lo, s2
	s_cbranch_vccnz .LBB135_1053
; %bb.1034:
	v_cmp_gt_i16_e32 vcc_lo, 2, v3
	s_cbranch_vccnz .LBB135_1038
; %bb.1035:
	v_cmp_gt_i16_e32 vcc_lo, 3, v3
	s_cbranch_vccnz .LBB135_1039
; %bb.1036:
	v_cmp_lt_i16_e32 vcc_lo, 3, v3
	s_cbranch_vccz .LBB135_1040
; %bb.1037:
	global_load_b64 v[6:7], v[1:2], off
	s_mov_b32 s2, 0
	s_waitcnt vmcnt(0)
	v_cmp_ne_u64_e32 vcc_lo, 0, v[6:7]
	s_and_b32 s48, vcc_lo, exec_lo
	s_branch .LBB135_1041
.LBB135_1038:
	s_mov_b32 s2, -1
                                        ; implicit-def: $sgpr48
	s_branch .LBB135_1047
.LBB135_1039:
	s_mov_b32 s2, -1
                                        ; implicit-def: $sgpr48
	s_branch .LBB135_1044
.LBB135_1040:
	s_mov_b32 s2, -1
                                        ; implicit-def: $sgpr48
.LBB135_1041:
	s_delay_alu instid0(SALU_CYCLE_1)
	s_and_not1_b32 vcc_lo, exec_lo, s2
	s_cbranch_vccnz .LBB135_1043
; %bb.1042:
	global_load_b32 v6, v[1:2], off
	s_and_not1_b32 s2, s48, exec_lo
	s_waitcnt vmcnt(0)
	v_cmp_ne_u32_e32 vcc_lo, 0, v6
	s_and_b32 s48, vcc_lo, exec_lo
	s_delay_alu instid0(SALU_CYCLE_1)
	s_or_b32 s48, s2, s48
.LBB135_1043:
	s_mov_b32 s2, 0
.LBB135_1044:
	s_delay_alu instid0(SALU_CYCLE_1)
	s_and_not1_b32 vcc_lo, exec_lo, s2
	s_cbranch_vccnz .LBB135_1046
; %bb.1045:
	global_load_u16 v6, v[1:2], off
	s_and_not1_b32 s2, s48, exec_lo
	s_waitcnt vmcnt(0)
	v_cmp_ne_u16_e32 vcc_lo, 0, v6
	s_and_b32 s48, vcc_lo, exec_lo
	s_delay_alu instid0(SALU_CYCLE_1)
	s_or_b32 s48, s2, s48
.LBB135_1046:
	s_mov_b32 s2, 0
.LBB135_1047:
	s_delay_alu instid0(SALU_CYCLE_1)
	s_and_not1_b32 vcc_lo, exec_lo, s2
	s_cbranch_vccnz .LBB135_1053
; %bb.1048:
	v_cmp_lt_i16_e32 vcc_lo, 0, v3
	s_mov_b32 s2, 0
	s_cbranch_vccz .LBB135_1050
; %bb.1049:
	global_load_u8 v3, v[1:2], off
	s_waitcnt vmcnt(0)
	v_cmp_ne_u16_e32 vcc_lo, 0, v3
	s_and_b32 s48, vcc_lo, exec_lo
	s_branch .LBB135_1051
.LBB135_1050:
	s_mov_b32 s2, -1
                                        ; implicit-def: $sgpr48
.LBB135_1051:
	s_delay_alu instid0(SALU_CYCLE_1)
	s_and_not1_b32 vcc_lo, exec_lo, s2
	s_cbranch_vccnz .LBB135_1053
; %bb.1052:
	global_load_u8 v1, v[1:2], off
	s_and_not1_b32 s2, s48, exec_lo
	s_waitcnt vmcnt(0)
	v_cmp_ne_u16_e32 vcc_lo, 0, v1
	s_and_b32 s48, vcc_lo, exec_lo
	s_delay_alu instid0(SALU_CYCLE_1)
	s_or_b32 s48, s2, s48
.LBB135_1053:
	s_mov_b32 s2, -1
.LBB135_1054:
	s_delay_alu instid0(SALU_CYCLE_1)
	s_and_not1_b32 vcc_lo, exec_lo, s2
	s_cbranch_vccnz .LBB135_1062
; %bb.1055:
	v_cndmask_b32_e64 v1, 0, 1.0, s48
	s_waitcnt vmcnt(0)
	v_cvt_f32_f16_e32 v2, v5
	v_and_b32_e64 v3, 0xff, s11
	v_add_co_u32 v0, s2, s4, v0
	s_mov_b32 s47, 0
	s_delay_alu instid0(VALU_DEP_3) | instskip(NEXT) | instid1(VALU_DEP_3)
	v_mul_f32_e32 v2, v2, v1
	v_cmp_gt_i16_e32 vcc_lo, 11, v3
	v_add_co_ci_u32_e64 v1, null, s5, 0, s2
	s_mov_b32 s48, -1
	s_delay_alu instid0(VALU_DEP_3)
	v_fma_mixlo_f16 v2, s10, v2, 0
	s_mov_b32 s2, s43
	s_cbranch_vccnz .LBB135_1063
; %bb.1056:
	v_cmp_lt_i16_e32 vcc_lo, 25, v3
	s_cbranch_vccz .LBB135_1126
; %bb.1057:
	v_cmp_lt_i16_e32 vcc_lo, 28, v3
	s_cbranch_vccz .LBB135_1128
	;; [unrolled: 3-line block ×4, first 2 shown]
; %bb.1060:
	v_cmp_eq_u16_e32 vcc_lo, 46, v3
	s_mov_b32 s48, 0
	s_mov_b32 s2, -1
	s_cbranch_vccz .LBB135_1133
; %bb.1061:
	v_cvt_f32_f16_e32 v5, v2
	v_cmp_o_f16_e32 vcc_lo, v2, v2
	s_mov_b32 s47, -1
	s_mov_b32 s2, 0
	s_delay_alu instid0(VALU_DEP_2) | instskip(NEXT) | instid1(VALU_DEP_1)
	v_bfe_u32 v6, v5, 16, 1
	v_add3_u32 v5, v5, v6, 0x7fff
	s_delay_alu instid0(VALU_DEP_1) | instskip(NEXT) | instid1(VALU_DEP_1)
	v_lshrrev_b32_e32 v5, 16, v5
	v_cndmask_b32_e32 v5, 0x7fc0, v5, vcc_lo
	global_store_b32 v[0:1], v5, off
	s_branch .LBB135_1133
.LBB135_1062:
	s_mov_b32 s50, 0
	s_mov_b32 s2, s43
	s_branch .LBB135_1103
.LBB135_1063:
	s_and_b32 vcc_lo, exec_lo, s48
	s_cbranch_vccz .LBB135_1202
; %bb.1064:
	v_cmp_gt_i16_e32 vcc_lo, 5, v3
	s_mov_b32 s47, -1
	s_cbranch_vccnz .LBB135_1085
; %bb.1065:
	v_cmp_gt_i16_e32 vcc_lo, 8, v3
	s_cbranch_vccnz .LBB135_1075
; %bb.1066:
	v_cmp_gt_i16_e32 vcc_lo, 9, v3
	s_cbranch_vccnz .LBB135_1072
; %bb.1067:
	v_cmp_lt_i16_e32 vcc_lo, 9, v3
	s_cbranch_vccz .LBB135_1069
; %bb.1068:
	v_cvt_f32_f16_e32 v5, v2
	v_mov_b32_e32 v7, 0
	s_mov_b32 s47, 0
	s_delay_alu instid0(VALU_DEP_2) | instskip(NEXT) | instid1(VALU_DEP_2)
	v_cvt_f64_f32_e32 v[5:6], v5
	v_mov_b32_e32 v8, v7
	global_store_b128 v[0:1], v[5:8], off
.LBB135_1069:
	s_and_not1_b32 vcc_lo, exec_lo, s47
	s_cbranch_vccnz .LBB135_1071
; %bb.1070:
	v_cvt_f32_f16_e32 v5, v2
	v_mov_b32_e32 v6, 0
	global_store_b64 v[0:1], v[5:6], off
.LBB135_1071:
	s_mov_b32 s47, 0
.LBB135_1072:
	s_delay_alu instid0(SALU_CYCLE_1)
	s_and_not1_b32 vcc_lo, exec_lo, s47
	s_cbranch_vccnz .LBB135_1074
; %bb.1073:
	v_and_b32_e32 v5, 0xffff, v2
	global_store_b32 v[0:1], v5, off
.LBB135_1074:
	s_mov_b32 s47, 0
.LBB135_1075:
	s_delay_alu instid0(SALU_CYCLE_1)
	s_and_not1_b32 vcc_lo, exec_lo, s47
	s_cbranch_vccnz .LBB135_1084
; %bb.1076:
	v_cmp_gt_i16_e32 vcc_lo, 6, v3
	s_mov_b32 s47, -1
	s_cbranch_vccnz .LBB135_1082
; %bb.1077:
	v_cmp_lt_i16_e32 vcc_lo, 6, v3
	s_cbranch_vccz .LBB135_1079
; %bb.1078:
	v_cvt_f32_f16_e32 v5, v2
	s_mov_b32 s47, 0
	s_delay_alu instid0(VALU_DEP_1)
	v_cvt_f64_f32_e32 v[5:6], v5
	global_store_b64 v[0:1], v[5:6], off
.LBB135_1079:
	s_and_not1_b32 vcc_lo, exec_lo, s47
	s_cbranch_vccnz .LBB135_1081
; %bb.1080:
	v_cvt_f32_f16_e32 v5, v2
	global_store_b32 v[0:1], v5, off
.LBB135_1081:
	s_mov_b32 s47, 0
.LBB135_1082:
	s_delay_alu instid0(SALU_CYCLE_1)
	s_and_not1_b32 vcc_lo, exec_lo, s47
	s_cbranch_vccnz .LBB135_1084
; %bb.1083:
	global_store_b16 v[0:1], v2, off
.LBB135_1084:
	s_mov_b32 s47, 0
.LBB135_1085:
	s_delay_alu instid0(SALU_CYCLE_1)
	s_and_not1_b32 vcc_lo, exec_lo, s47
	s_cbranch_vccnz .LBB135_1101
; %bb.1086:
	v_cmp_gt_i16_e32 vcc_lo, 2, v3
	s_mov_b32 s47, -1
	s_cbranch_vccnz .LBB135_1096
; %bb.1087:
	v_cmp_gt_i16_e32 vcc_lo, 3, v3
	s_cbranch_vccnz .LBB135_1093
; %bb.1088:
	v_cmp_lt_i16_e32 vcc_lo, 3, v3
	s_cbranch_vccz .LBB135_1090
; %bb.1089:
	v_cvt_f32_f16_e32 v5, v2
	s_mov_b32 s47, 0
	s_delay_alu instid0(VALU_DEP_1) | instskip(NEXT) | instid1(VALU_DEP_1)
	v_cvt_i32_f32_e32 v5, v5
	v_ashrrev_i32_e32 v6, 31, v5
	global_store_b64 v[0:1], v[5:6], off
.LBB135_1090:
	s_and_not1_b32 vcc_lo, exec_lo, s47
	s_cbranch_vccnz .LBB135_1092
; %bb.1091:
	v_cvt_f32_f16_e32 v5, v2
	s_delay_alu instid0(VALU_DEP_1)
	v_cvt_i32_f32_e32 v5, v5
	global_store_b32 v[0:1], v5, off
.LBB135_1092:
	s_mov_b32 s47, 0
.LBB135_1093:
	s_delay_alu instid0(SALU_CYCLE_1)
	s_and_not1_b32 vcc_lo, exec_lo, s47
	s_cbranch_vccnz .LBB135_1095
; %bb.1094:
	v_cvt_i16_f16_e32 v5, v2
	global_store_b16 v[0:1], v5, off
.LBB135_1095:
	s_mov_b32 s47, 0
.LBB135_1096:
	s_delay_alu instid0(SALU_CYCLE_1)
	s_and_not1_b32 vcc_lo, exec_lo, s47
	s_cbranch_vccnz .LBB135_1101
; %bb.1097:
	v_cmp_lt_i16_e32 vcc_lo, 0, v3
	s_mov_b32 s47, -1
	s_cbranch_vccz .LBB135_1099
; %bb.1098:
	v_cvt_i16_f16_e32 v3, v2
	s_mov_b32 s47, 0
	global_store_b8 v[0:1], v3, off
.LBB135_1099:
	s_and_not1_b32 vcc_lo, exec_lo, s47
	s_cbranch_vccnz .LBB135_1101
; %bb.1100:
	v_cvt_f32_f16_e32 v2, v2
	s_delay_alu instid0(VALU_DEP_1)
	v_cvt_i32_f32_e32 v2, v2
	global_store_b8 v[0:1], v2, off
.LBB135_1101:
	s_mov_b32 s47, 0
	s_branch .LBB135_1203
.LBB135_1102:
	s_mov_b32 s50, 0
.LBB135_1103:
                                        ; implicit-def: $vgpr4
.LBB135_1104:
	s_and_not1_b32 s48, s43, exec_lo
	s_and_b32 s2, s2, exec_lo
	s_and_b32 s47, s47, exec_lo
	s_or_b32 s48, s48, s2
	s_and_not1_b32 s2, s44, exec_lo
	s_and_not1_b32 s51, s42, exec_lo
	s_and_b32 s3, s3, exec_lo
	s_or_b32 s49, s2, s47
	s_or_b32 s47, s51, s3
	s_or_not1_b32 s51, s50, exec_lo
.LBB135_1105:
	s_or_b32 exec_lo, exec_lo, s46
	s_mov_b32 s3, 0
	s_mov_b32 s50, 0
	;; [unrolled: 1-line block ×3, first 2 shown]
                                        ; implicit-def: $vgpr6
                                        ; implicit-def: $vgpr2_vgpr3
                                        ; implicit-def: $vgpr0
                                        ; implicit-def: $vgpr1
                                        ; implicit-def: $vgpr5
	s_and_saveexec_b32 s46, s51
	s_cbranch_execz .LBB135_1273
; %bb.1106:
	v_cmp_gt_i32_e32 vcc_lo, s36, v4
	s_mov_b32 s51, s47
	s_mov_b32 s52, 0
                                        ; implicit-def: $vgpr6
                                        ; implicit-def: $vgpr2_vgpr3
                                        ; implicit-def: $vgpr0
                                        ; implicit-def: $vgpr1
                                        ; implicit-def: $vgpr5
	s_and_saveexec_b32 s36, vcc_lo
	s_cbranch_execz .LBB135_1272
; %bb.1107:
	s_and_not1_b32 vcc_lo, exec_lo, s29
	s_cbranch_vccnz .LBB135_1113
; %bb.1108:
	v_dual_mov_b32 v0, 0 :: v_dual_mov_b32 v1, 0
	v_mov_b32_e32 v2, 0
	s_and_not1_b32 vcc_lo, exec_lo, s37
	s_mov_b32 s37, 0
	s_cbranch_vccnz .LBB135_1114
; %bb.1109:
	s_add_i32 s2, s35, 1
	v_dual_mov_b32 v1, 0 :: v_dual_mov_b32 v2, 0
	v_dual_mov_b32 v0, 0 :: v_dual_mov_b32 v3, v4
	s_and_b32 s50, s2, 30
	s_add_u32 s2, s20, 0xffffffec
	s_addc_u32 s3, s21, -1
	s_set_inst_prefetch_distance 0x1
	.p2align	6
.LBB135_1110:                           ; =>This Inner Loop Header: Depth=1
	s_clause 0x2
	s_load_b128 s[52:55], s[2:3], 0x18
	s_load_b64 s[60:61], s[2:3], 0x28
	s_load_b128 s[56:59], s[2:3], 0xd8
	s_waitcnt vmcnt(0) lgkmcnt(0)
	v_mul_hi_u32 v5, s53, v3
	s_delay_alu instid0(VALU_DEP_1) | instskip(NEXT) | instid1(VALU_DEP_1)
	v_add_nc_u32_e32 v5, v3, v5
	v_lshrrev_b32_e32 v5, s54, v5
	s_delay_alu instid0(VALU_DEP_1)
	v_mul_hi_u32 v6, s60, v5
	v_mul_lo_u32 v7, v5, s52
	s_load_b64 s[52:53], s[2:3], 0xe8
	s_add_u32 s2, s2, 24
	s_addc_u32 s3, s3, 0
	s_add_i32 s50, s50, -2
	s_delay_alu instid0(SALU_CYCLE_1) | instskip(NEXT) | instid1(VALU_DEP_2)
	s_cmp_eq_u32 s50, 0
	v_add_nc_u32_e32 v6, v5, v6
	s_delay_alu instid0(VALU_DEP_2) | instskip(NEXT) | instid1(VALU_DEP_2)
	v_sub_nc_u32_e32 v7, v3, v7
	v_lshrrev_b32_e32 v3, s61, v6
	s_delay_alu instid0(VALU_DEP_2) | instskip(NEXT) | instid1(VALU_DEP_2)
	v_mul_lo_u32 v8, v7, s56
	v_mul_lo_u32 v6, v3, s55
	s_delay_alu instid0(VALU_DEP_1) | instskip(SKIP_2) | instid1(VALU_DEP_3)
	v_sub_nc_u32_e32 v5, v5, v6
	v_mul_lo_u32 v6, v7, s57
	v_mul_lo_u32 v7, v7, s58
	;; [unrolled: 1-line block ×3, first 2 shown]
	s_waitcnt lgkmcnt(0)
	v_mul_lo_u32 v10, v5, s52
	v_mul_lo_u32 v5, v5, s53
	s_delay_alu instid0(VALU_DEP_3) | instskip(NEXT) | instid1(VALU_DEP_3)
	v_add3_u32 v0, v8, v0, v9
	v_add3_u32 v2, v6, v2, v10
	s_delay_alu instid0(VALU_DEP_3)
	v_add3_u32 v1, v7, v1, v5
	s_cbranch_scc0 .LBB135_1110
; %bb.1111:
	s_set_inst_prefetch_distance 0x2
	s_bitcmp1_b32 s35, 0
	s_cselect_b32 s35, -1, 0
	s_delay_alu instid0(SALU_CYCLE_1)
	s_and_b32 vcc_lo, exec_lo, s35
	s_cbranch_vccnz .LBB135_1114
; %bb.1112:
	s_clause 0x3
	s_load_b64 s[50:51], s[2:3], 0x18
	s_load_b32 s35, s[2:3], 0x20
	s_load_b64 s[52:53], s[2:3], 0xd8
	s_load_b32 s2, s[2:3], 0xe0
	s_waitcnt lgkmcnt(0)
	v_mul_hi_u32 v5, s51, v3
	s_delay_alu instid0(VALU_DEP_1) | instskip(NEXT) | instid1(VALU_DEP_1)
	v_add_nc_u32_e32 v5, v3, v5
	v_lshrrev_b32_e32 v5, s35, v5
	s_delay_alu instid0(VALU_DEP_1) | instskip(NEXT) | instid1(VALU_DEP_1)
	v_mul_lo_u32 v5, v5, s50
	v_sub_nc_u32_e32 v3, v3, v5
	s_delay_alu instid0(VALU_DEP_1) | instskip(SKIP_2) | instid1(VALU_DEP_3)
	v_mad_u64_u32 v[5:6], null, v3, s52, v[0:1]
	v_mad_u64_u32 v[6:7], null, v3, s53, v[2:3]
	;; [unrolled: 1-line block ×3, first 2 shown]
	v_mov_b32_e32 v0, v5
	s_delay_alu instid0(VALU_DEP_2)
	v_dual_mov_b32 v2, v6 :: v_dual_mov_b32 v1, v7
	s_branch .LBB135_1114
.LBB135_1113:
	s_mov_b32 s37, -1
                                        ; implicit-def: $vgpr0
                                        ; implicit-def: $vgpr2
                                        ; implicit-def: $vgpr1
.LBB135_1114:
	s_delay_alu instid0(SALU_CYCLE_1)
	s_and_not1_b32 vcc_lo, exec_lo, s37
	s_cbranch_vccnz .LBB135_1117
; %bb.1115:
	v_mul_hi_u32 v0, s17, v4
	s_and_not1_b32 vcc_lo, exec_lo, s34
	s_delay_alu instid0(VALU_DEP_1) | instskip(NEXT) | instid1(VALU_DEP_1)
	v_add_nc_u32_e32 v0, v4, v0
	v_lshrrev_b32_e32 v3, s18, v0
	s_delay_alu instid0(VALU_DEP_1) | instskip(NEXT) | instid1(VALU_DEP_1)
	v_mul_lo_u32 v0, v3, s16
	v_sub_nc_u32_e32 v1, v4, v0
	s_delay_alu instid0(VALU_DEP_1)
	v_mul_lo_u32 v0, v1, s12
	v_mul_lo_u32 v2, v1, s13
	;; [unrolled: 1-line block ×3, first 2 shown]
	s_cbranch_vccnz .LBB135_1117
; %bb.1116:
	v_mul_hi_u32 v4, s24, v3
	s_delay_alu instid0(VALU_DEP_1) | instskip(NEXT) | instid1(VALU_DEP_1)
	v_add_nc_u32_e32 v4, v3, v4
	v_lshrrev_b32_e32 v4, s25, v4
	s_delay_alu instid0(VALU_DEP_1) | instskip(NEXT) | instid1(VALU_DEP_1)
	v_mul_lo_u32 v4, v4, s19
	v_sub_nc_u32_e32 v7, v3, v4
	s_delay_alu instid0(VALU_DEP_1) | instskip(SKIP_1) | instid1(VALU_DEP_1)
	v_mad_u64_u32 v[3:4], null, v7, s15, v[0:1]
	s_waitcnt vmcnt(0)
	v_mad_u64_u32 v[4:5], null, v7, s22, v[2:3]
	v_mad_u64_u32 v[5:6], null, v7, s23, v[1:2]
	v_mov_b32_e32 v0, v3
	s_delay_alu instid0(VALU_DEP_2)
	v_dual_mov_b32 v2, v4 :: v_dual_mov_b32 v1, v5
.LBB135_1117:
	v_and_b32_e64 v6, 0xff, s33
	s_delay_alu instid0(VALU_DEP_2) | instskip(NEXT) | instid1(VALU_DEP_1)
	v_add_co_u32 v2, s2, s6, v2
	v_add_co_ci_u32_e64 v3, null, s7, 0, s2
	s_delay_alu instid0(VALU_DEP_3)
	v_cmp_gt_i16_e32 vcc_lo, 11, v6
	s_mov_b32 s6, 0
	s_cbranch_vccnz .LBB135_1124
; %bb.1118:
	v_cmp_lt_i16_e32 vcc_lo, 25, v6
	s_mov_b32 s3, 0
	s_cbranch_vccz .LBB135_1125
; %bb.1119:
	v_cmp_lt_i16_e32 vcc_lo, 28, v6
	s_cbranch_vccz .LBB135_1127
; %bb.1120:
	v_cmp_lt_i16_e32 vcc_lo, 43, v6
	;; [unrolled: 3-line block ×3, first 2 shown]
	s_cbranch_vccz .LBB135_1131
; %bb.1122:
	v_cmp_eq_u16_e32 vcc_lo, 46, v6
	s_mov_b32 s7, 0
	s_cbranch_vccz .LBB135_1204
; %bb.1123:
	global_load_b32 v4, v[2:3], off
	s_mov_b32 s2, 0
	s_mov_b32 s6, -1
	s_waitcnt vmcnt(0)
	v_lshlrev_b32_e32 v4, 16, v4
	s_delay_alu instid0(VALU_DEP_1)
	v_cvt_f16_f32_e32 v5, v4
	s_branch .LBB135_1206
.LBB135_1124:
	s_mov_b32 s7, -1
	s_mov_b32 s3, 0
	s_mov_b32 s2, s47
                                        ; implicit-def: $vgpr5
	s_branch .LBB135_1271
.LBB135_1125:
	s_mov_b32 s7, -1
	s_mov_b32 s2, s47
                                        ; implicit-def: $vgpr5
	s_branch .LBB135_1237
.LBB135_1126:
	s_mov_b32 s2, s43
	s_branch .LBB135_1160
.LBB135_1127:
	s_mov_b32 s7, -1
	s_mov_b32 s2, s47
                                        ; implicit-def: $vgpr5
	s_branch .LBB135_1218
.LBB135_1128:
	s_mov_b32 s2, s43
	s_branch .LBB135_1143
.LBB135_1129:
	s_mov_b32 s7, -1
	s_mov_b32 s2, s47
                                        ; implicit-def: $vgpr5
	s_branch .LBB135_1213
.LBB135_1130:
	s_mov_b32 s2, s43
	s_branch .LBB135_1139
.LBB135_1131:
	s_mov_b32 s7, -1
	s_mov_b32 s2, s47
	s_branch .LBB135_1205
.LBB135_1132:
	s_mov_b32 s2, s43
.LBB135_1133:
	s_and_b32 vcc_lo, exec_lo, s48
	s_cbranch_vccz .LBB135_1138
; %bb.1134:
	v_cmp_eq_u16_e32 vcc_lo, 44, v3
	s_mov_b32 s2, -1
	s_cbranch_vccz .LBB135_1138
; %bb.1135:
	v_cvt_f32_f16_e32 v5, v2
	v_mov_b32_e32 v6, 0xff
	s_mov_b32 s47, exec_lo
	s_delay_alu instid0(VALU_DEP_2) | instskip(NEXT) | instid1(VALU_DEP_1)
	v_bfe_u32 v7, v5, 23, 8
	v_cmpx_ne_u32_e32 0xff, v7
; %bb.1136:
	v_and_b32_e32 v6, 0x400000, v5
	v_and_or_b32 v7, 0x3fffff, v5, v7
	v_lshrrev_b32_e32 v5, 23, v5
	s_delay_alu instid0(VALU_DEP_3) | instskip(NEXT) | instid1(VALU_DEP_3)
	v_cmp_ne_u32_e32 vcc_lo, 0, v6
	v_cmp_ne_u32_e64 s2, 0, v7
	s_delay_alu instid0(VALU_DEP_1) | instskip(NEXT) | instid1(SALU_CYCLE_1)
	s_and_b32 s2, vcc_lo, s2
	v_cndmask_b32_e64 v6, 0, 1, s2
	s_delay_alu instid0(VALU_DEP_1)
	v_add_nc_u32_e32 v6, v5, v6
; %bb.1137:
	s_or_b32 exec_lo, exec_lo, s47
	s_mov_b32 s47, -1
	s_mov_b32 s2, 0
	global_store_b8 v[0:1], v6, off
.LBB135_1138:
	s_mov_b32 s48, 0
.LBB135_1139:
	s_delay_alu instid0(SALU_CYCLE_1)
	s_and_b32 vcc_lo, exec_lo, s48
	s_cbranch_vccz .LBB135_1142
; %bb.1140:
	v_cmp_eq_u16_e32 vcc_lo, 29, v3
	s_mov_b32 s2, -1
	s_cbranch_vccz .LBB135_1142
; %bb.1141:
	v_cvt_f32_f16_e32 v5, v2
	v_mov_b32_e32 v6, 0
	s_mov_b32 s2, 0
	s_mov_b32 s47, -1
	s_mov_b32 s48, 0
	v_cvt_u32_f32_e32 v5, v5
	global_store_b64 v[0:1], v[5:6], off
	s_branch .LBB135_1143
.LBB135_1142:
	s_mov_b32 s48, 0
.LBB135_1143:
	s_delay_alu instid0(SALU_CYCLE_1)
	s_and_b32 vcc_lo, exec_lo, s48
	s_cbranch_vccz .LBB135_1159
; %bb.1144:
	v_cmp_gt_i16_e32 vcc_lo, 27, v3
	s_mov_b32 s47, -1
	s_cbranch_vccnz .LBB135_1150
; %bb.1145:
	v_cmp_lt_i16_e32 vcc_lo, 27, v3
	s_cbranch_vccz .LBB135_1147
; %bb.1146:
	v_cvt_f32_f16_e32 v5, v2
	s_mov_b32 s47, 0
	s_delay_alu instid0(VALU_DEP_1)
	v_cvt_u32_f32_e32 v5, v5
	global_store_b32 v[0:1], v5, off
.LBB135_1147:
	s_and_not1_b32 vcc_lo, exec_lo, s47
	s_cbranch_vccnz .LBB135_1149
; %bb.1148:
	v_cvt_u16_f16_e32 v5, v2
	global_store_b16 v[0:1], v5, off
.LBB135_1149:
	s_mov_b32 s47, 0
.LBB135_1150:
	s_delay_alu instid0(SALU_CYCLE_1)
	s_and_not1_b32 vcc_lo, exec_lo, s47
	s_cbranch_vccnz .LBB135_1158
; %bb.1151:
	v_cvt_f32_f16_e32 v5, v2
	v_mov_b32_e32 v7, 0x80
	s_mov_b32 s47, exec_lo
	s_delay_alu instid0(VALU_DEP_2) | instskip(NEXT) | instid1(VALU_DEP_1)
	v_and_b32_e32 v6, 0x7fffffff, v5
	v_cmpx_gt_u32_e32 0x43800000, v6
	s_cbranch_execz .LBB135_1157
; %bb.1152:
	v_cmp_lt_u32_e32 vcc_lo, 0x3bffffff, v6
	s_mov_b32 s48, 0
                                        ; implicit-def: $vgpr6
	s_and_saveexec_b32 s49, vcc_lo
	s_delay_alu instid0(SALU_CYCLE_1)
	s_xor_b32 s49, exec_lo, s49
	s_cbranch_execz .LBB135_1209
; %bb.1153:
	v_bfe_u32 v6, v5, 20, 1
	s_mov_b32 s48, exec_lo
	s_delay_alu instid0(VALU_DEP_1) | instskip(NEXT) | instid1(VALU_DEP_1)
	v_add3_u32 v6, v5, v6, 0x487ffff
	v_lshrrev_b32_e32 v6, 20, v6
	s_or_saveexec_b32 s49, s49
                                        ; implicit-def: $sgpr50
	s_delay_alu instid0(SALU_CYCLE_1)
	s_xor_b32 exec_lo, exec_lo, s49
	s_cbranch_execnz .LBB135_1210
.LBB135_1154:
	s_or_b32 exec_lo, exec_lo, s49
	v_mov_b32_e32 v7, s50
	s_and_saveexec_b32 s49, s48
.LBB135_1155:
	v_lshrrev_b32_e32 v5, 24, v5
	s_delay_alu instid0(VALU_DEP_1)
	v_and_or_b32 v7, 0x80, v5, v6
.LBB135_1156:
	s_or_b32 exec_lo, exec_lo, s49
.LBB135_1157:
	s_delay_alu instid0(SALU_CYCLE_1)
	s_or_b32 exec_lo, exec_lo, s47
	global_store_b8 v[0:1], v7, off
.LBB135_1158:
	s_mov_b32 s47, -1
.LBB135_1159:
	s_mov_b32 s48, 0
.LBB135_1160:
	s_delay_alu instid0(SALU_CYCLE_1)
	s_and_b32 vcc_lo, exec_lo, s48
	s_cbranch_vccz .LBB135_1201
; %bb.1161:
	v_cmp_lt_i16_e32 vcc_lo, 22, v3
	s_mov_b32 s48, -1
	s_cbranch_vccz .LBB135_1193
; %bb.1162:
	v_cmp_gt_i16_e32 vcc_lo, 24, v3
	s_mov_b32 s47, -1
	s_cbranch_vccnz .LBB135_1182
; %bb.1163:
	v_cmp_lt_i16_e32 vcc_lo, 24, v3
	s_cbranch_vccz .LBB135_1171
; %bb.1164:
	v_cvt_f32_f16_e32 v5, v2
	v_mov_b32_e32 v7, 0x80
	s_mov_b32 s47, exec_lo
	s_delay_alu instid0(VALU_DEP_2) | instskip(NEXT) | instid1(VALU_DEP_1)
	v_and_b32_e32 v6, 0x7fffffff, v5
	v_cmpx_gt_u32_e32 0x47800000, v6
	s_cbranch_execz .LBB135_1170
; %bb.1165:
	v_cmp_lt_u32_e32 vcc_lo, 0x37ffffff, v6
	s_mov_b32 s48, 0
                                        ; implicit-def: $vgpr6
	s_and_saveexec_b32 s49, vcc_lo
	s_delay_alu instid0(SALU_CYCLE_1)
	s_xor_b32 s49, exec_lo, s49
	s_cbranch_execz .LBB135_2291
; %bb.1166:
	v_bfe_u32 v6, v5, 21, 1
	s_mov_b32 s48, exec_lo
	s_delay_alu instid0(VALU_DEP_1) | instskip(NEXT) | instid1(VALU_DEP_1)
	v_add3_u32 v6, v5, v6, 0x88fffff
	v_lshrrev_b32_e32 v6, 21, v6
	s_or_saveexec_b32 s49, s49
                                        ; implicit-def: $sgpr50
	s_delay_alu instid0(SALU_CYCLE_1)
	s_xor_b32 exec_lo, exec_lo, s49
	s_cbranch_execnz .LBB135_2292
.LBB135_1167:
	s_or_b32 exec_lo, exec_lo, s49
	v_mov_b32_e32 v7, s50
	s_and_saveexec_b32 s49, s48
.LBB135_1168:
	v_lshrrev_b32_e32 v5, 24, v5
	s_delay_alu instid0(VALU_DEP_1)
	v_and_or_b32 v7, 0x80, v5, v6
.LBB135_1169:
	s_or_b32 exec_lo, exec_lo, s49
.LBB135_1170:
	s_delay_alu instid0(SALU_CYCLE_1)
	s_or_b32 exec_lo, exec_lo, s47
	s_mov_b32 s47, 0
	global_store_b8 v[0:1], v7, off
.LBB135_1171:
	s_and_b32 vcc_lo, exec_lo, s47
	s_cbranch_vccz .LBB135_1181
; %bb.1172:
	v_cvt_f32_f16_e32 v5, v2
	s_mov_b32 s47, exec_lo
                                        ; implicit-def: $vgpr6
	s_delay_alu instid0(VALU_DEP_1) | instskip(NEXT) | instid1(VALU_DEP_1)
	v_and_b32_e32 v7, 0x7fffffff, v5
	v_cmpx_gt_u32_e32 0x43f00000, v7
	s_xor_b32 s47, exec_lo, s47
	s_cbranch_execz .LBB135_1178
; %bb.1173:
	s_mov_b32 s48, exec_lo
                                        ; implicit-def: $vgpr6
	v_cmpx_lt_u32_e32 0x3c7fffff, v7
	s_xor_b32 s48, exec_lo, s48
; %bb.1174:
	v_bfe_u32 v6, v5, 20, 1
	s_delay_alu instid0(VALU_DEP_1) | instskip(NEXT) | instid1(VALU_DEP_1)
	v_add3_u32 v6, v5, v6, 0x407ffff
	v_and_b32_e32 v7, 0xff00000, v6
	v_lshrrev_b32_e32 v6, 20, v6
	s_delay_alu instid0(VALU_DEP_2) | instskip(NEXT) | instid1(VALU_DEP_2)
	v_cmp_ne_u32_e32 vcc_lo, 0x7f00000, v7
	v_cndmask_b32_e32 v6, 0x7e, v6, vcc_lo
; %bb.1175:
	s_and_not1_saveexec_b32 s48, s48
; %bb.1176:
	v_add_f32_e64 v6, 0x46800000, |v5|
; %bb.1177:
	s_or_b32 exec_lo, exec_lo, s48
                                        ; implicit-def: $vgpr7
.LBB135_1178:
	s_and_not1_saveexec_b32 s47, s47
; %bb.1179:
	v_mov_b32_e32 v6, 0x7f
	v_cmp_lt_u32_e32 vcc_lo, 0x7f800000, v7
	s_delay_alu instid0(VALU_DEP_2)
	v_cndmask_b32_e32 v6, 0x7e, v6, vcc_lo
; %bb.1180:
	s_or_b32 exec_lo, exec_lo, s47
	v_lshrrev_b32_e32 v5, 24, v5
	s_delay_alu instid0(VALU_DEP_1)
	v_and_or_b32 v5, 0x80, v5, v6
	global_store_b8 v[0:1], v5, off
.LBB135_1181:
	s_mov_b32 s47, 0
.LBB135_1182:
	s_delay_alu instid0(SALU_CYCLE_1)
	s_and_not1_b32 vcc_lo, exec_lo, s47
	s_cbranch_vccnz .LBB135_1192
; %bb.1183:
	v_cvt_f32_f16_e32 v5, v2
	s_mov_b32 s47, exec_lo
                                        ; implicit-def: $vgpr6
	s_delay_alu instid0(VALU_DEP_1) | instskip(NEXT) | instid1(VALU_DEP_1)
	v_and_b32_e32 v7, 0x7fffffff, v5
	v_cmpx_gt_u32_e32 0x47800000, v7
	s_xor_b32 s47, exec_lo, s47
	s_cbranch_execz .LBB135_1189
; %bb.1184:
	s_mov_b32 s48, exec_lo
                                        ; implicit-def: $vgpr6
	v_cmpx_lt_u32_e32 0x387fffff, v7
	s_xor_b32 s48, exec_lo, s48
; %bb.1185:
	v_bfe_u32 v6, v5, 21, 1
	s_delay_alu instid0(VALU_DEP_1) | instskip(NEXT) | instid1(VALU_DEP_1)
	v_add3_u32 v6, v5, v6, 0x80fffff
	v_lshrrev_b32_e32 v6, 21, v6
; %bb.1186:
	s_and_not1_saveexec_b32 s48, s48
; %bb.1187:
	v_add_f32_e64 v6, 0x43000000, |v5|
; %bb.1188:
	s_or_b32 exec_lo, exec_lo, s48
                                        ; implicit-def: $vgpr7
.LBB135_1189:
	s_and_not1_saveexec_b32 s47, s47
; %bb.1190:
	v_mov_b32_e32 v6, 0x7f
	v_cmp_lt_u32_e32 vcc_lo, 0x7f800000, v7
	s_delay_alu instid0(VALU_DEP_2)
	v_cndmask_b32_e32 v6, 0x7c, v6, vcc_lo
; %bb.1191:
	s_or_b32 exec_lo, exec_lo, s47
	v_lshrrev_b32_e32 v5, 24, v5
	s_delay_alu instid0(VALU_DEP_1)
	v_and_or_b32 v5, 0x80, v5, v6
	global_store_b8 v[0:1], v5, off
.LBB135_1192:
	s_mov_b32 s48, 0
	s_mov_b32 s47, -1
.LBB135_1193:
	s_and_not1_b32 vcc_lo, exec_lo, s48
	s_cbranch_vccnz .LBB135_1201
; %bb.1194:
	v_cmp_lt_i16_e32 vcc_lo, 14, v3
	s_mov_b32 s48, -1
	s_cbranch_vccz .LBB135_1198
; %bb.1195:
	v_cmp_eq_u16_e32 vcc_lo, 15, v3
	s_mov_b32 s2, -1
	s_cbranch_vccz .LBB135_1197
; %bb.1196:
	v_cvt_f32_f16_e32 v5, v2
	v_cmp_o_f16_e32 vcc_lo, v2, v2
	s_mov_b32 s47, -1
	s_mov_b32 s2, 0
	s_delay_alu instid0(VALU_DEP_2) | instskip(NEXT) | instid1(VALU_DEP_1)
	v_bfe_u32 v6, v5, 16, 1
	v_add3_u32 v5, v5, v6, 0x7fff
	s_delay_alu instid0(VALU_DEP_1) | instskip(NEXT) | instid1(VALU_DEP_1)
	v_lshrrev_b32_e32 v5, 16, v5
	v_cndmask_b32_e32 v5, 0x7fc0, v5, vcc_lo
	global_store_b16 v[0:1], v5, off
.LBB135_1197:
	s_mov_b32 s48, 0
.LBB135_1198:
	s_delay_alu instid0(SALU_CYCLE_1)
	s_and_b32 vcc_lo, exec_lo, s48
	s_cbranch_vccz .LBB135_1201
; %bb.1199:
	v_cmp_eq_u16_e32 vcc_lo, 11, v3
	s_mov_b32 s2, -1
	s_cbranch_vccz .LBB135_1201
; %bb.1200:
	v_cmp_neq_f16_e32 vcc_lo, 0, v2
	s_mov_b32 s2, 0
	s_mov_b32 s47, -1
	v_cndmask_b32_e64 v5, 0, 1, vcc_lo
	global_store_b8 v[0:1], v5, off
.LBB135_1201:
.LBB135_1202:
	s_and_not1_b32 vcc_lo, exec_lo, s47
	s_mov_b32 s47, 0
	s_cbranch_vccnz .LBB135_1102
.LBB135_1203:
	v_add_nc_u32_e32 v4, 0x80, v4
	s_mov_b32 s50, -1
	s_branch .LBB135_1104
.LBB135_1204:
	s_mov_b32 s2, -1
.LBB135_1205:
                                        ; implicit-def: $vgpr5
.LBB135_1206:
	s_and_b32 vcc_lo, exec_lo, s7
	s_cbranch_vccz .LBB135_1212
; %bb.1207:
	v_cmp_eq_u16_e32 vcc_lo, 44, v6
	s_cbranch_vccz .LBB135_1211
; %bb.1208:
	global_load_u8 v4, v[2:3], off
	s_mov_b32 s2, 0
	s_mov_b32 s6, -1
	s_waitcnt vmcnt(0)
	v_lshlrev_b32_e32 v5, 23, v4
	v_cmp_ne_u32_e32 vcc_lo, 0xff, v4
	s_delay_alu instid0(VALU_DEP_2) | instskip(NEXT) | instid1(VALU_DEP_1)
	v_cvt_f16_f32_e32 v5, v5
	v_cndmask_b32_e32 v5, 0x7e00, v5, vcc_lo
	v_cmp_ne_u32_e32 vcc_lo, 0, v4
	s_delay_alu instid0(VALU_DEP_2)
	v_cndmask_b32_e32 v5, 0, v5, vcc_lo
	s_branch .LBB135_1212
.LBB135_1209:
	s_or_saveexec_b32 s49, s49
                                        ; implicit-def: $sgpr50
	s_delay_alu instid0(SALU_CYCLE_1)
	s_xor_b32 exec_lo, exec_lo, s49
	s_cbranch_execz .LBB135_1154
.LBB135_1210:
	v_add_f32_e64 v6, 0x46000000, |v5|
	s_and_not1_b32 s48, s48, exec_lo
	s_mov_b32 s50, 0
	s_delay_alu instid0(VALU_DEP_1) | instskip(NEXT) | instid1(VALU_DEP_1)
	v_and_b32_e32 v6, 0xff, v6
	v_cmp_ne_u32_e32 vcc_lo, 0, v6
	s_and_b32 s51, vcc_lo, exec_lo
	s_delay_alu instid0(SALU_CYCLE_1)
	s_or_b32 s48, s48, s51
	s_or_b32 exec_lo, exec_lo, s49
	v_mov_b32_e32 v7, s50
	s_and_saveexec_b32 s49, s48
	s_cbranch_execnz .LBB135_1155
	s_branch .LBB135_1156
.LBB135_1211:
	s_mov_b32 s2, -1
                                        ; implicit-def: $vgpr5
.LBB135_1212:
	s_mov_b32 s7, 0
.LBB135_1213:
	s_delay_alu instid0(SALU_CYCLE_1)
	s_and_b32 vcc_lo, exec_lo, s7
	s_cbranch_vccz .LBB135_1217
; %bb.1214:
	v_cmp_eq_u16_e32 vcc_lo, 29, v6
	s_cbranch_vccz .LBB135_1216
; %bb.1215:
	global_load_b64 v[4:5], v[2:3], off
	s_mov_b32 s2, 0
	s_mov_b32 s6, -1
	s_mov_b32 s7, 0
	s_waitcnt vmcnt(0)
	v_clz_i32_u32_e32 v7, v5
	s_delay_alu instid0(VALU_DEP_1) | instskip(NEXT) | instid1(VALU_DEP_1)
	v_min_u32_e32 v7, 32, v7
	v_lshlrev_b64 v[4:5], v7, v[4:5]
	s_delay_alu instid0(VALU_DEP_1) | instskip(NEXT) | instid1(VALU_DEP_1)
	v_min_u32_e32 v4, 1, v4
	v_or_b32_e32 v4, v5, v4
	v_sub_nc_u32_e32 v5, 32, v7
	s_delay_alu instid0(VALU_DEP_2) | instskip(NEXT) | instid1(VALU_DEP_1)
	v_cvt_f32_u32_e32 v4, v4
	v_ldexp_f32 v4, v4, v5
	s_delay_alu instid0(VALU_DEP_1)
	v_cvt_f16_f32_e32 v5, v4
	s_branch .LBB135_1218
.LBB135_1216:
	s_mov_b32 s2, -1
                                        ; implicit-def: $vgpr5
.LBB135_1217:
	s_mov_b32 s7, 0
.LBB135_1218:
	s_delay_alu instid0(SALU_CYCLE_1)
	s_and_b32 vcc_lo, exec_lo, s7
	s_cbranch_vccz .LBB135_1236
; %bb.1219:
	v_cmp_gt_i16_e32 vcc_lo, 27, v6
	s_cbranch_vccnz .LBB135_1222
; %bb.1220:
	v_cmp_lt_i16_e32 vcc_lo, 27, v6
	s_cbranch_vccz .LBB135_1223
; %bb.1221:
	global_load_b32 v4, v[2:3], off
	s_mov_b32 s6, 0
	s_waitcnt vmcnt(0)
	v_cvt_f32_u32_e32 v4, v4
	s_delay_alu instid0(VALU_DEP_1)
	v_cvt_f16_f32_e32 v5, v4
	s_branch .LBB135_1224
.LBB135_1222:
	s_mov_b32 s6, -1
                                        ; implicit-def: $vgpr5
	s_branch .LBB135_1227
.LBB135_1223:
	s_mov_b32 s6, -1
                                        ; implicit-def: $vgpr5
.LBB135_1224:
	s_delay_alu instid0(SALU_CYCLE_1)
	s_and_not1_b32 vcc_lo, exec_lo, s6
	s_cbranch_vccnz .LBB135_1226
; %bb.1225:
	global_load_u16 v4, v[2:3], off
	s_waitcnt vmcnt(0)
	v_cvt_f16_u16_e32 v5, v4
.LBB135_1226:
	s_mov_b32 s6, 0
.LBB135_1227:
	s_delay_alu instid0(SALU_CYCLE_1)
	s_and_not1_b32 vcc_lo, exec_lo, s6
	s_cbranch_vccnz .LBB135_1235
; %bb.1228:
	global_load_u8 v4, v[2:3], off
	s_mov_b32 s6, 0
	s_mov_b32 s12, exec_lo
                                        ; implicit-def: $sgpr7
	s_waitcnt vmcnt(0)
	v_cmpx_lt_i16_e32 0x7f, v4
	s_xor_b32 s12, exec_lo, s12
	s_cbranch_execz .LBB135_1249
; %bb.1229:
	s_mov_b32 s6, -1
	s_mov_b32 s13, exec_lo
                                        ; implicit-def: $sgpr7
	v_cmpx_eq_u16_e32 0x80, v4
; %bb.1230:
	s_movk_i32 s7, 0x7e00
	s_xor_b32 s6, exec_lo, -1
; %bb.1231:
	s_or_b32 exec_lo, exec_lo, s13
	s_delay_alu instid0(SALU_CYCLE_1)
	s_and_b32 s6, s6, exec_lo
	s_or_saveexec_b32 s12, s12
	v_mov_b32_e32 v5, s7
	s_xor_b32 exec_lo, exec_lo, s12
	s_cbranch_execnz .LBB135_1250
.LBB135_1232:
	s_or_b32 exec_lo, exec_lo, s12
	s_and_saveexec_b32 s7, s6
	s_cbranch_execz .LBB135_1234
.LBB135_1233:
	v_and_b32_e32 v5, 0xffff, v4
	s_delay_alu instid0(VALU_DEP_1) | instskip(NEXT) | instid1(VALU_DEP_1)
	v_and_b32_e32 v7, 7, v5
	v_clz_i32_u32_e32 v8, v7
	s_delay_alu instid0(VALU_DEP_1) | instskip(NEXT) | instid1(VALU_DEP_1)
	v_min_u32_e32 v8, 32, v8
	v_subrev_nc_u32_e32 v9, 28, v8
	v_sub_nc_u32_e32 v8, 29, v8
	s_delay_alu instid0(VALU_DEP_2) | instskip(SKIP_1) | instid1(VALU_DEP_2)
	v_lshlrev_b32_e32 v9, v9, v5
	v_bfe_u32 v5, v5, 3, 4
	v_and_b32_e32 v9, 7, v9
	s_delay_alu instid0(VALU_DEP_2) | instskip(NEXT) | instid1(VALU_DEP_2)
	v_cmp_eq_u32_e32 vcc_lo, 0, v5
	v_dual_cndmask_b32 v7, v7, v9 :: v_dual_lshlrev_b32 v4, 24, v4
	v_cndmask_b32_e32 v5, v5, v8, vcc_lo
	s_delay_alu instid0(VALU_DEP_2) | instskip(NEXT) | instid1(VALU_DEP_3)
	v_and_b32_e32 v4, 0x80000000, v4
	v_lshlrev_b32_e32 v7, 20, v7
	s_delay_alu instid0(VALU_DEP_3) | instskip(NEXT) | instid1(VALU_DEP_1)
	v_lshl_add_u32 v5, v5, 23, 0x3b800000
	v_or3_b32 v4, v4, v5, v7
	s_delay_alu instid0(VALU_DEP_1)
	v_cvt_f16_f32_e32 v5, v4
.LBB135_1234:
	s_or_b32 exec_lo, exec_lo, s7
.LBB135_1235:
	s_mov_b32 s6, -1
.LBB135_1236:
	s_mov_b32 s7, 0
.LBB135_1237:
	s_delay_alu instid0(SALU_CYCLE_1)
	s_and_b32 vcc_lo, exec_lo, s7
	s_cbranch_vccz .LBB135_1270
; %bb.1238:
	v_cmp_lt_i16_e32 vcc_lo, 22, v6
	s_cbranch_vccz .LBB135_1248
; %bb.1239:
	v_cmp_gt_i16_e32 vcc_lo, 24, v6
	s_cbranch_vccnz .LBB135_1251
; %bb.1240:
	v_cmp_lt_i16_e32 vcc_lo, 24, v6
	s_cbranch_vccz .LBB135_1252
; %bb.1241:
	global_load_u8 v4, v[2:3], off
	s_mov_b32 s7, exec_lo
                                        ; implicit-def: $sgpr6
	s_waitcnt vmcnt(0)
	v_cmpx_lt_i16_e32 0x7f, v4
	s_xor_b32 s7, exec_lo, s7
	s_cbranch_execz .LBB135_1264
; %bb.1242:
	s_mov_b32 s3, -1
	s_mov_b32 s12, exec_lo
                                        ; implicit-def: $sgpr6
	v_cmpx_eq_u16_e32 0x80, v4
; %bb.1243:
	s_movk_i32 s6, 0x7e00
	s_xor_b32 s3, exec_lo, -1
; %bb.1244:
	s_or_b32 exec_lo, exec_lo, s12
	s_delay_alu instid0(SALU_CYCLE_1)
	s_and_b32 s3, s3, exec_lo
	s_or_saveexec_b32 s7, s7
	v_mov_b32_e32 v5, s6
	s_xor_b32 exec_lo, exec_lo, s7
	s_cbranch_execnz .LBB135_1265
.LBB135_1245:
	s_or_b32 exec_lo, exec_lo, s7
	s_and_saveexec_b32 s6, s3
	s_cbranch_execz .LBB135_1247
.LBB135_1246:
	v_and_b32_e32 v5, 0xffff, v4
	s_delay_alu instid0(VALU_DEP_1) | instskip(NEXT) | instid1(VALU_DEP_1)
	v_and_b32_e32 v7, 3, v5
	v_clz_i32_u32_e32 v8, v7
	s_delay_alu instid0(VALU_DEP_1) | instskip(NEXT) | instid1(VALU_DEP_1)
	v_min_u32_e32 v8, 32, v8
	v_subrev_nc_u32_e32 v9, 29, v8
	v_sub_nc_u32_e32 v8, 30, v8
	s_delay_alu instid0(VALU_DEP_2) | instskip(SKIP_1) | instid1(VALU_DEP_2)
	v_lshlrev_b32_e32 v9, v9, v5
	v_bfe_u32 v5, v5, 2, 5
	v_and_b32_e32 v9, 3, v9
	s_delay_alu instid0(VALU_DEP_2) | instskip(NEXT) | instid1(VALU_DEP_2)
	v_cmp_eq_u32_e32 vcc_lo, 0, v5
	v_dual_cndmask_b32 v7, v7, v9 :: v_dual_lshlrev_b32 v4, 24, v4
	v_cndmask_b32_e32 v5, v5, v8, vcc_lo
	s_delay_alu instid0(VALU_DEP_2) | instskip(NEXT) | instid1(VALU_DEP_3)
	v_and_b32_e32 v4, 0x80000000, v4
	v_lshlrev_b32_e32 v7, 21, v7
	s_delay_alu instid0(VALU_DEP_3) | instskip(NEXT) | instid1(VALU_DEP_1)
	v_lshl_add_u32 v5, v5, 23, 0x37800000
	v_or3_b32 v4, v4, v5, v7
	s_delay_alu instid0(VALU_DEP_1)
	v_cvt_f16_f32_e32 v5, v4
.LBB135_1247:
	s_or_b32 exec_lo, exec_lo, s6
	s_mov_b32 s3, 0
	s_branch .LBB135_1253
.LBB135_1248:
	s_mov_b32 s3, -1
                                        ; implicit-def: $vgpr5
	s_branch .LBB135_1259
.LBB135_1249:
	s_or_saveexec_b32 s12, s12
	v_mov_b32_e32 v5, s7
	s_xor_b32 exec_lo, exec_lo, s12
	s_cbranch_execz .LBB135_1232
.LBB135_1250:
	v_cmp_ne_u16_e32 vcc_lo, 0, v4
	v_mov_b32_e32 v5, v4
	s_and_not1_b32 s6, s6, exec_lo
	s_and_b32 s7, vcc_lo, exec_lo
	s_delay_alu instid0(SALU_CYCLE_1)
	s_or_b32 s6, s6, s7
	s_or_b32 exec_lo, exec_lo, s12
	s_and_saveexec_b32 s7, s6
	s_cbranch_execnz .LBB135_1233
	s_branch .LBB135_1234
.LBB135_1251:
	s_mov_b32 s3, -1
                                        ; implicit-def: $vgpr5
	s_branch .LBB135_1256
.LBB135_1252:
	s_mov_b32 s3, -1
                                        ; implicit-def: $vgpr5
.LBB135_1253:
	s_delay_alu instid0(SALU_CYCLE_1)
	s_and_b32 vcc_lo, exec_lo, s3
	s_cbranch_vccz .LBB135_1255
; %bb.1254:
	global_load_u8 v4, v[2:3], off
	s_waitcnt vmcnt(0)
	v_lshlrev_b32_e32 v4, 24, v4
	s_delay_alu instid0(VALU_DEP_1) | instskip(NEXT) | instid1(VALU_DEP_1)
	v_and_b32_e32 v5, 0x7f000000, v4
	v_clz_i32_u32_e32 v7, v5
	v_add_nc_u32_e32 v9, 0x1000000, v5
	v_cmp_ne_u32_e32 vcc_lo, 0, v5
	s_delay_alu instid0(VALU_DEP_3) | instskip(NEXT) | instid1(VALU_DEP_1)
	v_min_u32_e32 v7, 32, v7
	v_sub_nc_u32_e64 v7, v7, 4 clamp
	s_delay_alu instid0(VALU_DEP_1) | instskip(SKIP_1) | instid1(VALU_DEP_2)
	v_lshlrev_b32_e32 v8, v7, v5
	v_lshlrev_b32_e32 v7, 23, v7
	v_lshrrev_b32_e32 v8, 4, v8
	s_delay_alu instid0(VALU_DEP_1) | instskip(SKIP_1) | instid1(VALU_DEP_2)
	v_sub_nc_u32_e32 v7, v8, v7
	v_ashrrev_i32_e32 v8, 8, v9
	v_add_nc_u32_e32 v7, 0x3c000000, v7
	s_delay_alu instid0(VALU_DEP_1) | instskip(NEXT) | instid1(VALU_DEP_1)
	v_and_or_b32 v7, 0x7f800000, v8, v7
	v_cndmask_b32_e32 v5, 0, v7, vcc_lo
	s_delay_alu instid0(VALU_DEP_1) | instskip(NEXT) | instid1(VALU_DEP_1)
	v_and_or_b32 v4, 0x80000000, v4, v5
	v_cvt_f16_f32_e32 v5, v4
.LBB135_1255:
	s_mov_b32 s3, 0
.LBB135_1256:
	s_delay_alu instid0(SALU_CYCLE_1)
	s_and_not1_b32 vcc_lo, exec_lo, s3
	s_cbranch_vccnz .LBB135_1258
; %bb.1257:
	global_load_u8 v4, v[2:3], off
	s_waitcnt vmcnt(0)
	v_lshlrev_b32_e32 v5, 25, v4
	v_lshlrev_b16 v4, 8, v4
	s_delay_alu instid0(VALU_DEP_2) | instskip(NEXT) | instid1(VALU_DEP_2)
	v_lshrrev_b32_e32 v7, 4, v5
	v_and_or_b32 v8, 0x7f00, v4, 0.5
	v_cmp_gt_u32_e32 vcc_lo, 0x8000000, v5
	v_bfe_i32 v4, v4, 0, 16
	s_delay_alu instid0(VALU_DEP_4) | instskip(NEXT) | instid1(VALU_DEP_1)
	v_or_b32_e32 v7, 0x70000000, v7
	v_dual_add_f32 v8, -0.5, v8 :: v_dual_mul_f32 v7, 0x7800000, v7
	s_delay_alu instid0(VALU_DEP_1) | instskip(NEXT) | instid1(VALU_DEP_1)
	v_cndmask_b32_e32 v5, v7, v8, vcc_lo
	v_and_or_b32 v4, 0x80000000, v4, v5
	s_delay_alu instid0(VALU_DEP_1)
	v_cvt_f16_f32_e32 v5, v4
.LBB135_1258:
	s_mov_b32 s3, 0
	s_mov_b32 s6, -1
.LBB135_1259:
	s_and_not1_b32 vcc_lo, exec_lo, s3
	s_mov_b32 s3, 0
	s_cbranch_vccnz .LBB135_1270
; %bb.1260:
	v_cmp_lt_i16_e32 vcc_lo, 14, v6
	s_cbranch_vccz .LBB135_1263
; %bb.1261:
	v_cmp_eq_u16_e32 vcc_lo, 15, v6
	s_cbranch_vccz .LBB135_1266
; %bb.1262:
	global_load_u16 v4, v[2:3], off
	s_mov_b32 s2, 0
	s_mov_b32 s6, -1
	s_waitcnt vmcnt(0)
	v_lshlrev_b32_e32 v4, 16, v4
	s_delay_alu instid0(VALU_DEP_1)
	v_cvt_f16_f32_e32 v5, v4
	s_branch .LBB135_1268
.LBB135_1263:
	s_mov_b32 s3, -1
	s_branch .LBB135_1267
.LBB135_1264:
	s_or_saveexec_b32 s7, s7
	v_mov_b32_e32 v5, s6
	s_xor_b32 exec_lo, exec_lo, s7
	s_cbranch_execz .LBB135_1245
.LBB135_1265:
	v_cmp_ne_u16_e32 vcc_lo, 0, v4
	v_mov_b32_e32 v5, v4
	s_and_not1_b32 s3, s3, exec_lo
	s_and_b32 s6, vcc_lo, exec_lo
	s_delay_alu instid0(SALU_CYCLE_1)
	s_or_b32 s3, s3, s6
	s_or_b32 exec_lo, exec_lo, s7
	s_and_saveexec_b32 s6, s3
	s_cbranch_execnz .LBB135_1246
	s_branch .LBB135_1247
.LBB135_1266:
	s_mov_b32 s2, -1
.LBB135_1267:
                                        ; implicit-def: $vgpr5
.LBB135_1268:
	s_and_b32 vcc_lo, exec_lo, s3
	s_mov_b32 s3, 0
	s_cbranch_vccz .LBB135_1270
; %bb.1269:
	v_cmp_ne_u16_e32 vcc_lo, 11, v6
	s_and_not1_b32 s2, s2, exec_lo
	s_mov_b32 s3, -1
                                        ; implicit-def: $vgpr5
	s_and_b32 s7, vcc_lo, exec_lo
	s_delay_alu instid0(SALU_CYCLE_1)
	s_or_b32 s2, s2, s7
.LBB135_1270:
	s_mov_b32 s7, 0
.LBB135_1271:
	s_and_b32 s52, s6, exec_lo
	s_and_not1_b32 s6, s47, exec_lo
	s_and_b32 s2, s2, exec_lo
	s_and_b32 s50, s7, exec_lo
	;; [unrolled: 1-line block ×3, first 2 shown]
	s_or_b32 s51, s6, s2
.LBB135_1272:
	s_or_b32 exec_lo, exec_lo, s36
	s_delay_alu instid0(SALU_CYCLE_1)
	s_and_not1_b32 s6, s47, exec_lo
	s_and_b32 s7, s51, exec_lo
	s_and_b32 s2, s52, exec_lo
	;; [unrolled: 1-line block ×4, first 2 shown]
	s_or_b32 s47, s6, s7
.LBB135_1273:
	s_or_b32 exec_lo, exec_lo, s46
	s_delay_alu instid0(SALU_CYCLE_1)
	s_and_not1_b32 s6, s43, exec_lo
	s_and_b32 s7, s48, exec_lo
	s_and_not1_b32 s12, s44, exec_lo
	s_and_b32 s13, s49, exec_lo
	s_or_b32 s43, s6, s7
	s_and_not1_b32 s6, s42, exec_lo
	s_and_b32 s7, s47, exec_lo
	s_or_b32 s44, s12, s13
	s_and_b32 s2, s2, exec_lo
	s_and_b32 s46, s50, exec_lo
	;; [unrolled: 1-line block ×3, first 2 shown]
	s_or_b32 s42, s6, s7
.LBB135_1274:
	s_or_b32 exec_lo, exec_lo, s45
	s_delay_alu instid0(SALU_CYCLE_1)
	s_and_not1_b32 s6, s38, exec_lo
	s_and_b32 s7, s43, exec_lo
	s_and_not1_b32 s12, s39, exec_lo
	s_and_b32 s13, s44, exec_lo
	s_or_b32 s38, s6, s7
	s_and_not1_b32 s6, s40, exec_lo
	s_and_b32 s7, s42, exec_lo
	s_or_b32 s39, s12, s13
	s_and_b32 s2, s2, exec_lo
	s_and_b32 s43, s46, exec_lo
	;; [unrolled: 1-line block ×3, first 2 shown]
	s_or_b32 s40, s6, s7
.LBB135_1275:
	s_or_b32 exec_lo, exec_lo, s41
	s_mov_b32 s3, 0
	s_and_saveexec_b32 s6, s40
	s_cbranch_execnz .LBB135_1287
; %bb.1276:
	s_or_b32 exec_lo, exec_lo, s6
	s_and_saveexec_b32 s6, s42
	s_delay_alu instid0(SALU_CYCLE_1)
	s_xor_b32 s6, exec_lo, s6
	s_cbranch_execz .LBB135_1278
.LBB135_1277:
	global_load_u8 v4, v[2:3], off
	s_or_b32 s2, s2, exec_lo
	s_waitcnt vmcnt(0)
	v_cmp_ne_u16_e32 vcc_lo, 0, v4
	v_cndmask_b32_e64 v5, 0, 0x3c00, vcc_lo
.LBB135_1278:
	s_or_b32 exec_lo, exec_lo, s6
	s_and_saveexec_b32 s6, s43
	s_cbranch_execz .LBB135_1326
; %bb.1279:
	v_cmp_gt_i16_e32 vcc_lo, 5, v6
	s_cbranch_vccnz .LBB135_1284
; %bb.1280:
	v_cmp_gt_i16_e32 vcc_lo, 8, v6
	s_cbranch_vccnz .LBB135_1285
	;; [unrolled: 3-line block ×3, first 2 shown]
; %bb.1282:
	v_cmp_lt_i16_e32 vcc_lo, 9, v6
	s_cbranch_vccz .LBB135_1289
; %bb.1283:
	global_load_b64 v[4:5], v[2:3], off
	s_mov_b32 s7, 0
	s_waitcnt vmcnt(0)
	v_cvt_f32_f64_e32 v4, v[4:5]
	s_delay_alu instid0(VALU_DEP_1)
	v_cvt_f16_f32_e32 v5, v4
	s_branch .LBB135_1290
.LBB135_1284:
                                        ; implicit-def: $vgpr5
	s_branch .LBB135_1307
.LBB135_1285:
                                        ; implicit-def: $vgpr5
	s_branch .LBB135_1296
.LBB135_1286:
	s_mov_b32 s7, -1
                                        ; implicit-def: $vgpr5
	s_branch .LBB135_1293
.LBB135_1287:
	s_cbranch_execnz .LBB135_1609
; %bb.1288:
	s_mov_b32 s3, exec_lo
	s_and_not1_b32 s42, s42, exec_lo
                                        ; implicit-def: $vgpr5
	s_or_b32 exec_lo, exec_lo, s6
	s_and_saveexec_b32 s6, s42
	s_delay_alu instid0(SALU_CYCLE_1)
	s_xor_b32 s6, exec_lo, s6
	s_cbranch_execnz .LBB135_1277
	s_branch .LBB135_1278
.LBB135_1289:
	s_mov_b32 s7, -1
                                        ; implicit-def: $vgpr5
.LBB135_1290:
	s_delay_alu instid0(SALU_CYCLE_1)
	s_and_not1_b32 vcc_lo, exec_lo, s7
	s_cbranch_vccnz .LBB135_1292
; %bb.1291:
	global_load_b32 v4, v[2:3], off
	s_waitcnt vmcnt(0)
	v_cvt_f16_f32_e32 v5, v4
.LBB135_1292:
	s_mov_b32 s7, 0
.LBB135_1293:
	s_delay_alu instid0(SALU_CYCLE_1)
	s_and_not1_b32 vcc_lo, exec_lo, s7
	s_cbranch_vccnz .LBB135_1295
; %bb.1294:
	global_load_b32 v5, v[2:3], off
.LBB135_1295:
	s_cbranch_execnz .LBB135_1306
.LBB135_1296:
	v_cmp_gt_i16_e32 vcc_lo, 6, v6
	s_cbranch_vccnz .LBB135_1299
; %bb.1297:
	v_cmp_lt_i16_e32 vcc_lo, 6, v6
	s_cbranch_vccz .LBB135_1300
; %bb.1298:
	global_load_b64 v[4:5], v[2:3], off
	s_mov_b32 s7, 0
	s_waitcnt vmcnt(0)
	v_cvt_f32_f64_e32 v4, v[4:5]
	s_delay_alu instid0(VALU_DEP_1)
	v_cvt_f16_f32_e32 v5, v4
	s_branch .LBB135_1301
.LBB135_1299:
	s_mov_b32 s7, -1
                                        ; implicit-def: $vgpr5
	s_branch .LBB135_1304
.LBB135_1300:
	s_mov_b32 s7, -1
                                        ; implicit-def: $vgpr5
.LBB135_1301:
	s_delay_alu instid0(SALU_CYCLE_1)
	s_and_not1_b32 vcc_lo, exec_lo, s7
	s_cbranch_vccnz .LBB135_1303
; %bb.1302:
	global_load_b32 v4, v[2:3], off
	s_waitcnt vmcnt(0)
	v_cvt_f16_f32_e32 v5, v4
.LBB135_1303:
	s_mov_b32 s7, 0
.LBB135_1304:
	s_delay_alu instid0(SALU_CYCLE_1)
	s_and_not1_b32 vcc_lo, exec_lo, s7
	s_cbranch_vccnz .LBB135_1306
; %bb.1305:
	global_load_u16 v5, v[2:3], off
.LBB135_1306:
	s_cbranch_execnz .LBB135_1325
.LBB135_1307:
	v_cmp_gt_i16_e32 vcc_lo, 2, v6
	s_cbranch_vccnz .LBB135_1311
; %bb.1308:
	v_cmp_gt_i16_e32 vcc_lo, 3, v6
	s_cbranch_vccnz .LBB135_1312
; %bb.1309:
	v_cmp_lt_i16_e32 vcc_lo, 3, v6
	s_cbranch_vccz .LBB135_1313
; %bb.1310:
	global_load_b64 v[4:5], v[2:3], off
	s_mov_b32 s7, 0
	s_waitcnt vmcnt(0)
	v_xor_b32_e32 v7, v4, v5
	v_cls_i32_e32 v8, v5
	s_delay_alu instid0(VALU_DEP_2) | instskip(NEXT) | instid1(VALU_DEP_2)
	v_ashrrev_i32_e32 v7, 31, v7
	v_add_nc_u32_e32 v8, -1, v8
	s_delay_alu instid0(VALU_DEP_2) | instskip(NEXT) | instid1(VALU_DEP_1)
	v_add_nc_u32_e32 v7, 32, v7
	v_min_u32_e32 v7, v8, v7
	s_delay_alu instid0(VALU_DEP_1) | instskip(NEXT) | instid1(VALU_DEP_1)
	v_lshlrev_b64 v[4:5], v7, v[4:5]
	v_min_u32_e32 v4, 1, v4
	s_delay_alu instid0(VALU_DEP_1) | instskip(SKIP_1) | instid1(VALU_DEP_2)
	v_or_b32_e32 v4, v5, v4
	v_sub_nc_u32_e32 v5, 32, v7
	v_cvt_f32_i32_e32 v4, v4
	s_delay_alu instid0(VALU_DEP_1) | instskip(NEXT) | instid1(VALU_DEP_1)
	v_ldexp_f32 v4, v4, v5
	v_cvt_f16_f32_e32 v5, v4
	s_branch .LBB135_1314
.LBB135_1311:
                                        ; implicit-def: $vgpr5
	s_branch .LBB135_1320
.LBB135_1312:
	s_mov_b32 s7, -1
                                        ; implicit-def: $vgpr5
	s_branch .LBB135_1317
.LBB135_1313:
	s_mov_b32 s7, -1
                                        ; implicit-def: $vgpr5
.LBB135_1314:
	s_delay_alu instid0(SALU_CYCLE_1)
	s_and_not1_b32 vcc_lo, exec_lo, s7
	s_cbranch_vccnz .LBB135_1316
; %bb.1315:
	global_load_b32 v4, v[2:3], off
	s_waitcnt vmcnt(0)
	v_cvt_f32_i32_e32 v4, v4
	s_delay_alu instid0(VALU_DEP_1)
	v_cvt_f16_f32_e32 v5, v4
.LBB135_1316:
	s_mov_b32 s7, 0
.LBB135_1317:
	s_delay_alu instid0(SALU_CYCLE_1)
	s_and_not1_b32 vcc_lo, exec_lo, s7
	s_cbranch_vccnz .LBB135_1319
; %bb.1318:
	global_load_u16 v4, v[2:3], off
	s_waitcnt vmcnt(0)
	v_cvt_f16_i16_e32 v5, v4
.LBB135_1319:
	s_cbranch_execnz .LBB135_1325
.LBB135_1320:
	v_cmp_lt_i16_e32 vcc_lo, 0, v6
	s_mov_b32 s7, 0
	s_cbranch_vccz .LBB135_1322
; %bb.1321:
	global_load_i8 v4, v[2:3], off
	s_waitcnt vmcnt(0)
	v_cvt_f16_i16_e32 v5, v4
	s_branch .LBB135_1323
.LBB135_1322:
	s_mov_b32 s7, -1
                                        ; implicit-def: $vgpr5
.LBB135_1323:
	s_delay_alu instid0(SALU_CYCLE_1)
	s_and_not1_b32 vcc_lo, exec_lo, s7
	s_cbranch_vccnz .LBB135_1325
; %bb.1324:
	global_load_u8 v2, v[2:3], off
	s_waitcnt vmcnt(0)
	v_cvt_f16_u16_e32 v5, v2
.LBB135_1325:
	s_or_b32 s2, s2, exec_lo
.LBB135_1326:
	s_or_b32 exec_lo, exec_lo, s6
	s_mov_b32 s7, 0
	s_mov_b32 s14, 0
	;; [unrolled: 1-line block ×3, first 2 shown]
                                        ; implicit-def: $sgpr12
                                        ; implicit-def: $vgpr4
                                        ; implicit-def: $vgpr2_vgpr3
	s_and_saveexec_b32 s6, s2
	s_cbranch_execz .LBB135_1336
; %bb.1327:
	v_and_b32_e64 v4, 0xff, s31
	v_add_co_u32 v2, s2, s8, v1
	s_delay_alu instid0(VALU_DEP_1) | instskip(NEXT) | instid1(VALU_DEP_3)
	v_add_co_ci_u32_e64 v3, null, s9, 0, s2
	v_cmp_gt_i16_e32 vcc_lo, 11, v4
	s_mov_b32 s9, 0
	s_cbranch_vccnz .LBB135_1334
; %bb.1328:
	v_cmp_lt_i16_e32 vcc_lo, 25, v4
	s_mov_b32 s2, 0
	s_cbranch_vccz .LBB135_1346
; %bb.1329:
	v_cmp_lt_i16_e32 vcc_lo, 28, v4
	s_cbranch_vccz .LBB135_1348
; %bb.1330:
	v_cmp_lt_i16_e32 vcc_lo, 43, v4
	;; [unrolled: 3-line block ×3, first 2 shown]
	s_cbranch_vccz .LBB135_1615
; %bb.1332:
	v_cmp_eq_u16_e32 vcc_lo, 46, v4
	s_mov_b32 s12, 0
	s_cbranch_vccz .LBB135_1747
; %bb.1333:
	global_load_b32 v1, v[2:3], off
	s_mov_b32 s9, -1
	s_waitcnt vmcnt(0)
	v_and_b32_e32 v1, 0x7fff7fff, v1
	s_delay_alu instid0(VALU_DEP_1)
	v_cmp_ne_u32_e32 vcc_lo, 0, v1
	s_and_b32 s8, vcc_lo, exec_lo
	s_branch .LBB135_1749
.LBB135_1334:
	s_mov_b32 s14, -1
	s_mov_b32 s2, 0
	s_mov_b32 s7, s39
                                        ; implicit-def: $sgpr8
.LBB135_1335:
	s_and_b32 s12, s8, exec_lo
	s_and_b32 s13, s9, exec_lo
	s_and_not1_b32 s8, s39, exec_lo
	s_and_b32 s9, s7, exec_lo
	s_and_b32 s14, s14, exec_lo
	;; [unrolled: 1-line block ×3, first 2 shown]
	s_or_b32 s39, s8, s9
.LBB135_1336:
	s_or_b32 exec_lo, exec_lo, s6
	s_and_saveexec_b32 s2, s39
	s_cbranch_execnz .LBB135_1350
; %bb.1337:
	s_or_b32 exec_lo, exec_lo, s2
	s_and_saveexec_b32 s2, s7
	s_delay_alu instid0(SALU_CYCLE_1)
	s_xor_b32 s2, exec_lo, s2
	s_cbranch_execz .LBB135_1339
.LBB135_1338:
	global_load_u8 v1, v[2:3], off
	s_and_not1_b32 s6, s12, exec_lo
	s_or_b32 s13, s13, exec_lo
	s_waitcnt vmcnt(0)
	v_cmp_ne_u16_e32 vcc_lo, 0, v1
	s_and_b32 s7, vcc_lo, exec_lo
	s_delay_alu instid0(SALU_CYCLE_1)
	s_or_b32 s12, s6, s7
.LBB135_1339:
	s_or_b32 exec_lo, exec_lo, s2
	s_and_saveexec_b32 s6, s14
	s_cbranch_execz .LBB135_1390
; %bb.1340:
	v_cmp_gt_i16_e32 vcc_lo, 5, v4
	s_cbranch_vccnz .LBB135_1345
; %bb.1341:
	v_cmp_gt_i16_e32 vcc_lo, 8, v4
	s_cbranch_vccnz .LBB135_1347
	;; [unrolled: 3-line block ×3, first 2 shown]
; %bb.1343:
	v_cmp_lt_i16_e32 vcc_lo, 9, v4
	s_cbranch_vccz .LBB135_1353
; %bb.1344:
	global_load_b128 v[6:9], v[2:3], off
	s_mov_b32 s7, 0
	s_waitcnt vmcnt(0)
	v_cmp_neq_f64_e32 vcc_lo, 0, v[6:7]
	v_cmp_neq_f64_e64 s2, 0, v[8:9]
	s_delay_alu instid0(VALU_DEP_1) | instskip(NEXT) | instid1(SALU_CYCLE_1)
	s_or_b32 s2, vcc_lo, s2
	s_and_b32 s2, s2, exec_lo
	s_branch .LBB135_1354
.LBB135_1345:
                                        ; implicit-def: $sgpr2
	s_branch .LBB135_1371
.LBB135_1346:
	s_mov_b32 s7, s39
                                        ; implicit-def: $sgpr8
	s_cbranch_execnz .LBB135_1776
	s_branch .LBB135_1335
.LBB135_1347:
                                        ; implicit-def: $sgpr2
	s_branch .LBB135_1360
.LBB135_1348:
	s_mov_b32 s12, -1
	s_mov_b32 s7, s39
                                        ; implicit-def: $sgpr8
	s_branch .LBB135_1757
.LBB135_1349:
	s_mov_b32 s7, -1
                                        ; implicit-def: $sgpr2
	s_branch .LBB135_1357
.LBB135_1350:
	s_cbranch_execnz .LBB135_1611
; %bb.1351:
	s_and_not1_b32 s12, s12, exec_lo
	s_or_b32 s3, s3, exec_lo
	s_and_not1_b32 s13, s13, exec_lo
	s_and_not1_b32 s7, s7, exec_lo
	s_or_b32 exec_lo, exec_lo, s2
	s_and_saveexec_b32 s2, s7
	s_delay_alu instid0(SALU_CYCLE_1)
	s_xor_b32 s2, exec_lo, s2
	s_cbranch_execnz .LBB135_1338
	s_branch .LBB135_1339
.LBB135_1352:
	s_mov_b32 s12, -1
	s_mov_b32 s7, s39
                                        ; implicit-def: $sgpr8
	s_branch .LBB135_1752
.LBB135_1353:
	s_mov_b32 s7, -1
                                        ; implicit-def: $sgpr2
.LBB135_1354:
	s_delay_alu instid0(SALU_CYCLE_1)
	s_and_not1_b32 vcc_lo, exec_lo, s7
	s_cbranch_vccnz .LBB135_1356
; %bb.1355:
	global_load_b64 v[6:7], v[2:3], off
	s_and_not1_b32 s2, s2, exec_lo
	s_waitcnt vmcnt(0)
	v_or_b32_e32 v1, v6, v7
	s_delay_alu instid0(VALU_DEP_1) | instskip(NEXT) | instid1(VALU_DEP_1)
	v_and_b32_e32 v1, 0x7fffffff, v1
	v_cmp_ne_u32_e32 vcc_lo, 0, v1
	s_and_b32 s7, vcc_lo, exec_lo
	s_delay_alu instid0(SALU_CYCLE_1)
	s_or_b32 s2, s2, s7
.LBB135_1356:
	s_mov_b32 s7, 0
.LBB135_1357:
	s_delay_alu instid0(SALU_CYCLE_1)
	s_and_not1_b32 vcc_lo, exec_lo, s7
	s_cbranch_vccnz .LBB135_1359
; %bb.1358:
	global_load_b32 v1, v[2:3], off
	s_and_not1_b32 s2, s2, exec_lo
	s_waitcnt vmcnt(0)
	v_and_b32_e32 v1, 0x7fff7fff, v1
	s_delay_alu instid0(VALU_DEP_1) | instskip(SKIP_1) | instid1(SALU_CYCLE_1)
	v_cmp_ne_u32_e32 vcc_lo, 0, v1
	s_and_b32 s7, vcc_lo, exec_lo
	s_or_b32 s2, s2, s7
.LBB135_1359:
	s_cbranch_execnz .LBB135_1370
.LBB135_1360:
	v_cmp_gt_i16_e32 vcc_lo, 6, v4
	s_cbranch_vccnz .LBB135_1363
; %bb.1361:
	v_cmp_lt_i16_e32 vcc_lo, 6, v4
	s_cbranch_vccz .LBB135_1364
; %bb.1362:
	global_load_b64 v[6:7], v[2:3], off
	s_mov_b32 s7, 0
	s_waitcnt vmcnt(0)
	v_cmp_neq_f64_e32 vcc_lo, 0, v[6:7]
	s_and_b32 s2, vcc_lo, exec_lo
	s_branch .LBB135_1365
.LBB135_1363:
	s_mov_b32 s7, -1
                                        ; implicit-def: $sgpr2
	s_branch .LBB135_1368
.LBB135_1364:
	s_mov_b32 s7, -1
                                        ; implicit-def: $sgpr2
.LBB135_1365:
	s_delay_alu instid0(SALU_CYCLE_1)
	s_and_not1_b32 vcc_lo, exec_lo, s7
	s_cbranch_vccnz .LBB135_1367
; %bb.1366:
	global_load_b32 v1, v[2:3], off
	s_and_not1_b32 s2, s2, exec_lo
	s_waitcnt vmcnt(0)
	v_cmp_neq_f32_e32 vcc_lo, 0, v1
	s_and_b32 s7, vcc_lo, exec_lo
	s_delay_alu instid0(SALU_CYCLE_1)
	s_or_b32 s2, s2, s7
.LBB135_1367:
	s_mov_b32 s7, 0
.LBB135_1368:
	s_delay_alu instid0(SALU_CYCLE_1)
	s_and_not1_b32 vcc_lo, exec_lo, s7
	s_cbranch_vccnz .LBB135_1370
; %bb.1369:
	global_load_u16 v1, v[2:3], off
	s_and_not1_b32 s2, s2, exec_lo
	s_waitcnt vmcnt(0)
	v_and_b32_e32 v1, 0x7fff, v1
	s_delay_alu instid0(VALU_DEP_1) | instskip(SKIP_1) | instid1(SALU_CYCLE_1)
	v_cmp_ne_u16_e32 vcc_lo, 0, v1
	s_and_b32 s7, vcc_lo, exec_lo
	s_or_b32 s2, s2, s7
.LBB135_1370:
	s_cbranch_execnz .LBB135_1389
.LBB135_1371:
	v_cmp_gt_i16_e32 vcc_lo, 2, v4
	s_cbranch_vccnz .LBB135_1375
; %bb.1372:
	v_cmp_gt_i16_e32 vcc_lo, 3, v4
	s_cbranch_vccnz .LBB135_1376
; %bb.1373:
	v_cmp_lt_i16_e32 vcc_lo, 3, v4
	s_cbranch_vccz .LBB135_1377
; %bb.1374:
	global_load_b64 v[6:7], v[2:3], off
	s_mov_b32 s7, 0
	s_waitcnt vmcnt(0)
	v_cmp_ne_u64_e32 vcc_lo, 0, v[6:7]
	s_and_b32 s2, vcc_lo, exec_lo
	s_branch .LBB135_1378
.LBB135_1375:
                                        ; implicit-def: $sgpr2
	s_branch .LBB135_1384
.LBB135_1376:
	s_mov_b32 s7, -1
                                        ; implicit-def: $sgpr2
	s_branch .LBB135_1381
.LBB135_1377:
	s_mov_b32 s7, -1
                                        ; implicit-def: $sgpr2
.LBB135_1378:
	s_delay_alu instid0(SALU_CYCLE_1)
	s_and_not1_b32 vcc_lo, exec_lo, s7
	s_cbranch_vccnz .LBB135_1380
; %bb.1379:
	global_load_b32 v1, v[2:3], off
	s_and_not1_b32 s2, s2, exec_lo
	s_waitcnt vmcnt(0)
	v_cmp_ne_u32_e32 vcc_lo, 0, v1
	s_and_b32 s7, vcc_lo, exec_lo
	s_delay_alu instid0(SALU_CYCLE_1)
	s_or_b32 s2, s2, s7
.LBB135_1380:
	s_mov_b32 s7, 0
.LBB135_1381:
	s_delay_alu instid0(SALU_CYCLE_1)
	s_and_not1_b32 vcc_lo, exec_lo, s7
	s_cbranch_vccnz .LBB135_1383
; %bb.1382:
	global_load_u16 v1, v[2:3], off
	s_and_not1_b32 s2, s2, exec_lo
	s_waitcnt vmcnt(0)
	v_cmp_ne_u16_e32 vcc_lo, 0, v1
	s_and_b32 s7, vcc_lo, exec_lo
	s_delay_alu instid0(SALU_CYCLE_1)
	s_or_b32 s2, s2, s7
.LBB135_1383:
	s_cbranch_execnz .LBB135_1389
.LBB135_1384:
	v_cmp_lt_i16_e32 vcc_lo, 0, v4
	s_mov_b32 s7, 0
	s_cbranch_vccz .LBB135_1386
; %bb.1385:
	global_load_u8 v1, v[2:3], off
	s_waitcnt vmcnt(0)
	v_cmp_ne_u16_e32 vcc_lo, 0, v1
	s_and_b32 s2, vcc_lo, exec_lo
	s_branch .LBB135_1387
.LBB135_1386:
	s_mov_b32 s7, -1
                                        ; implicit-def: $sgpr2
.LBB135_1387:
	s_delay_alu instid0(SALU_CYCLE_1)
	s_and_not1_b32 vcc_lo, exec_lo, s7
	s_cbranch_vccnz .LBB135_1389
; %bb.1388:
	global_load_u8 v1, v[2:3], off
	s_and_not1_b32 s2, s2, exec_lo
	s_waitcnt vmcnt(0)
	v_cmp_ne_u16_e32 vcc_lo, 0, v1
	s_and_b32 s7, vcc_lo, exec_lo
	s_delay_alu instid0(SALU_CYCLE_1)
	s_or_b32 s2, s2, s7
.LBB135_1389:
	s_and_not1_b32 s7, s12, exec_lo
	s_and_b32 s2, s2, exec_lo
	s_or_b32 s13, s13, exec_lo
	s_or_b32 s12, s7, s2
.LBB135_1390:
	s_or_b32 exec_lo, exec_lo, s6
	s_mov_b32 s2, 0
	s_mov_b32 s7, 0
                                        ; implicit-def: $vgpr4
                                        ; implicit-def: $vgpr1_vgpr2
                                        ; implicit-def: $vgpr3
	s_and_saveexec_b32 s6, s13
	s_cbranch_execz .LBB135_1467
; %bb.1391:
	v_cndmask_b32_e64 v1, 0, 1.0, s12
	s_waitcnt vmcnt(0)
	v_cvt_f32_f16_e32 v2, v5
	v_and_b32_e64 v4, 0xff, s11
	s_mov_b32 s8, 0
	s_delay_alu instid0(VALU_DEP_2) | instskip(NEXT) | instid1(VALU_DEP_2)
	v_mul_f32_e32 v3, v2, v1
	v_cmp_gt_i16_e32 vcc_lo, 11, v4
	v_add_co_u32 v1, s2, s4, v0
	s_delay_alu instid0(VALU_DEP_1) | instskip(NEXT) | instid1(VALU_DEP_4)
	v_add_co_ci_u32_e64 v2, null, s5, 0, s2
	v_fma_mixlo_f16 v3, s10, v3, 0
	s_mov_b32 s4, -1
	s_mov_b32 s2, s38
	s_cbranch_vccnz .LBB135_1466
; %bb.1392:
	v_cmp_lt_i16_e32 vcc_lo, 25, v4
	s_mov_b32 s2, s38
	s_cbranch_vccz .LBB135_1425
; %bb.1393:
	v_cmp_lt_i16_e32 vcc_lo, 28, v4
	s_mov_b32 s2, s38
	s_cbranch_vccz .LBB135_1409
	;; [unrolled: 4-line block ×4, first 2 shown]
; %bb.1396:
	v_cmp_eq_u16_e32 vcc_lo, 46, v4
	s_mov_b32 s2, -1
	s_cbranch_vccz .LBB135_1398
; %bb.1397:
	v_cvt_f32_f16_e32 v0, v3
	v_cmp_o_f16_e32 vcc_lo, v3, v3
	s_mov_b32 s2, 0
	s_delay_alu instid0(VALU_DEP_2) | instskip(NEXT) | instid1(VALU_DEP_1)
	v_bfe_u32 v5, v0, 16, 1
	v_add3_u32 v0, v0, v5, 0x7fff
	s_delay_alu instid0(VALU_DEP_1) | instskip(NEXT) | instid1(VALU_DEP_1)
	v_lshrrev_b32_e32 v0, 16, v0
	v_cndmask_b32_e32 v0, 0x7fc0, v0, vcc_lo
	global_store_b32 v[1:2], v0, off
.LBB135_1398:
	s_mov_b32 s4, 0
.LBB135_1399:
	s_delay_alu instid0(SALU_CYCLE_1)
	s_and_b32 vcc_lo, exec_lo, s4
	s_cbranch_vccz .LBB135_1404
; %bb.1400:
	v_cmp_eq_u16_e32 vcc_lo, 44, v4
	s_mov_b32 s2, -1
	s_cbranch_vccz .LBB135_1404
; %bb.1401:
	v_cvt_f32_f16_e32 v0, v3
	v_mov_b32_e32 v5, 0xff
	s_mov_b32 s4, exec_lo
	s_delay_alu instid0(VALU_DEP_2) | instskip(NEXT) | instid1(VALU_DEP_1)
	v_bfe_u32 v6, v0, 23, 8
	v_cmpx_ne_u32_e32 0xff, v6
; %bb.1402:
	v_and_b32_e32 v5, 0x400000, v0
	v_and_or_b32 v6, 0x3fffff, v0, v6
	v_lshrrev_b32_e32 v0, 23, v0
	s_delay_alu instid0(VALU_DEP_3) | instskip(NEXT) | instid1(VALU_DEP_3)
	v_cmp_ne_u32_e32 vcc_lo, 0, v5
	v_cmp_ne_u32_e64 s2, 0, v6
	s_delay_alu instid0(VALU_DEP_1) | instskip(NEXT) | instid1(SALU_CYCLE_1)
	s_and_b32 s2, vcc_lo, s2
	v_cndmask_b32_e64 v5, 0, 1, s2
	s_delay_alu instid0(VALU_DEP_1)
	v_add_nc_u32_e32 v5, v0, v5
; %bb.1403:
	s_or_b32 exec_lo, exec_lo, s4
	s_mov_b32 s2, 0
	global_store_b8 v[1:2], v5, off
.LBB135_1404:
	s_mov_b32 s4, 0
.LBB135_1405:
	s_delay_alu instid0(SALU_CYCLE_1)
	s_and_b32 vcc_lo, exec_lo, s4
	s_cbranch_vccz .LBB135_1408
; %bb.1406:
	v_cmp_eq_u16_e32 vcc_lo, 29, v4
	s_mov_b32 s2, -1
	s_cbranch_vccz .LBB135_1408
; %bb.1407:
	v_cvt_f32_f16_e32 v0, v3
	v_mov_b32_e32 v6, 0
	s_mov_b32 s2, 0
	s_delay_alu instid0(VALU_DEP_2)
	v_cvt_u32_f32_e32 v5, v0
	global_store_b64 v[1:2], v[5:6], off
.LBB135_1408:
	s_mov_b32 s4, 0
.LBB135_1409:
	s_delay_alu instid0(SALU_CYCLE_1)
	s_and_b32 vcc_lo, exec_lo, s4
	s_cbranch_vccz .LBB135_1424
; %bb.1410:
	v_cmp_gt_i16_e32 vcc_lo, 27, v4
	s_mov_b32 s4, -1
	s_cbranch_vccnz .LBB135_1416
; %bb.1411:
	v_cmp_lt_i16_e32 vcc_lo, 27, v4
	s_cbranch_vccz .LBB135_1413
; %bb.1412:
	v_cvt_f32_f16_e32 v0, v3
	s_mov_b32 s4, 0
	s_delay_alu instid0(VALU_DEP_1)
	v_cvt_u32_f32_e32 v0, v0
	global_store_b32 v[1:2], v0, off
.LBB135_1413:
	s_and_not1_b32 vcc_lo, exec_lo, s4
	s_cbranch_vccnz .LBB135_1415
; %bb.1414:
	v_cvt_u16_f16_e32 v0, v3
	global_store_b16 v[1:2], v0, off
.LBB135_1415:
	s_mov_b32 s4, 0
.LBB135_1416:
	s_delay_alu instid0(SALU_CYCLE_1)
	s_and_not1_b32 vcc_lo, exec_lo, s4
	s_cbranch_vccnz .LBB135_1424
; %bb.1417:
	v_cvt_f32_f16_e32 v0, v3
	v_mov_b32_e32 v6, 0x80
	s_mov_b32 s4, exec_lo
	s_delay_alu instid0(VALU_DEP_2) | instskip(NEXT) | instid1(VALU_DEP_1)
	v_and_b32_e32 v5, 0x7fffffff, v0
	v_cmpx_gt_u32_e32 0x43800000, v5
	s_cbranch_execz .LBB135_1423
; %bb.1418:
	v_cmp_lt_u32_e32 vcc_lo, 0x3bffffff, v5
	s_mov_b32 s5, 0
                                        ; implicit-def: $vgpr5
	s_and_saveexec_b32 s7, vcc_lo
	s_delay_alu instid0(SALU_CYCLE_1)
	s_xor_b32 s7, exec_lo, s7
	s_cbranch_execz .LBB135_1704
; %bb.1419:
	v_bfe_u32 v5, v0, 20, 1
	s_mov_b32 s5, exec_lo
	s_delay_alu instid0(VALU_DEP_1) | instskip(NEXT) | instid1(VALU_DEP_1)
	v_add3_u32 v5, v0, v5, 0x487ffff
	v_lshrrev_b32_e32 v5, 20, v5
	s_or_saveexec_b32 s7, s7
                                        ; implicit-def: $sgpr8
	s_delay_alu instid0(SALU_CYCLE_1)
	s_xor_b32 exec_lo, exec_lo, s7
	s_cbranch_execnz .LBB135_1705
.LBB135_1420:
	s_or_b32 exec_lo, exec_lo, s7
	v_mov_b32_e32 v6, s8
	s_and_saveexec_b32 s7, s5
.LBB135_1421:
	v_lshrrev_b32_e32 v0, 24, v0
	s_delay_alu instid0(VALU_DEP_1)
	v_and_or_b32 v6, 0x80, v0, v5
.LBB135_1422:
	s_or_b32 exec_lo, exec_lo, s7
.LBB135_1423:
	s_delay_alu instid0(SALU_CYCLE_1)
	s_or_b32 exec_lo, exec_lo, s4
	global_store_b8 v[1:2], v6, off
.LBB135_1424:
	s_mov_b32 s4, 0
.LBB135_1425:
	s_delay_alu instid0(SALU_CYCLE_1)
	s_and_b32 vcc_lo, exec_lo, s4
	s_mov_b32 s4, 0
	s_cbranch_vccz .LBB135_1465
; %bb.1426:
	v_cmp_lt_i16_e32 vcc_lo, 22, v4
	s_mov_b32 s5, -1
	s_cbranch_vccz .LBB135_1458
; %bb.1427:
	v_cmp_gt_i16_e32 vcc_lo, 24, v4
	s_cbranch_vccnz .LBB135_1447
; %bb.1428:
	v_cmp_lt_i16_e32 vcc_lo, 24, v4
	s_cbranch_vccz .LBB135_1436
; %bb.1429:
	v_cvt_f32_f16_e32 v0, v3
	v_mov_b32_e32 v6, 0x80
	s_mov_b32 s5, exec_lo
	s_delay_alu instid0(VALU_DEP_2) | instskip(NEXT) | instid1(VALU_DEP_1)
	v_and_b32_e32 v5, 0x7fffffff, v0
	v_cmpx_gt_u32_e32 0x47800000, v5
	s_cbranch_execz .LBB135_1435
; %bb.1430:
	v_cmp_lt_u32_e32 vcc_lo, 0x37ffffff, v5
	s_mov_b32 s7, 0
                                        ; implicit-def: $vgpr5
	s_and_saveexec_b32 s8, vcc_lo
	s_delay_alu instid0(SALU_CYCLE_1)
	s_xor_b32 s8, exec_lo, s8
	s_cbranch_execz .LBB135_1895
; %bb.1431:
	v_bfe_u32 v5, v0, 21, 1
	s_mov_b32 s7, exec_lo
	s_delay_alu instid0(VALU_DEP_1) | instskip(NEXT) | instid1(VALU_DEP_1)
	v_add3_u32 v5, v0, v5, 0x88fffff
	v_lshrrev_b32_e32 v5, 21, v5
	s_or_saveexec_b32 s8, s8
                                        ; implicit-def: $sgpr9
	s_delay_alu instid0(SALU_CYCLE_1)
	s_xor_b32 exec_lo, exec_lo, s8
	s_cbranch_execnz .LBB135_1896
.LBB135_1432:
	s_or_b32 exec_lo, exec_lo, s8
	v_mov_b32_e32 v6, s9
	s_and_saveexec_b32 s8, s7
.LBB135_1433:
	v_lshrrev_b32_e32 v0, 24, v0
	s_delay_alu instid0(VALU_DEP_1)
	v_and_or_b32 v6, 0x80, v0, v5
.LBB135_1434:
	s_or_b32 exec_lo, exec_lo, s8
.LBB135_1435:
	s_delay_alu instid0(SALU_CYCLE_1)
	s_or_b32 exec_lo, exec_lo, s5
	s_mov_b32 s5, 0
	global_store_b8 v[1:2], v6, off
.LBB135_1436:
	s_and_b32 vcc_lo, exec_lo, s5
	s_cbranch_vccz .LBB135_1446
; %bb.1437:
	v_cvt_f32_f16_e32 v0, v3
	s_mov_b32 s5, exec_lo
                                        ; implicit-def: $vgpr5
	s_delay_alu instid0(VALU_DEP_1) | instskip(NEXT) | instid1(VALU_DEP_1)
	v_and_b32_e32 v6, 0x7fffffff, v0
	v_cmpx_gt_u32_e32 0x43f00000, v6
	s_xor_b32 s5, exec_lo, s5
	s_cbranch_execz .LBB135_1443
; %bb.1438:
	s_mov_b32 s7, exec_lo
                                        ; implicit-def: $vgpr5
	v_cmpx_lt_u32_e32 0x3c7fffff, v6
	s_xor_b32 s7, exec_lo, s7
; %bb.1439:
	v_bfe_u32 v5, v0, 20, 1
	s_delay_alu instid0(VALU_DEP_1) | instskip(NEXT) | instid1(VALU_DEP_1)
	v_add3_u32 v5, v0, v5, 0x407ffff
	v_and_b32_e32 v6, 0xff00000, v5
	v_lshrrev_b32_e32 v5, 20, v5
	s_delay_alu instid0(VALU_DEP_2) | instskip(NEXT) | instid1(VALU_DEP_2)
	v_cmp_ne_u32_e32 vcc_lo, 0x7f00000, v6
	v_cndmask_b32_e32 v5, 0x7e, v5, vcc_lo
; %bb.1440:
	s_and_not1_saveexec_b32 s7, s7
; %bb.1441:
	v_add_f32_e64 v5, 0x46800000, |v0|
; %bb.1442:
	s_or_b32 exec_lo, exec_lo, s7
                                        ; implicit-def: $vgpr6
.LBB135_1443:
	s_and_not1_saveexec_b32 s5, s5
; %bb.1444:
	v_mov_b32_e32 v5, 0x7f
	v_cmp_lt_u32_e32 vcc_lo, 0x7f800000, v6
	s_delay_alu instid0(VALU_DEP_2)
	v_cndmask_b32_e32 v5, 0x7e, v5, vcc_lo
; %bb.1445:
	s_or_b32 exec_lo, exec_lo, s5
	v_lshrrev_b32_e32 v0, 24, v0
	s_delay_alu instid0(VALU_DEP_1)
	v_and_or_b32 v0, 0x80, v0, v5
	global_store_b8 v[1:2], v0, off
.LBB135_1446:
	s_mov_b32 s5, 0
.LBB135_1447:
	s_delay_alu instid0(SALU_CYCLE_1)
	s_and_not1_b32 vcc_lo, exec_lo, s5
	s_cbranch_vccnz .LBB135_1457
; %bb.1448:
	v_cvt_f32_f16_e32 v0, v3
	s_mov_b32 s5, exec_lo
                                        ; implicit-def: $vgpr5
	s_delay_alu instid0(VALU_DEP_1) | instskip(NEXT) | instid1(VALU_DEP_1)
	v_and_b32_e32 v6, 0x7fffffff, v0
	v_cmpx_gt_u32_e32 0x47800000, v6
	s_xor_b32 s5, exec_lo, s5
	s_cbranch_execz .LBB135_1454
; %bb.1449:
	s_mov_b32 s7, exec_lo
                                        ; implicit-def: $vgpr5
	v_cmpx_lt_u32_e32 0x387fffff, v6
	s_xor_b32 s7, exec_lo, s7
; %bb.1450:
	v_bfe_u32 v5, v0, 21, 1
	s_delay_alu instid0(VALU_DEP_1) | instskip(NEXT) | instid1(VALU_DEP_1)
	v_add3_u32 v5, v0, v5, 0x80fffff
	v_lshrrev_b32_e32 v5, 21, v5
; %bb.1451:
	s_and_not1_saveexec_b32 s7, s7
; %bb.1452:
	v_add_f32_e64 v5, 0x43000000, |v0|
; %bb.1453:
	s_or_b32 exec_lo, exec_lo, s7
                                        ; implicit-def: $vgpr6
.LBB135_1454:
	s_and_not1_saveexec_b32 s5, s5
; %bb.1455:
	v_mov_b32_e32 v5, 0x7f
	v_cmp_lt_u32_e32 vcc_lo, 0x7f800000, v6
	s_delay_alu instid0(VALU_DEP_2)
	v_cndmask_b32_e32 v5, 0x7c, v5, vcc_lo
; %bb.1456:
	s_or_b32 exec_lo, exec_lo, s5
	v_lshrrev_b32_e32 v0, 24, v0
	s_delay_alu instid0(VALU_DEP_1)
	v_and_or_b32 v0, 0x80, v0, v5
	global_store_b8 v[1:2], v0, off
.LBB135_1457:
	s_mov_b32 s5, 0
.LBB135_1458:
	s_delay_alu instid0(SALU_CYCLE_1)
	s_and_not1_b32 vcc_lo, exec_lo, s5
	s_mov_b32 s8, 0
	s_cbranch_vccnz .LBB135_1466
; %bb.1459:
	v_cmp_lt_i16_e32 vcc_lo, 14, v4
	s_mov_b32 s5, -1
	s_cbranch_vccz .LBB135_1463
; %bb.1460:
	v_cmp_eq_u16_e32 vcc_lo, 15, v4
	s_mov_b32 s2, -1
	s_cbranch_vccz .LBB135_1462
; %bb.1461:
	v_cvt_f32_f16_e32 v0, v3
	v_cmp_o_f16_e32 vcc_lo, v3, v3
	s_mov_b32 s2, 0
	s_delay_alu instid0(VALU_DEP_2) | instskip(NEXT) | instid1(VALU_DEP_1)
	v_bfe_u32 v5, v0, 16, 1
	v_add3_u32 v0, v0, v5, 0x7fff
	s_delay_alu instid0(VALU_DEP_1) | instskip(NEXT) | instid1(VALU_DEP_1)
	v_lshrrev_b32_e32 v0, 16, v0
	v_cndmask_b32_e32 v0, 0x7fc0, v0, vcc_lo
	global_store_b16 v[1:2], v0, off
.LBB135_1462:
	s_mov_b32 s5, 0
.LBB135_1463:
	s_delay_alu instid0(SALU_CYCLE_1)
	s_and_b32 vcc_lo, exec_lo, s5
	s_cbranch_vccz .LBB135_1466
; %bb.1464:
	v_cmp_ne_u16_e32 vcc_lo, 11, v4
	s_and_not1_b32 s2, s2, exec_lo
	s_mov_b32 s8, -1
	s_and_b32 s5, vcc_lo, exec_lo
	s_delay_alu instid0(SALU_CYCLE_1)
	s_or_b32 s2, s2, s5
	s_branch .LBB135_1466
.LBB135_1465:
	s_mov_b32 s8, 0
.LBB135_1466:
	s_and_b32 s7, s4, exec_lo
	s_and_not1_b32 s4, s38, exec_lo
	s_and_b32 s5, s2, exec_lo
	s_and_b32 s2, s8, exec_lo
	s_or_b32 s38, s4, s5
.LBB135_1467:
	s_or_b32 exec_lo, exec_lo, s6
	s_and_saveexec_b32 s4, s38
	s_cbranch_execnz .LBB135_1569
; %bb.1468:
	s_or_b32 exec_lo, exec_lo, s4
	s_and_saveexec_b32 s4, s2
	s_delay_alu instid0(SALU_CYCLE_1)
	s_xor_b32 s2, exec_lo, s4
	s_cbranch_execz .LBB135_1470
.LBB135_1469:
	v_cmp_neq_f16_e32 vcc_lo, 0, v3
	v_cndmask_b32_e64 v0, 0, 1, vcc_lo
	global_store_b8 v[1:2], v0, off
.LBB135_1470:
	s_or_b32 exec_lo, exec_lo, s2
	s_and_saveexec_b32 s2, s7
	s_delay_alu instid0(SALU_CYCLE_1)
	s_xor_b32 s2, exec_lo, s2
	s_cbranch_execz .LBB135_1508
; %bb.1471:
	v_cmp_gt_i16_e32 vcc_lo, 5, v4
	s_mov_b32 s4, -1
	s_cbranch_vccnz .LBB135_1492
; %bb.1472:
	v_cmp_gt_i16_e32 vcc_lo, 8, v4
	s_cbranch_vccnz .LBB135_1482
; %bb.1473:
	v_cmp_gt_i16_e32 vcc_lo, 9, v4
	s_cbranch_vccnz .LBB135_1479
; %bb.1474:
	v_cmp_lt_i16_e32 vcc_lo, 9, v4
	s_cbranch_vccz .LBB135_1476
; %bb.1475:
	v_cvt_f32_f16_e32 v0, v3
	v_mov_b32_e32 v7, 0
	s_mov_b32 s4, 0
	s_waitcnt vmcnt(0)
	s_delay_alu instid0(VALU_DEP_2) | instskip(NEXT) | instid1(VALU_DEP_2)
	v_cvt_f64_f32_e32 v[5:6], v0
	v_mov_b32_e32 v8, v7
	global_store_b128 v[1:2], v[5:8], off
.LBB135_1476:
	s_and_not1_b32 vcc_lo, exec_lo, s4
	s_cbranch_vccnz .LBB135_1478
; %bb.1477:
	s_waitcnt vmcnt(0)
	v_cvt_f32_f16_e32 v5, v3
	v_mov_b32_e32 v6, 0
	global_store_b64 v[1:2], v[5:6], off
.LBB135_1478:
	s_mov_b32 s4, 0
.LBB135_1479:
	s_delay_alu instid0(SALU_CYCLE_1)
	s_and_not1_b32 vcc_lo, exec_lo, s4
	s_cbranch_vccnz .LBB135_1481
; %bb.1480:
	v_and_b32_e32 v0, 0xffff, v3
	global_store_b32 v[1:2], v0, off
.LBB135_1481:
	s_mov_b32 s4, 0
.LBB135_1482:
	s_delay_alu instid0(SALU_CYCLE_1)
	s_and_not1_b32 vcc_lo, exec_lo, s4
	s_cbranch_vccnz .LBB135_1491
; %bb.1483:
	v_cmp_gt_i16_e32 vcc_lo, 6, v4
	s_mov_b32 s4, -1
	s_cbranch_vccnz .LBB135_1489
; %bb.1484:
	v_cmp_lt_i16_e32 vcc_lo, 6, v4
	s_cbranch_vccz .LBB135_1486
; %bb.1485:
	v_cvt_f32_f16_e32 v0, v3
	s_mov_b32 s4, 0
	s_waitcnt vmcnt(0)
	s_delay_alu instid0(VALU_DEP_1)
	v_cvt_f64_f32_e32 v[5:6], v0
	global_store_b64 v[1:2], v[5:6], off
.LBB135_1486:
	s_and_not1_b32 vcc_lo, exec_lo, s4
	s_cbranch_vccnz .LBB135_1488
; %bb.1487:
	v_cvt_f32_f16_e32 v0, v3
	global_store_b32 v[1:2], v0, off
.LBB135_1488:
	s_mov_b32 s4, 0
.LBB135_1489:
	s_delay_alu instid0(SALU_CYCLE_1)
	s_and_not1_b32 vcc_lo, exec_lo, s4
	s_cbranch_vccnz .LBB135_1491
; %bb.1490:
	global_store_b16 v[1:2], v3, off
.LBB135_1491:
	s_mov_b32 s4, 0
.LBB135_1492:
	s_delay_alu instid0(SALU_CYCLE_1)
	s_and_not1_b32 vcc_lo, exec_lo, s4
	s_cbranch_vccnz .LBB135_1508
; %bb.1493:
	v_cmp_gt_i16_e32 vcc_lo, 2, v4
	s_mov_b32 s4, -1
	s_cbranch_vccnz .LBB135_1503
; %bb.1494:
	v_cmp_gt_i16_e32 vcc_lo, 3, v4
	s_cbranch_vccnz .LBB135_1500
; %bb.1495:
	v_cmp_lt_i16_e32 vcc_lo, 3, v4
	s_cbranch_vccz .LBB135_1497
; %bb.1496:
	v_cvt_f32_f16_e32 v0, v3
	s_mov_b32 s4, 0
	s_waitcnt vmcnt(0)
	s_delay_alu instid0(VALU_DEP_1) | instskip(NEXT) | instid1(VALU_DEP_1)
	v_cvt_i32_f32_e32 v5, v0
	v_ashrrev_i32_e32 v6, 31, v5
	global_store_b64 v[1:2], v[5:6], off
.LBB135_1497:
	s_and_not1_b32 vcc_lo, exec_lo, s4
	s_cbranch_vccnz .LBB135_1499
; %bb.1498:
	v_cvt_f32_f16_e32 v0, v3
	s_delay_alu instid0(VALU_DEP_1)
	v_cvt_i32_f32_e32 v0, v0
	global_store_b32 v[1:2], v0, off
.LBB135_1499:
	s_mov_b32 s4, 0
.LBB135_1500:
	s_delay_alu instid0(SALU_CYCLE_1)
	s_and_not1_b32 vcc_lo, exec_lo, s4
	s_cbranch_vccnz .LBB135_1502
; %bb.1501:
	v_cvt_i16_f16_e32 v0, v3
	global_store_b16 v[1:2], v0, off
.LBB135_1502:
	s_mov_b32 s4, 0
.LBB135_1503:
	s_delay_alu instid0(SALU_CYCLE_1)
	s_and_not1_b32 vcc_lo, exec_lo, s4
	s_cbranch_vccnz .LBB135_1508
; %bb.1504:
	v_cmp_lt_i16_e32 vcc_lo, 0, v4
	s_mov_b32 s4, -1
	s_cbranch_vccz .LBB135_1506
; %bb.1505:
	v_cvt_i16_f16_e32 v0, v3
	s_mov_b32 s4, 0
	global_store_b8 v[1:2], v0, off
.LBB135_1506:
	s_and_not1_b32 vcc_lo, exec_lo, s4
	s_cbranch_vccnz .LBB135_1508
; %bb.1507:
	v_cvt_f32_f16_e32 v0, v3
	s_delay_alu instid0(VALU_DEP_1)
	v_cvt_i32_f32_e32 v0, v0
	global_store_b8 v[1:2], v0, off
.LBB135_1508:
	s_or_b32 exec_lo, exec_lo, s2
	s_delay_alu instid0(SALU_CYCLE_1)
	s_and_b32 s8, s3, exec_lo
                                        ; implicit-def: $vgpr12
                                        ; implicit-def: $vgpr4
.LBB135_1509:
	s_or_saveexec_b32 s9, s30
	s_mov_b32 s2, 0
                                        ; implicit-def: $vgpr0_vgpr1
                                        ; implicit-def: $sgpr3
                                        ; implicit-def: $vgpr2
	s_xor_b32 exec_lo, exec_lo, s9
	s_cbranch_execz .LBB135_3066
; %bb.1510:
	v_cndmask_b32_e64 v0, 0, 1, s29
	s_and_not1_b32 vcc_lo, exec_lo, s29
	s_cbranch_vccnz .LBB135_1516
; %bb.1511:
	v_dual_mov_b32 v3, 0 :: v_dual_mov_b32 v10, 0
	v_mov_b32_e32 v11, 0
	s_cmp_lg_u32 s26, 0
	s_mov_b32 s4, 0
	s_cbranch_scc0 .LBB135_1517
; %bb.1512:
	s_min_u32 s5, s27, 15
	v_dual_mov_b32 v10, 0 :: v_dual_mov_b32 v11, 0
	s_add_i32 s2, s5, 1
	v_mov_b32_e32 v3, 0
	v_mov_b32_e32 v1, v4
	s_and_b32 s6, s2, 30
	s_add_u32 s2, s20, 0xffffffec
	s_addc_u32 s3, s21, -1
	s_set_inst_prefetch_distance 0x1
	.p2align	6
.LBB135_1513:                           ; =>This Inner Loop Header: Depth=1
	s_clause 0x2
	s_load_b128 s[12:15], s[2:3], 0x18
	s_load_b64 s[10:11], s[2:3], 0x28
	s_load_b128 s[16:19], s[2:3], 0xd8
	s_waitcnt lgkmcnt(0)
	v_mul_hi_u32 v2, s13, v1
	s_delay_alu instid0(VALU_DEP_1) | instskip(NEXT) | instid1(VALU_DEP_1)
	v_add_nc_u32_e32 v2, v1, v2
	v_lshrrev_b32_e32 v2, s14, v2
	s_waitcnt vmcnt(0)
	s_delay_alu instid0(VALU_DEP_1)
	v_mul_hi_u32 v5, s10, v2
	v_mul_lo_u32 v6, v2, s12
	s_load_b64 s[12:13], s[2:3], 0xe8
	s_add_u32 s2, s2, 24
	s_addc_u32 s3, s3, 0
	s_add_i32 s6, s6, -2
	s_delay_alu instid0(SALU_CYCLE_1) | instskip(NEXT) | instid1(VALU_DEP_2)
	s_cmp_lg_u32 s6, 0
	v_add_nc_u32_e32 v5, v2, v5
	s_delay_alu instid0(VALU_DEP_2) | instskip(NEXT) | instid1(VALU_DEP_2)
	v_sub_nc_u32_e32 v6, v1, v6
	v_lshrrev_b32_e32 v1, s11, v5
	s_delay_alu instid0(VALU_DEP_2) | instskip(NEXT) | instid1(VALU_DEP_2)
	v_mul_lo_u32 v7, v6, s16
	v_mul_lo_u32 v5, v1, s15
	s_delay_alu instid0(VALU_DEP_1) | instskip(SKIP_2) | instid1(VALU_DEP_3)
	v_sub_nc_u32_e32 v2, v2, v5
	v_mul_lo_u32 v5, v6, s17
	v_mul_lo_u32 v6, v6, s18
	;; [unrolled: 1-line block ×3, first 2 shown]
	s_waitcnt lgkmcnt(0)
	v_mul_lo_u32 v9, v2, s12
	v_mul_lo_u32 v2, v2, s13
	s_delay_alu instid0(VALU_DEP_3) | instskip(NEXT) | instid1(VALU_DEP_3)
	v_add3_u32 v3, v7, v3, v8
	v_add3_u32 v11, v5, v11, v9
	s_delay_alu instid0(VALU_DEP_3)
	v_add3_u32 v10, v6, v10, v2
	s_cbranch_scc1 .LBB135_1513
; %bb.1514:
	s_set_inst_prefetch_distance 0x2
	s_bitcmp1_b32 s5, 0
	s_cselect_b32 s5, -1, 0
	s_delay_alu instid0(SALU_CYCLE_1)
	s_and_b32 vcc_lo, exec_lo, s5
	s_cbranch_vccnz .LBB135_1517
; %bb.1515:
	s_clause 0x3
	s_load_b64 s[6:7], s[2:3], 0x18
	s_load_b32 s5, s[2:3], 0x20
	s_load_b64 s[10:11], s[2:3], 0xd8
	s_load_b32 s2, s[2:3], 0xe0
	s_waitcnt lgkmcnt(0)
	v_mul_hi_u32 v2, s7, v1
	s_delay_alu instid0(VALU_DEP_1) | instskip(NEXT) | instid1(VALU_DEP_1)
	v_add_nc_u32_e32 v2, v1, v2
	v_lshrrev_b32_e32 v2, s5, v2
	s_delay_alu instid0(VALU_DEP_1) | instskip(NEXT) | instid1(VALU_DEP_1)
	v_mul_lo_u32 v2, v2, s6
	v_sub_nc_u32_e32 v7, v1, v2
	s_delay_alu instid0(VALU_DEP_1) | instskip(SKIP_2) | instid1(VALU_DEP_3)
	v_mad_u64_u32 v[1:2], null, v7, s10, v[3:4]
	v_mad_u64_u32 v[2:3], null, v7, s11, v[11:12]
	;; [unrolled: 1-line block ×3, first 2 shown]
	v_mov_b32_e32 v3, v1
	s_delay_alu instid0(VALU_DEP_2)
	v_dual_mov_b32 v11, v2 :: v_dual_mov_b32 v10, v5
	s_branch .LBB135_1517
.LBB135_1516:
	s_mov_b32 s4, -1
                                        ; implicit-def: $vgpr3
                                        ; implicit-def: $vgpr11
                                        ; implicit-def: $vgpr10
.LBB135_1517:
	s_delay_alu instid0(SALU_CYCLE_1)
	s_and_not1_b32 vcc_lo, exec_lo, s4
	s_cbranch_vccnz .LBB135_1520
; %bb.1518:
	s_clause 0x1
	s_load_b128 s[4:7], s[20:21], 0x4
	s_load_b128 s[12:15], s[20:21], 0xc4
	s_cmp_lt_u32 s26, 2
	s_waitcnt lgkmcnt(0)
	v_mul_hi_u32 v1, s5, v4
	s_delay_alu instid0(VALU_DEP_1) | instskip(NEXT) | instid1(VALU_DEP_1)
	v_add_nc_u32_e32 v1, v4, v1
	v_lshrrev_b32_e32 v1, s6, v1
	s_delay_alu instid0(VALU_DEP_1) | instskip(NEXT) | instid1(VALU_DEP_1)
	v_mul_lo_u32 v2, v1, s4
	v_sub_nc_u32_e32 v2, v4, v2
	s_delay_alu instid0(VALU_DEP_1)
	v_mul_lo_u32 v3, v2, s12
	v_mul_lo_u32 v11, v2, s13
	;; [unrolled: 1-line block ×3, first 2 shown]
	s_cbranch_scc1 .LBB135_1520
; %bb.1519:
	s_clause 0x1
	s_load_b128 s[4:7], s[20:21], 0x10
	s_load_b128 s[12:15], s[20:21], 0xd0
	s_waitcnt lgkmcnt(0)
	v_mul_hi_u32 v2, s5, v1
	s_delay_alu instid0(VALU_DEP_1) | instskip(NEXT) | instid1(VALU_DEP_1)
	v_add_nc_u32_e32 v2, v1, v2
	v_lshrrev_b32_e32 v2, s6, v2
	s_delay_alu instid0(VALU_DEP_1) | instskip(NEXT) | instid1(VALU_DEP_1)
	v_mul_lo_u32 v2, v2, s4
	v_sub_nc_u32_e32 v7, v1, v2
	s_delay_alu instid0(VALU_DEP_1) | instskip(SKIP_3) | instid1(VALU_DEP_3)
	v_mad_u64_u32 v[1:2], null, v7, s12, v[3:4]
	v_mad_u64_u32 v[2:3], null, v7, s13, v[11:12]
	s_waitcnt vmcnt(0)
	v_mad_u64_u32 v[5:6], null, v7, s14, v[10:11]
	v_mov_b32_e32 v3, v1
	s_delay_alu instid0(VALU_DEP_2)
	v_dual_mov_b32 v11, v2 :: v_dual_mov_b32 v10, v5
.LBB135_1520:
	v_cmp_ne_u32_e32 vcc_lo, 1, v0
	v_add_nc_u32_e32 v1, 0x80, v4
	s_cbranch_vccnz .LBB135_1526
; %bb.1521:
	v_dual_mov_b32 v2, 0 :: v_dual_mov_b32 v9, 0
	v_mov_b32_e32 v8, 0
	s_cmp_lg_u32 s26, 0
	s_mov_b32 s4, 0
	s_cbranch_scc0 .LBB135_1527
; %bb.1522:
	s_min_u32 s5, s27, 15
	v_dual_mov_b32 v8, 0 :: v_dual_mov_b32 v9, 0
	s_add_i32 s2, s5, 1
	s_waitcnt vmcnt(0)
	v_dual_mov_b32 v2, 0 :: v_dual_mov_b32 v5, v1
	s_and_b32 s6, s2, 30
	s_add_u32 s2, s20, 0xffffffec
	s_addc_u32 s3, s21, -1
	s_set_inst_prefetch_distance 0x1
	.p2align	6
.LBB135_1523:                           ; =>This Inner Loop Header: Depth=1
	s_clause 0x2
	s_load_b128 s[12:15], s[2:3], 0x18
	s_load_b64 s[10:11], s[2:3], 0x28
	s_load_b128 s[16:19], s[2:3], 0xd8
	s_waitcnt lgkmcnt(0)
	v_mul_hi_u32 v6, s13, v5
	s_delay_alu instid0(VALU_DEP_1) | instskip(NEXT) | instid1(VALU_DEP_1)
	v_add_nc_u32_e32 v6, v5, v6
	v_lshrrev_b32_e32 v6, s14, v6
	s_delay_alu instid0(VALU_DEP_1)
	v_mul_hi_u32 v7, s10, v6
	v_mul_lo_u32 v13, v6, s12
	s_load_b64 s[12:13], s[2:3], 0xe8
	s_add_u32 s2, s2, 24
	s_addc_u32 s3, s3, 0
	s_add_i32 s6, s6, -2
	s_delay_alu instid0(SALU_CYCLE_1) | instskip(NEXT) | instid1(VALU_DEP_2)
	s_cmp_lg_u32 s6, 0
	v_add_nc_u32_e32 v7, v6, v7
	s_delay_alu instid0(VALU_DEP_2) | instskip(NEXT) | instid1(VALU_DEP_2)
	v_sub_nc_u32_e32 v13, v5, v13
	v_lshrrev_b32_e32 v5, s11, v7
	s_delay_alu instid0(VALU_DEP_2) | instskip(NEXT) | instid1(VALU_DEP_2)
	v_mul_lo_u32 v14, v13, s16
	v_mul_lo_u32 v7, v5, s15
	s_delay_alu instid0(VALU_DEP_1) | instskip(SKIP_2) | instid1(VALU_DEP_3)
	v_sub_nc_u32_e32 v6, v6, v7
	v_mul_lo_u32 v7, v13, s17
	v_mul_lo_u32 v13, v13, s18
	;; [unrolled: 1-line block ×3, first 2 shown]
	s_waitcnt lgkmcnt(0)
	v_mul_lo_u32 v16, v6, s12
	v_mul_lo_u32 v6, v6, s13
	s_delay_alu instid0(VALU_DEP_3) | instskip(NEXT) | instid1(VALU_DEP_3)
	v_add3_u32 v2, v14, v2, v15
	v_add3_u32 v9, v7, v9, v16
	s_delay_alu instid0(VALU_DEP_3)
	v_add3_u32 v8, v13, v8, v6
	s_cbranch_scc1 .LBB135_1523
; %bb.1524:
	s_set_inst_prefetch_distance 0x2
	s_bitcmp1_b32 s5, 0
	s_cselect_b32 s5, -1, 0
	s_delay_alu instid0(SALU_CYCLE_1)
	s_and_b32 vcc_lo, exec_lo, s5
	s_cbranch_vccnz .LBB135_1527
; %bb.1525:
	s_clause 0x3
	s_load_b64 s[6:7], s[2:3], 0x18
	s_load_b32 s5, s[2:3], 0x20
	s_load_b64 s[10:11], s[2:3], 0xd8
	s_load_b32 s2, s[2:3], 0xe0
	s_waitcnt lgkmcnt(0)
	v_mul_hi_u32 v6, s7, v5
	s_delay_alu instid0(VALU_DEP_1) | instskip(NEXT) | instid1(VALU_DEP_1)
	v_add_nc_u32_e32 v6, v5, v6
	v_lshrrev_b32_e32 v6, s5, v6
	s_delay_alu instid0(VALU_DEP_1) | instskip(NEXT) | instid1(VALU_DEP_1)
	v_mul_lo_u32 v6, v6, s6
	v_sub_nc_u32_e32 v15, v5, v6
	s_delay_alu instid0(VALU_DEP_1) | instskip(SKIP_2) | instid1(VALU_DEP_2)
	v_mad_u64_u32 v[5:6], null, v15, s10, v[2:3]
	v_mad_u64_u32 v[6:7], null, v15, s11, v[9:10]
	;; [unrolled: 1-line block ×3, first 2 shown]
	v_dual_mov_b32 v2, v5 :: v_dual_mov_b32 v9, v6
	s_delay_alu instid0(VALU_DEP_2)
	v_mov_b32_e32 v8, v13
	s_branch .LBB135_1527
.LBB135_1526:
	s_mov_b32 s4, -1
                                        ; implicit-def: $vgpr2
                                        ; implicit-def: $vgpr9
                                        ; implicit-def: $vgpr8
.LBB135_1527:
	s_delay_alu instid0(SALU_CYCLE_1)
	s_and_not1_b32 vcc_lo, exec_lo, s4
	s_cbranch_vccnz .LBB135_1530
; %bb.1528:
	s_clause 0x1
	s_load_b128 s[4:7], s[20:21], 0x4
	s_load_b128 s[12:15], s[20:21], 0xc4
	s_cmp_lt_u32 s26, 2
	s_waitcnt lgkmcnt(0)
	v_mul_hi_u32 v2, s5, v1
	s_delay_alu instid0(VALU_DEP_1) | instskip(SKIP_1) | instid1(VALU_DEP_1)
	v_add_nc_u32_e32 v2, v1, v2
	s_waitcnt vmcnt(0)
	v_lshrrev_b32_e32 v5, s6, v2
	s_delay_alu instid0(VALU_DEP_1) | instskip(NEXT) | instid1(VALU_DEP_1)
	v_mul_lo_u32 v2, v5, s4
	v_sub_nc_u32_e32 v1, v1, v2
	s_delay_alu instid0(VALU_DEP_1)
	v_mul_lo_u32 v2, v1, s12
	v_mul_lo_u32 v9, v1, s13
	;; [unrolled: 1-line block ×3, first 2 shown]
	s_cbranch_scc1 .LBB135_1530
; %bb.1529:
	s_clause 0x1
	s_load_b128 s[4:7], s[20:21], 0x10
	s_load_b128 s[12:15], s[20:21], 0xd0
	s_waitcnt lgkmcnt(0)
	v_mul_hi_u32 v1, s5, v5
	s_delay_alu instid0(VALU_DEP_1) | instskip(NEXT) | instid1(VALU_DEP_1)
	v_add_nc_u32_e32 v1, v5, v1
	v_lshrrev_b32_e32 v1, s6, v1
	s_delay_alu instid0(VALU_DEP_1) | instskip(NEXT) | instid1(VALU_DEP_1)
	v_mul_lo_u32 v1, v1, s4
	v_sub_nc_u32_e32 v13, v5, v1
	s_delay_alu instid0(VALU_DEP_1) | instskip(SKIP_2) | instid1(VALU_DEP_3)
	v_mad_u64_u32 v[5:6], null, v13, s12, v[2:3]
	v_mad_u64_u32 v[1:2], null, v13, s13, v[9:10]
	;; [unrolled: 1-line block ×3, first 2 shown]
	v_mov_b32_e32 v2, v5
	s_delay_alu instid0(VALU_DEP_2)
	v_dual_mov_b32 v9, v1 :: v_dual_mov_b32 v8, v6
.LBB135_1530:
	v_cmp_ne_u32_e32 vcc_lo, 1, v0
	v_add_nc_u32_e32 v4, 0x100, v4
	s_cbranch_vccnz .LBB135_1536
; %bb.1531:
	v_dual_mov_b32 v1, 0 :: v_dual_mov_b32 v6, 0
	v_mov_b32_e32 v7, 0
	s_cmp_lg_u32 s26, 0
	s_mov_b32 s4, 0
	s_cbranch_scc0 .LBB135_1537
; %bb.1532:
	s_min_u32 s5, s27, 15
	v_dual_mov_b32 v6, 0 :: v_dual_mov_b32 v7, 0
	s_add_i32 s2, s5, 1
	v_mov_b32_e32 v1, 0
	s_waitcnt vmcnt(0)
	v_mov_b32_e32 v5, v4
	s_and_b32 s6, s2, 30
	s_add_u32 s2, s20, 0xffffffec
	s_addc_u32 s3, s21, -1
	s_set_inst_prefetch_distance 0x1
	.p2align	6
.LBB135_1533:                           ; =>This Inner Loop Header: Depth=1
	s_clause 0x2
	s_load_b128 s[12:15], s[2:3], 0x18
	s_load_b64 s[10:11], s[2:3], 0x28
	s_load_b128 s[16:19], s[2:3], 0xd8
	s_waitcnt lgkmcnt(0)
	v_mul_hi_u32 v13, s13, v5
	s_delay_alu instid0(VALU_DEP_1) | instskip(NEXT) | instid1(VALU_DEP_1)
	v_add_nc_u32_e32 v13, v5, v13
	v_lshrrev_b32_e32 v13, s14, v13
	s_delay_alu instid0(VALU_DEP_1)
	v_mul_hi_u32 v14, s10, v13
	v_mul_lo_u32 v15, v13, s12
	s_load_b64 s[12:13], s[2:3], 0xe8
	s_add_u32 s2, s2, 24
	s_addc_u32 s3, s3, 0
	s_add_i32 s6, s6, -2
	s_delay_alu instid0(SALU_CYCLE_1) | instskip(NEXT) | instid1(VALU_DEP_2)
	s_cmp_lg_u32 s6, 0
	v_add_nc_u32_e32 v14, v13, v14
	s_delay_alu instid0(VALU_DEP_2) | instskip(NEXT) | instid1(VALU_DEP_2)
	v_sub_nc_u32_e32 v15, v5, v15
	v_lshrrev_b32_e32 v5, s11, v14
	s_delay_alu instid0(VALU_DEP_2) | instskip(NEXT) | instid1(VALU_DEP_2)
	v_mul_lo_u32 v16, v15, s16
	v_mul_lo_u32 v14, v5, s15
	s_delay_alu instid0(VALU_DEP_1) | instskip(SKIP_2) | instid1(VALU_DEP_3)
	v_sub_nc_u32_e32 v13, v13, v14
	v_mul_lo_u32 v14, v15, s17
	v_mul_lo_u32 v15, v15, s18
	v_mul_lo_u32 v17, v13, s19
	s_waitcnt lgkmcnt(0)
	v_mul_lo_u32 v18, v13, s12
	v_mul_lo_u32 v13, v13, s13
	s_delay_alu instid0(VALU_DEP_3) | instskip(NEXT) | instid1(VALU_DEP_3)
	v_add3_u32 v1, v16, v1, v17
	v_add3_u32 v7, v14, v7, v18
	s_delay_alu instid0(VALU_DEP_3)
	v_add3_u32 v6, v15, v6, v13
	s_cbranch_scc1 .LBB135_1533
; %bb.1534:
	s_set_inst_prefetch_distance 0x2
	s_bitcmp1_b32 s5, 0
	s_cselect_b32 s5, -1, 0
	s_delay_alu instid0(SALU_CYCLE_1)
	s_and_b32 vcc_lo, exec_lo, s5
	s_cbranch_vccnz .LBB135_1537
; %bb.1535:
	s_clause 0x3
	s_load_b64 s[6:7], s[2:3], 0x18
	s_load_b32 s5, s[2:3], 0x20
	s_load_b64 s[10:11], s[2:3], 0xd8
	s_load_b32 s2, s[2:3], 0xe0
	s_waitcnt lgkmcnt(0)
	v_mul_hi_u32 v13, s7, v5
	s_delay_alu instid0(VALU_DEP_1) | instskip(NEXT) | instid1(VALU_DEP_1)
	v_add_nc_u32_e32 v13, v5, v13
	v_lshrrev_b32_e32 v13, s5, v13
	s_delay_alu instid0(VALU_DEP_1) | instskip(NEXT) | instid1(VALU_DEP_1)
	v_mul_lo_u32 v13, v13, s6
	v_sub_nc_u32_e32 v5, v5, v13
	s_delay_alu instid0(VALU_DEP_1) | instskip(SKIP_2) | instid1(VALU_DEP_3)
	v_mad_u64_u32 v[13:14], null, v5, s10, v[1:2]
	v_mad_u64_u32 v[14:15], null, v5, s11, v[7:8]
	;; [unrolled: 1-line block ×3, first 2 shown]
	v_mov_b32_e32 v1, v13
	s_delay_alu instid0(VALU_DEP_2)
	v_dual_mov_b32 v7, v14 :: v_dual_mov_b32 v6, v15
	s_branch .LBB135_1537
.LBB135_1536:
	s_mov_b32 s4, -1
                                        ; implicit-def: $vgpr1
                                        ; implicit-def: $vgpr7
                                        ; implicit-def: $vgpr6
.LBB135_1537:
	s_delay_alu instid0(SALU_CYCLE_1)
	s_and_not1_b32 vcc_lo, exec_lo, s4
	s_cbranch_vccnz .LBB135_1540
; %bb.1538:
	s_clause 0x1
	s_load_b128 s[4:7], s[20:21], 0x4
	s_load_b128 s[12:15], s[20:21], 0xc4
	s_cmp_lt_u32 s26, 2
	s_waitcnt lgkmcnt(0)
	v_mul_hi_u32 v1, s5, v4
	s_delay_alu instid0(VALU_DEP_1) | instskip(SKIP_1) | instid1(VALU_DEP_1)
	v_add_nc_u32_e32 v1, v4, v1
	s_waitcnt vmcnt(0)
	v_lshrrev_b32_e32 v5, s6, v1
	s_delay_alu instid0(VALU_DEP_1) | instskip(NEXT) | instid1(VALU_DEP_1)
	v_mul_lo_u32 v1, v5, s4
	v_sub_nc_u32_e32 v4, v4, v1
	s_delay_alu instid0(VALU_DEP_1)
	v_mul_lo_u32 v1, v4, s12
	v_mul_lo_u32 v7, v4, s13
	;; [unrolled: 1-line block ×3, first 2 shown]
	s_cbranch_scc1 .LBB135_1540
; %bb.1539:
	s_clause 0x1
	s_load_b128 s[4:7], s[20:21], 0x10
	s_load_b128 s[12:15], s[20:21], 0xd0
	s_waitcnt lgkmcnt(0)
	v_mul_hi_u32 v4, s5, v5
	s_delay_alu instid0(VALU_DEP_1) | instskip(NEXT) | instid1(VALU_DEP_1)
	v_add_nc_u32_e32 v4, v5, v4
	v_lshrrev_b32_e32 v4, s6, v4
	s_delay_alu instid0(VALU_DEP_1) | instskip(NEXT) | instid1(VALU_DEP_1)
	v_mul_lo_u32 v4, v4, s4
	v_sub_nc_u32_e32 v16, v5, v4
	s_delay_alu instid0(VALU_DEP_1) | instskip(SKIP_2) | instid1(VALU_DEP_3)
	v_mad_u64_u32 v[13:14], null, v16, s13, v[7:8]
	v_mad_u64_u32 v[4:5], null, v16, s12, v[1:2]
	;; [unrolled: 1-line block ×3, first 2 shown]
	v_mov_b32_e32 v7, v13
	s_delay_alu instid0(VALU_DEP_2)
	v_dual_mov_b32 v1, v4 :: v_dual_mov_b32 v6, v14
.LBB135_1540:
	v_cmp_ne_u32_e32 vcc_lo, 1, v0
	s_cbranch_vccnz .LBB135_1546
; %bb.1541:
	s_waitcnt vmcnt(0)
	v_dual_mov_b32 v0, 0 :: v_dual_mov_b32 v5, 0
	v_mov_b32_e32 v4, 0
	s_cmp_lg_u32 s26, 0
	s_mov_b32 s4, 0
	s_cbranch_scc0 .LBB135_1547
; %bb.1542:
	s_min_u32 s5, s27, 15
	v_dual_mov_b32 v4, 0 :: v_dual_mov_b32 v5, 0
	s_add_i32 s2, s5, 1
	v_dual_mov_b32 v0, 0 :: v_dual_mov_b32 v13, v12
	s_and_b32 s6, s2, 30
	s_add_u32 s2, s20, 0xffffffec
	s_addc_u32 s3, s21, -1
	s_set_inst_prefetch_distance 0x1
	.p2align	6
.LBB135_1543:                           ; =>This Inner Loop Header: Depth=1
	s_clause 0x2
	s_load_b128 s[12:15], s[2:3], 0x18
	s_load_b64 s[10:11], s[2:3], 0x28
	s_load_b128 s[16:19], s[2:3], 0xd8
	s_waitcnt lgkmcnt(0)
	v_mul_hi_u32 v14, s13, v13
	s_delay_alu instid0(VALU_DEP_1) | instskip(NEXT) | instid1(VALU_DEP_1)
	v_add_nc_u32_e32 v14, v13, v14
	v_lshrrev_b32_e32 v14, s14, v14
	s_delay_alu instid0(VALU_DEP_1)
	v_mul_hi_u32 v15, s10, v14
	v_mul_lo_u32 v16, v14, s12
	s_load_b64 s[12:13], s[2:3], 0xe8
	s_add_u32 s2, s2, 24
	s_addc_u32 s3, s3, 0
	s_add_i32 s6, s6, -2
	s_delay_alu instid0(SALU_CYCLE_1) | instskip(NEXT) | instid1(VALU_DEP_2)
	s_cmp_lg_u32 s6, 0
	v_add_nc_u32_e32 v15, v14, v15
	s_delay_alu instid0(VALU_DEP_2) | instskip(NEXT) | instid1(VALU_DEP_2)
	v_sub_nc_u32_e32 v16, v13, v16
	v_lshrrev_b32_e32 v13, s11, v15
	s_delay_alu instid0(VALU_DEP_2) | instskip(NEXT) | instid1(VALU_DEP_2)
	v_mul_lo_u32 v17, v16, s16
	v_mul_lo_u32 v15, v13, s15
	s_delay_alu instid0(VALU_DEP_1) | instskip(SKIP_2) | instid1(VALU_DEP_3)
	v_sub_nc_u32_e32 v14, v14, v15
	v_mul_lo_u32 v15, v16, s17
	v_mul_lo_u32 v16, v16, s18
	;; [unrolled: 1-line block ×3, first 2 shown]
	s_waitcnt lgkmcnt(0)
	v_mul_lo_u32 v19, v14, s12
	v_mul_lo_u32 v14, v14, s13
	s_delay_alu instid0(VALU_DEP_3) | instskip(NEXT) | instid1(VALU_DEP_3)
	v_add3_u32 v0, v17, v0, v18
	v_add3_u32 v5, v15, v5, v19
	s_delay_alu instid0(VALU_DEP_3)
	v_add3_u32 v4, v16, v4, v14
	s_cbranch_scc1 .LBB135_1543
; %bb.1544:
	s_set_inst_prefetch_distance 0x2
	s_bitcmp1_b32 s5, 0
	s_cselect_b32 s5, -1, 0
	s_delay_alu instid0(SALU_CYCLE_1)
	s_and_b32 vcc_lo, exec_lo, s5
	s_cbranch_vccnz .LBB135_1547
; %bb.1545:
	s_clause 0x3
	s_load_b64 s[6:7], s[2:3], 0x18
	s_load_b32 s5, s[2:3], 0x20
	s_load_b64 s[10:11], s[2:3], 0xd8
	s_load_b32 s2, s[2:3], 0xe0
	s_waitcnt lgkmcnt(0)
	v_mul_hi_u32 v14, s7, v13
	s_delay_alu instid0(VALU_DEP_1) | instskip(NEXT) | instid1(VALU_DEP_1)
	v_add_nc_u32_e32 v14, v13, v14
	v_lshrrev_b32_e32 v14, s5, v14
	s_delay_alu instid0(VALU_DEP_1) | instskip(NEXT) | instid1(VALU_DEP_1)
	v_mul_lo_u32 v14, v14, s6
	v_sub_nc_u32_e32 v17, v13, v14
	s_delay_alu instid0(VALU_DEP_1) | instskip(SKIP_2) | instid1(VALU_DEP_2)
	v_mad_u64_u32 v[13:14], null, v17, s10, v[0:1]
	v_mad_u64_u32 v[14:15], null, v17, s11, v[5:6]
	;; [unrolled: 1-line block ×3, first 2 shown]
	v_dual_mov_b32 v0, v13 :: v_dual_mov_b32 v5, v14
	s_delay_alu instid0(VALU_DEP_2)
	v_mov_b32_e32 v4, v15
	s_branch .LBB135_1547
.LBB135_1546:
	s_mov_b32 s4, -1
                                        ; implicit-def: $vgpr0
                                        ; implicit-def: $vgpr5
                                        ; implicit-def: $vgpr4
.LBB135_1547:
	s_delay_alu instid0(SALU_CYCLE_1)
	s_and_not1_b32 vcc_lo, exec_lo, s4
	s_cbranch_vccnz .LBB135_1550
; %bb.1548:
	s_clause 0x1
	s_load_b128 s[4:7], s[20:21], 0x4
	s_load_b128 s[12:15], s[20:21], 0xc4
	s_cmp_lt_u32 s26, 2
	s_waitcnt lgkmcnt(0)
	v_mul_hi_u32 v0, s5, v12
	s_delay_alu instid0(VALU_DEP_1) | instskip(NEXT) | instid1(VALU_DEP_1)
	v_add_nc_u32_e32 v0, v12, v0
	v_lshrrev_b32_e32 v13, s6, v0
	s_delay_alu instid0(VALU_DEP_1) | instskip(NEXT) | instid1(VALU_DEP_1)
	v_mul_lo_u32 v0, v13, s4
	v_sub_nc_u32_e32 v4, v12, v0
	s_delay_alu instid0(VALU_DEP_1)
	v_mul_lo_u32 v0, v4, s12
	s_waitcnt vmcnt(0)
	v_mul_lo_u32 v5, v4, s13
	v_mul_lo_u32 v4, v4, s14
	s_cbranch_scc1 .LBB135_1550
; %bb.1549:
	s_clause 0x1
	s_load_b128 s[4:7], s[20:21], 0x10
	s_load_b128 s[12:15], s[20:21], 0xd0
	s_waitcnt lgkmcnt(0)
	v_mul_hi_u32 v12, s5, v13
	s_delay_alu instid0(VALU_DEP_1) | instskip(NEXT) | instid1(VALU_DEP_1)
	v_add_nc_u32_e32 v12, v13, v12
	v_lshrrev_b32_e32 v12, s6, v12
	s_delay_alu instid0(VALU_DEP_1) | instskip(NEXT) | instid1(VALU_DEP_1)
	v_mul_lo_u32 v12, v12, s4
	v_sub_nc_u32_e32 v16, v13, v12
	s_delay_alu instid0(VALU_DEP_1) | instskip(SKIP_2) | instid1(VALU_DEP_2)
	v_mad_u64_u32 v[12:13], null, v16, s12, v[0:1]
	v_mad_u64_u32 v[13:14], null, v16, s13, v[5:6]
	;; [unrolled: 1-line block ×3, first 2 shown]
	v_dual_mov_b32 v0, v12 :: v_dual_mov_b32 v5, v13
	s_delay_alu instid0(VALU_DEP_2)
	v_mov_b32_e32 v4, v14
.LBB135_1550:
	s_clause 0x1
	s_load_b32 s0, s[0:1], 0x1ac
	s_load_b128 s[4:7], s[20:21], 0x188
	s_mov_b32 s3, 0
	s_waitcnt lgkmcnt(0)
	s_lshr_b32 s1, s0, 8
	s_delay_alu instid0(SALU_CYCLE_1) | instskip(SKIP_1) | instid1(VALU_DEP_1)
	v_and_b32_e64 v14, 0xff, s1
	v_add_co_u32 v11, s1, s6, v11
	v_add_co_ci_u32_e64 v12, null, s7, 0, s1
	s_delay_alu instid0(VALU_DEP_3)
	v_cmp_gt_i16_e32 vcc_lo, 11, v14
	s_cbranch_vccnz .LBB135_1557
; %bb.1551:
	v_cmp_lt_i16_e32 vcc_lo, 25, v14
	s_mov_b32 s2, 0
	s_cbranch_vccz .LBB135_1563
; %bb.1552:
	v_cmp_lt_i16_e32 vcc_lo, 28, v14
	s_cbranch_vccz .LBB135_1565
; %bb.1553:
	v_cmp_lt_i16_e32 vcc_lo, 43, v14
	;; [unrolled: 3-line block ×3, first 2 shown]
	s_cbranch_vccz .LBB135_1571
; %bb.1555:
	v_cmp_eq_u16_e32 vcc_lo, 46, v14
	s_mov_b32 s10, 0
	s_cbranch_vccz .LBB135_1616
; %bb.1556:
	global_load_b32 v13, v[11:12], off
	s_mov_b32 s1, 0
	s_mov_b32 s3, -1
	s_waitcnt vmcnt(0)
	v_lshlrev_b32_e32 v13, 16, v13
	s_delay_alu instid0(VALU_DEP_1)
	v_cvt_f16_f32_e32 v13, v13
	s_branch .LBB135_1618
.LBB135_1557:
	s_mov_b32 s1, s8
                                        ; implicit-def: $vgpr13
	s_cbranch_execz .LBB135_1681
; %bb.1558:
	v_cmp_gt_i16_e32 vcc_lo, 5, v14
	s_cbranch_vccnz .LBB135_1564
; %bb.1559:
	v_cmp_gt_i16_e32 vcc_lo, 8, v14
	s_cbranch_vccnz .LBB135_1566
	;; [unrolled: 3-line block ×3, first 2 shown]
; %bb.1561:
	v_cmp_lt_i16_e32 vcc_lo, 9, v14
	s_cbranch_vccz .LBB135_1572
; %bb.1562:
	global_load_b64 v[15:16], v[11:12], off
	s_mov_b32 s2, 0
	s_waitcnt vmcnt(0)
	v_cvt_f32_f64_e32 v13, v[15:16]
	s_delay_alu instid0(VALU_DEP_1)
	v_cvt_f16_f32_e32 v13, v13
	s_branch .LBB135_1573
.LBB135_1563:
	s_mov_b32 s1, 0
                                        ; implicit-def: $vgpr13
	s_cbranch_execnz .LBB135_1646
	s_branch .LBB135_1677
.LBB135_1564:
                                        ; implicit-def: $vgpr13
	s_branch .LBB135_1590
.LBB135_1565:
	s_mov_b32 s10, -1
	s_mov_b32 s1, 0
                                        ; implicit-def: $vgpr13
	s_branch .LBB135_1627
.LBB135_1566:
                                        ; implicit-def: $vgpr13
	s_branch .LBB135_1579
.LBB135_1567:
	s_mov_b32 s1, 0
                                        ; implicit-def: $vgpr13
	s_cbranch_execnz .LBB135_1623
	s_branch .LBB135_1626
.LBB135_1568:
	s_mov_b32 s2, -1
                                        ; implicit-def: $vgpr13
	s_branch .LBB135_1576
.LBB135_1569:
	s_cbranch_execnz .LBB135_1613
; %bb.1570:
	s_or_b32 s3, s3, exec_lo
	s_and_not1_b32 s2, s2, exec_lo
	s_or_b32 exec_lo, exec_lo, s4
	s_and_saveexec_b32 s4, s2
	s_delay_alu instid0(SALU_CYCLE_1)
	s_xor_b32 s2, exec_lo, s4
	s_cbranch_execnz .LBB135_1469
	s_branch .LBB135_1470
.LBB135_1571:
	s_mov_b32 s10, -1
	s_mov_b32 s1, 0
	s_branch .LBB135_1617
.LBB135_1572:
	s_mov_b32 s2, -1
                                        ; implicit-def: $vgpr13
.LBB135_1573:
	s_delay_alu instid0(SALU_CYCLE_1)
	s_and_not1_b32 vcc_lo, exec_lo, s2
	s_cbranch_vccnz .LBB135_1575
; %bb.1574:
	global_load_b32 v13, v[11:12], off
	s_waitcnt vmcnt(0)
	v_cvt_f16_f32_e32 v13, v13
.LBB135_1575:
	s_mov_b32 s2, 0
.LBB135_1576:
	s_delay_alu instid0(SALU_CYCLE_1)
	s_and_not1_b32 vcc_lo, exec_lo, s2
	s_cbranch_vccnz .LBB135_1578
; %bb.1577:
	global_load_b32 v13, v[11:12], off
.LBB135_1578:
	s_cbranch_execnz .LBB135_1589
.LBB135_1579:
	v_cmp_gt_i16_e32 vcc_lo, 6, v14
	s_cbranch_vccnz .LBB135_1582
; %bb.1580:
	v_cmp_lt_i16_e32 vcc_lo, 6, v14
	s_cbranch_vccz .LBB135_1583
; %bb.1581:
	global_load_b64 v[15:16], v[11:12], off
	s_mov_b32 s2, 0
	s_waitcnt vmcnt(0)
	v_cvt_f32_f64_e32 v13, v[15:16]
	s_delay_alu instid0(VALU_DEP_1)
	v_cvt_f16_f32_e32 v13, v13
	s_branch .LBB135_1584
.LBB135_1582:
	s_mov_b32 s2, -1
                                        ; implicit-def: $vgpr13
	s_branch .LBB135_1587
.LBB135_1583:
	s_mov_b32 s2, -1
                                        ; implicit-def: $vgpr13
.LBB135_1584:
	s_delay_alu instid0(SALU_CYCLE_1)
	s_and_not1_b32 vcc_lo, exec_lo, s2
	s_cbranch_vccnz .LBB135_1586
; %bb.1585:
	global_load_b32 v13, v[11:12], off
	s_waitcnt vmcnt(0)
	v_cvt_f16_f32_e32 v13, v13
.LBB135_1586:
	s_mov_b32 s2, 0
.LBB135_1587:
	s_delay_alu instid0(SALU_CYCLE_1)
	s_and_not1_b32 vcc_lo, exec_lo, s2
	s_cbranch_vccnz .LBB135_1589
; %bb.1588:
	global_load_u16 v13, v[11:12], off
.LBB135_1589:
	s_cbranch_execnz .LBB135_1608
.LBB135_1590:
	v_cmp_gt_i16_e32 vcc_lo, 2, v14
	s_cbranch_vccnz .LBB135_1594
; %bb.1591:
	v_cmp_gt_i16_e32 vcc_lo, 3, v14
	s_cbranch_vccnz .LBB135_1595
; %bb.1592:
	v_cmp_lt_i16_e32 vcc_lo, 3, v14
	s_cbranch_vccz .LBB135_1596
; %bb.1593:
	global_load_b64 v[15:16], v[11:12], off
	s_mov_b32 s2, 0
	s_waitcnt vmcnt(0)
	v_xor_b32_e32 v13, v15, v16
	v_cls_i32_e32 v17, v16
	s_delay_alu instid0(VALU_DEP_2) | instskip(NEXT) | instid1(VALU_DEP_2)
	v_ashrrev_i32_e32 v13, 31, v13
	v_add_nc_u32_e32 v17, -1, v17
	s_delay_alu instid0(VALU_DEP_2) | instskip(NEXT) | instid1(VALU_DEP_1)
	v_add_nc_u32_e32 v13, 32, v13
	v_min_u32_e32 v13, v17, v13
	s_delay_alu instid0(VALU_DEP_1) | instskip(SKIP_1) | instid1(VALU_DEP_2)
	v_lshlrev_b64 v[15:16], v13, v[15:16]
	v_sub_nc_u32_e32 v13, 32, v13
	v_min_u32_e32 v15, 1, v15
	s_delay_alu instid0(VALU_DEP_1) | instskip(NEXT) | instid1(VALU_DEP_1)
	v_or_b32_e32 v15, v16, v15
	v_cvt_f32_i32_e32 v15, v15
	s_delay_alu instid0(VALU_DEP_1) | instskip(NEXT) | instid1(VALU_DEP_1)
	v_ldexp_f32 v13, v15, v13
	v_cvt_f16_f32_e32 v13, v13
	s_branch .LBB135_1597
.LBB135_1594:
                                        ; implicit-def: $vgpr13
	s_branch .LBB135_1603
.LBB135_1595:
	s_mov_b32 s2, -1
                                        ; implicit-def: $vgpr13
	s_branch .LBB135_1600
.LBB135_1596:
	s_mov_b32 s2, -1
                                        ; implicit-def: $vgpr13
.LBB135_1597:
	s_delay_alu instid0(SALU_CYCLE_1)
	s_and_not1_b32 vcc_lo, exec_lo, s2
	s_cbranch_vccnz .LBB135_1599
; %bb.1598:
	global_load_b32 v13, v[11:12], off
	s_waitcnt vmcnt(0)
	v_cvt_f32_i32_e32 v13, v13
	s_delay_alu instid0(VALU_DEP_1)
	v_cvt_f16_f32_e32 v13, v13
.LBB135_1599:
	s_mov_b32 s2, 0
.LBB135_1600:
	s_delay_alu instid0(SALU_CYCLE_1)
	s_and_not1_b32 vcc_lo, exec_lo, s2
	s_cbranch_vccnz .LBB135_1602
; %bb.1601:
	global_load_u16 v13, v[11:12], off
	s_waitcnt vmcnt(0)
	v_cvt_f16_i16_e32 v13, v13
.LBB135_1602:
	s_cbranch_execnz .LBB135_1608
.LBB135_1603:
	v_cmp_lt_i16_e32 vcc_lo, 0, v14
	s_mov_b32 s2, 0
	s_cbranch_vccz .LBB135_1605
; %bb.1604:
	global_load_i8 v13, v[11:12], off
	s_waitcnt vmcnt(0)
	v_cvt_f16_i16_e32 v13, v13
	s_branch .LBB135_1606
.LBB135_1605:
	s_mov_b32 s2, -1
                                        ; implicit-def: $vgpr13
.LBB135_1606:
	s_delay_alu instid0(SALU_CYCLE_1)
	s_and_not1_b32 vcc_lo, exec_lo, s2
	s_cbranch_vccnz .LBB135_1608
; %bb.1607:
	global_load_u8 v11, v[11:12], off
	s_waitcnt vmcnt(0)
	v_cvt_f16_u16_e32 v13, v11
.LBB135_1608:
	s_branch .LBB135_1682
.LBB135_1609:
	s_trap 2
	s_sendmsg_rtn_b32 s0, sendmsg(MSG_RTN_GET_DOORBELL)
	s_mov_b32 ttmp2, m0
	s_waitcnt lgkmcnt(0)
	s_and_b32 s0, s0, 0x3ff
	s_delay_alu instid0(SALU_CYCLE_1) | instskip(NEXT) | instid1(SALU_CYCLE_1)
	s_bitset1_b32 s0, 10
	s_mov_b32 m0, s0
	s_sendmsg sendmsg(MSG_INTERRUPT)
	s_mov_b32 m0, ttmp2
.LBB135_1610:                           ; =>This Inner Loop Header: Depth=1
	s_sethalt 5
	s_branch .LBB135_1610
.LBB135_1611:
	s_trap 2
	s_sendmsg_rtn_b32 s0, sendmsg(MSG_RTN_GET_DOORBELL)
	s_mov_b32 ttmp2, m0
	s_waitcnt lgkmcnt(0)
	s_and_b32 s0, s0, 0x3ff
	s_delay_alu instid0(SALU_CYCLE_1) | instskip(NEXT) | instid1(SALU_CYCLE_1)
	s_bitset1_b32 s0, 10
	s_mov_b32 m0, s0
	s_sendmsg sendmsg(MSG_INTERRUPT)
	s_mov_b32 m0, ttmp2
.LBB135_1612:                           ; =>This Inner Loop Header: Depth=1
	s_sethalt 5
	s_branch .LBB135_1612
.LBB135_1613:
	s_trap 2
	s_sendmsg_rtn_b32 s0, sendmsg(MSG_RTN_GET_DOORBELL)
	s_mov_b32 ttmp2, m0
	s_waitcnt lgkmcnt(0)
	s_and_b32 s0, s0, 0x3ff
	s_delay_alu instid0(SALU_CYCLE_1) | instskip(NEXT) | instid1(SALU_CYCLE_1)
	s_bitset1_b32 s0, 10
	s_mov_b32 m0, s0
	s_sendmsg sendmsg(MSG_INTERRUPT)
	s_mov_b32 m0, ttmp2
.LBB135_1614:                           ; =>This Inner Loop Header: Depth=1
	s_sethalt 5
	s_branch .LBB135_1614
.LBB135_1615:
	s_mov_b32 s12, -1
	s_mov_b32 s7, s39
	s_branch .LBB135_1748
.LBB135_1616:
	s_mov_b32 s1, -1
.LBB135_1617:
                                        ; implicit-def: $vgpr13
.LBB135_1618:
	s_and_b32 vcc_lo, exec_lo, s10
	s_cbranch_vccz .LBB135_1621
; %bb.1619:
	v_cmp_eq_u16_e32 vcc_lo, 44, v14
	s_cbranch_vccz .LBB135_1622
; %bb.1620:
	global_load_u8 v13, v[11:12], off
	s_mov_b32 s1, 0
	s_mov_b32 s3, -1
	s_waitcnt vmcnt(0)
	v_lshlrev_b32_e32 v15, 23, v13
	v_cmp_ne_u32_e32 vcc_lo, 0xff, v13
	s_delay_alu instid0(VALU_DEP_2) | instskip(NEXT) | instid1(VALU_DEP_1)
	v_cvt_f16_f32_e32 v15, v15
	v_cndmask_b32_e32 v15, 0x7e00, v15, vcc_lo
	v_cmp_ne_u32_e32 vcc_lo, 0, v13
	s_delay_alu instid0(VALU_DEP_2)
	v_cndmask_b32_e32 v13, 0, v15, vcc_lo
.LBB135_1621:
	s_branch .LBB135_1626
.LBB135_1622:
	s_mov_b32 s1, -1
                                        ; implicit-def: $vgpr13
	s_branch .LBB135_1626
.LBB135_1623:
	v_cmp_eq_u16_e32 vcc_lo, 29, v14
	s_cbranch_vccz .LBB135_1625
; %bb.1624:
	global_load_b64 v[15:16], v[11:12], off
	s_mov_b32 s1, 0
	s_mov_b32 s3, -1
	s_mov_b32 s10, 0
	s_waitcnt vmcnt(0)
	v_clz_i32_u32_e32 v13, v16
	s_delay_alu instid0(VALU_DEP_1) | instskip(NEXT) | instid1(VALU_DEP_1)
	v_min_u32_e32 v13, 32, v13
	v_lshlrev_b64 v[15:16], v13, v[15:16]
	v_sub_nc_u32_e32 v13, 32, v13
	s_delay_alu instid0(VALU_DEP_2) | instskip(NEXT) | instid1(VALU_DEP_1)
	v_min_u32_e32 v15, 1, v15
	v_or_b32_e32 v15, v16, v15
	s_delay_alu instid0(VALU_DEP_1) | instskip(NEXT) | instid1(VALU_DEP_1)
	v_cvt_f32_u32_e32 v15, v15
	v_ldexp_f32 v13, v15, v13
	s_delay_alu instid0(VALU_DEP_1)
	v_cvt_f16_f32_e32 v13, v13
	s_branch .LBB135_1627
.LBB135_1625:
	s_mov_b32 s1, -1
                                        ; implicit-def: $vgpr13
.LBB135_1626:
	s_mov_b32 s10, 0
.LBB135_1627:
	s_delay_alu instid0(SALU_CYCLE_1)
	s_and_b32 vcc_lo, exec_lo, s10
	s_cbranch_vccz .LBB135_1645
; %bb.1628:
	v_cmp_gt_i16_e32 vcc_lo, 27, v14
	s_cbranch_vccnz .LBB135_1631
; %bb.1629:
	v_cmp_lt_i16_e32 vcc_lo, 27, v14
	s_cbranch_vccz .LBB135_1632
; %bb.1630:
	global_load_b32 v13, v[11:12], off
	s_mov_b32 s3, 0
	s_waitcnt vmcnt(0)
	v_cvt_f32_u32_e32 v13, v13
	s_delay_alu instid0(VALU_DEP_1)
	v_cvt_f16_f32_e32 v13, v13
	s_branch .LBB135_1633
.LBB135_1631:
	s_mov_b32 s3, -1
                                        ; implicit-def: $vgpr13
	s_branch .LBB135_1636
.LBB135_1632:
	s_mov_b32 s3, -1
                                        ; implicit-def: $vgpr13
.LBB135_1633:
	s_delay_alu instid0(SALU_CYCLE_1)
	s_and_not1_b32 vcc_lo, exec_lo, s3
	s_cbranch_vccnz .LBB135_1635
; %bb.1634:
	global_load_u16 v13, v[11:12], off
	s_waitcnt vmcnt(0)
	v_cvt_f16_u16_e32 v13, v13
.LBB135_1635:
	s_mov_b32 s3, 0
.LBB135_1636:
	s_delay_alu instid0(SALU_CYCLE_1)
	s_and_not1_b32 vcc_lo, exec_lo, s3
	s_cbranch_vccnz .LBB135_1644
; %bb.1637:
	global_load_u8 v15, v[11:12], off
	s_mov_b32 s3, 0
	s_mov_b32 s11, exec_lo
                                        ; implicit-def: $sgpr10
	s_waitcnt vmcnt(0)
	v_cmpx_lt_i16_e32 0x7f, v15
	s_xor_b32 s11, exec_lo, s11
	s_cbranch_execz .LBB135_1657
; %bb.1638:
	s_mov_b32 s3, -1
	s_mov_b32 s12, exec_lo
                                        ; implicit-def: $sgpr10
	v_cmpx_eq_u16_e32 0x80, v15
; %bb.1639:
	s_movk_i32 s10, 0x7e00
	s_xor_b32 s3, exec_lo, -1
; %bb.1640:
	s_or_b32 exec_lo, exec_lo, s12
	s_delay_alu instid0(SALU_CYCLE_1)
	s_and_b32 s3, s3, exec_lo
	s_or_saveexec_b32 s11, s11
	v_mov_b32_e32 v13, s10
	s_xor_b32 exec_lo, exec_lo, s11
	s_cbranch_execnz .LBB135_1658
.LBB135_1641:
	s_or_b32 exec_lo, exec_lo, s11
	s_and_saveexec_b32 s10, s3
	s_cbranch_execz .LBB135_1643
.LBB135_1642:
	v_and_b32_e32 v13, 0xffff, v15
	v_lshlrev_b32_e32 v15, 24, v15
	s_delay_alu instid0(VALU_DEP_2) | instskip(NEXT) | instid1(VALU_DEP_2)
	v_and_b32_e32 v16, 7, v13
	v_and_b32_e32 v15, 0x80000000, v15
	s_delay_alu instid0(VALU_DEP_2) | instskip(NEXT) | instid1(VALU_DEP_1)
	v_clz_i32_u32_e32 v17, v16
	v_min_u32_e32 v17, 32, v17
	s_delay_alu instid0(VALU_DEP_1) | instskip(SKIP_1) | instid1(VALU_DEP_2)
	v_subrev_nc_u32_e32 v18, 28, v17
	v_sub_nc_u32_e32 v17, 29, v17
	v_lshlrev_b32_e32 v18, v18, v13
	v_bfe_u32 v13, v13, 3, 4
	s_delay_alu instid0(VALU_DEP_1) | instskip(NEXT) | instid1(VALU_DEP_3)
	v_cmp_eq_u32_e32 vcc_lo, 0, v13
	v_dual_cndmask_b32 v13, v13, v17 :: v_dual_and_b32 v18, 7, v18
	s_delay_alu instid0(VALU_DEP_1) | instskip(NEXT) | instid1(VALU_DEP_2)
	v_cndmask_b32_e32 v16, v16, v18, vcc_lo
	v_lshl_add_u32 v13, v13, 23, 0x3b800000
	s_delay_alu instid0(VALU_DEP_2) | instskip(NEXT) | instid1(VALU_DEP_1)
	v_lshlrev_b32_e32 v16, 20, v16
	v_or3_b32 v13, v15, v13, v16
	s_delay_alu instid0(VALU_DEP_1)
	v_cvt_f16_f32_e32 v13, v13
.LBB135_1643:
	s_or_b32 exec_lo, exec_lo, s10
.LBB135_1644:
	s_mov_b32 s3, -1
.LBB135_1645:
	s_branch .LBB135_1677
.LBB135_1646:
	v_cmp_lt_i16_e32 vcc_lo, 22, v14
	s_cbranch_vccz .LBB135_1656
; %bb.1647:
	v_cmp_gt_i16_e32 vcc_lo, 24, v14
	s_cbranch_vccnz .LBB135_1659
; %bb.1648:
	v_cmp_lt_i16_e32 vcc_lo, 24, v14
	s_cbranch_vccz .LBB135_1660
; %bb.1649:
	global_load_u8 v15, v[11:12], off
	s_mov_b32 s10, exec_lo
                                        ; implicit-def: $sgpr3
	s_waitcnt vmcnt(0)
	v_cmpx_lt_i16_e32 0x7f, v15
	s_xor_b32 s10, exec_lo, s10
	s_cbranch_execz .LBB135_1671
; %bb.1650:
	s_mov_b32 s2, -1
	s_mov_b32 s11, exec_lo
                                        ; implicit-def: $sgpr3
	v_cmpx_eq_u16_e32 0x80, v15
; %bb.1651:
	s_movk_i32 s3, 0x7e00
	s_xor_b32 s2, exec_lo, -1
; %bb.1652:
	s_or_b32 exec_lo, exec_lo, s11
	s_delay_alu instid0(SALU_CYCLE_1)
	s_and_b32 s2, s2, exec_lo
	s_or_saveexec_b32 s10, s10
	v_mov_b32_e32 v13, s3
	s_xor_b32 exec_lo, exec_lo, s10
	s_cbranch_execnz .LBB135_1672
.LBB135_1653:
	s_or_b32 exec_lo, exec_lo, s10
	s_and_saveexec_b32 s3, s2
	s_cbranch_execz .LBB135_1655
.LBB135_1654:
	v_and_b32_e32 v13, 0xffff, v15
	v_lshlrev_b32_e32 v15, 24, v15
	s_delay_alu instid0(VALU_DEP_2) | instskip(NEXT) | instid1(VALU_DEP_2)
	v_and_b32_e32 v16, 3, v13
	v_and_b32_e32 v15, 0x80000000, v15
	s_delay_alu instid0(VALU_DEP_2) | instskip(NEXT) | instid1(VALU_DEP_1)
	v_clz_i32_u32_e32 v17, v16
	v_min_u32_e32 v17, 32, v17
	s_delay_alu instid0(VALU_DEP_1) | instskip(SKIP_1) | instid1(VALU_DEP_2)
	v_subrev_nc_u32_e32 v18, 29, v17
	v_sub_nc_u32_e32 v17, 30, v17
	v_lshlrev_b32_e32 v18, v18, v13
	v_bfe_u32 v13, v13, 2, 5
	s_delay_alu instid0(VALU_DEP_1) | instskip(NEXT) | instid1(VALU_DEP_3)
	v_cmp_eq_u32_e32 vcc_lo, 0, v13
	v_dual_cndmask_b32 v13, v13, v17 :: v_dual_and_b32 v18, 3, v18
	s_delay_alu instid0(VALU_DEP_1) | instskip(NEXT) | instid1(VALU_DEP_2)
	v_cndmask_b32_e32 v16, v16, v18, vcc_lo
	v_lshl_add_u32 v13, v13, 23, 0x37800000
	s_delay_alu instid0(VALU_DEP_2) | instskip(NEXT) | instid1(VALU_DEP_1)
	v_lshlrev_b32_e32 v16, 21, v16
	v_or3_b32 v13, v15, v13, v16
	s_delay_alu instid0(VALU_DEP_1)
	v_cvt_f16_f32_e32 v13, v13
.LBB135_1655:
	s_or_b32 exec_lo, exec_lo, s3
	s_mov_b32 s2, 0
	s_branch .LBB135_1661
.LBB135_1656:
                                        ; implicit-def: $vgpr13
	s_mov_b32 s2, 0
	s_branch .LBB135_1667
.LBB135_1657:
	s_or_saveexec_b32 s11, s11
	v_mov_b32_e32 v13, s10
	s_xor_b32 exec_lo, exec_lo, s11
	s_cbranch_execz .LBB135_1641
.LBB135_1658:
	v_cmp_ne_u16_e32 vcc_lo, 0, v15
	v_mov_b32_e32 v13, v15
	s_and_not1_b32 s3, s3, exec_lo
	s_and_b32 s10, vcc_lo, exec_lo
	s_delay_alu instid0(SALU_CYCLE_1)
	s_or_b32 s3, s3, s10
	s_or_b32 exec_lo, exec_lo, s11
	s_and_saveexec_b32 s10, s3
	s_cbranch_execnz .LBB135_1642
	s_branch .LBB135_1643
.LBB135_1659:
	s_mov_b32 s2, -1
                                        ; implicit-def: $vgpr13
	s_branch .LBB135_1664
.LBB135_1660:
	s_mov_b32 s2, -1
                                        ; implicit-def: $vgpr13
.LBB135_1661:
	s_delay_alu instid0(SALU_CYCLE_1)
	s_and_b32 vcc_lo, exec_lo, s2
	s_cbranch_vccz .LBB135_1663
; %bb.1662:
	global_load_u8 v13, v[11:12], off
	s_waitcnt vmcnt(0)
	v_lshlrev_b32_e32 v13, 24, v13
	s_delay_alu instid0(VALU_DEP_1) | instskip(NEXT) | instid1(VALU_DEP_1)
	v_and_b32_e32 v15, 0x7f000000, v13
	v_clz_i32_u32_e32 v16, v15
	v_cmp_ne_u32_e32 vcc_lo, 0, v15
	v_add_nc_u32_e32 v18, 0x1000000, v15
	s_delay_alu instid0(VALU_DEP_3) | instskip(NEXT) | instid1(VALU_DEP_1)
	v_min_u32_e32 v16, 32, v16
	v_sub_nc_u32_e64 v16, v16, 4 clamp
	s_delay_alu instid0(VALU_DEP_1) | instskip(SKIP_1) | instid1(VALU_DEP_2)
	v_lshlrev_b32_e32 v17, v16, v15
	v_lshlrev_b32_e32 v16, 23, v16
	v_lshrrev_b32_e32 v17, 4, v17
	s_delay_alu instid0(VALU_DEP_1) | instskip(SKIP_1) | instid1(VALU_DEP_2)
	v_sub_nc_u32_e32 v16, v17, v16
	v_ashrrev_i32_e32 v17, 8, v18
	v_add_nc_u32_e32 v16, 0x3c000000, v16
	s_delay_alu instid0(VALU_DEP_1) | instskip(NEXT) | instid1(VALU_DEP_1)
	v_and_or_b32 v16, 0x7f800000, v17, v16
	v_cndmask_b32_e32 v15, 0, v16, vcc_lo
	s_delay_alu instid0(VALU_DEP_1) | instskip(NEXT) | instid1(VALU_DEP_1)
	v_and_or_b32 v13, 0x80000000, v13, v15
	v_cvt_f16_f32_e32 v13, v13
.LBB135_1663:
	s_mov_b32 s2, 0
.LBB135_1664:
	s_delay_alu instid0(SALU_CYCLE_1)
	s_and_not1_b32 vcc_lo, exec_lo, s2
	s_cbranch_vccnz .LBB135_1666
; %bb.1665:
	global_load_u8 v13, v[11:12], off
	s_waitcnt vmcnt(0)
	v_lshlrev_b32_e32 v15, 25, v13
	v_lshlrev_b16 v13, 8, v13
	s_delay_alu instid0(VALU_DEP_2) | instskip(NEXT) | instid1(VALU_DEP_2)
	v_lshrrev_b32_e32 v16, 4, v15
	v_and_or_b32 v17, 0x7f00, v13, 0.5
	v_bfe_i32 v13, v13, 0, 16
	s_delay_alu instid0(VALU_DEP_3) | instskip(NEXT) | instid1(VALU_DEP_1)
	v_or_b32_e32 v16, 0x70000000, v16
	v_dual_add_f32 v17, -0.5, v17 :: v_dual_mul_f32 v16, 0x7800000, v16
	v_cmp_gt_u32_e32 vcc_lo, 0x8000000, v15
	s_delay_alu instid0(VALU_DEP_2) | instskip(NEXT) | instid1(VALU_DEP_1)
	v_cndmask_b32_e32 v15, v16, v17, vcc_lo
	v_and_or_b32 v13, 0x80000000, v13, v15
	s_delay_alu instid0(VALU_DEP_1)
	v_cvt_f16_f32_e32 v13, v13
.LBB135_1666:
	s_mov_b32 s3, -1
	s_mov_b32 s2, 0
	s_cbranch_execnz .LBB135_1677
.LBB135_1667:
	v_cmp_lt_i16_e32 vcc_lo, 14, v14
	s_cbranch_vccz .LBB135_1670
; %bb.1668:
	v_cmp_eq_u16_e32 vcc_lo, 15, v14
	s_cbranch_vccz .LBB135_1673
; %bb.1669:
	global_load_u16 v13, v[11:12], off
	s_mov_b32 s1, 0
	s_mov_b32 s3, -1
	s_waitcnt vmcnt(0)
	v_lshlrev_b32_e32 v13, 16, v13
	s_delay_alu instid0(VALU_DEP_1)
	v_cvt_f16_f32_e32 v13, v13
	s_branch .LBB135_1675
.LBB135_1670:
	s_mov_b32 s2, -1
	s_branch .LBB135_1674
.LBB135_1671:
	s_or_saveexec_b32 s10, s10
	v_mov_b32_e32 v13, s3
	s_xor_b32 exec_lo, exec_lo, s10
	s_cbranch_execz .LBB135_1653
.LBB135_1672:
	v_cmp_ne_u16_e32 vcc_lo, 0, v15
	v_mov_b32_e32 v13, v15
	s_and_not1_b32 s2, s2, exec_lo
	s_and_b32 s3, vcc_lo, exec_lo
	s_delay_alu instid0(SALU_CYCLE_1)
	s_or_b32 s2, s2, s3
	s_or_b32 exec_lo, exec_lo, s10
	s_and_saveexec_b32 s3, s2
	s_cbranch_execnz .LBB135_1654
	s_branch .LBB135_1655
.LBB135_1673:
	s_mov_b32 s1, -1
.LBB135_1674:
                                        ; implicit-def: $vgpr13
.LBB135_1675:
	s_and_b32 vcc_lo, exec_lo, s2
	s_mov_b32 s2, 0
	s_cbranch_vccz .LBB135_1677
; %bb.1676:
	v_cmp_ne_u16_e64 s1, 11, v14
	s_mov_b32 s2, -1
                                        ; implicit-def: $vgpr13
.LBB135_1677:
	s_delay_alu instid0(VALU_DEP_1)
	s_and_b32 vcc_lo, exec_lo, s1
	s_mov_b32 s1, s8
	s_cbranch_vccnz .LBB135_1701
; %bb.1678:
	s_and_not1_b32 vcc_lo, exec_lo, s2
	s_cbranch_vccnz .LBB135_1680
.LBB135_1679:
	global_load_u8 v13, v[11:12], off
	s_mov_b32 s3, -1
	s_waitcnt vmcnt(0)
	v_cmp_ne_u16_e32 vcc_lo, 0, v13
	v_cndmask_b32_e64 v13, 0, 0x3c00, vcc_lo
.LBB135_1680:
.LBB135_1681:
	s_and_not1_b32 vcc_lo, exec_lo, s3
	s_cbranch_vccnz .LBB135_3064
.LBB135_1682:
	s_load_b64 s[2:3], s[20:21], 0x198
	s_lshr_b32 s0, s0, 16
	s_mov_b32 s12, 0
	v_and_b32_e64 v12, 0xff, s0
	s_delay_alu instid0(VALU_DEP_1) | instskip(SKIP_2) | instid1(VALU_DEP_1)
	v_cmp_gt_i16_e32 vcc_lo, 11, v12
	s_waitcnt lgkmcnt(0)
	v_add_co_u32 v10, s0, s2, v10
	v_add_co_ci_u32_e64 v11, null, s3, 0, s0
	s_cbranch_vccnz .LBB135_1689
; %bb.1683:
	v_cmp_lt_i16_e32 vcc_lo, 25, v12
	s_mov_b32 s0, 0
	s_cbranch_vccz .LBB135_1695
; %bb.1684:
	v_cmp_lt_i16_e32 vcc_lo, 28, v12
	s_cbranch_vccz .LBB135_1697
; %bb.1685:
	v_cmp_lt_i16_e32 vcc_lo, 43, v12
	;; [unrolled: 3-line block ×3, first 2 shown]
	s_cbranch_vccz .LBB135_1703
; %bb.1687:
	v_cmp_eq_u16_e32 vcc_lo, 46, v12
	s_mov_b32 s13, 0
	s_cbranch_vccz .LBB135_1808
; %bb.1688:
	global_load_b32 v15, v[10:11], off
	s_mov_b32 s11, 0
	s_mov_b32 s12, -1
	s_waitcnt vmcnt(0)
	v_and_b32_e32 v15, 0x7fff7fff, v15
	s_delay_alu instid0(VALU_DEP_1)
	v_cmp_ne_u32_e32 vcc_lo, 0, v15
	s_and_b32 s10, vcc_lo, exec_lo
	s_branch .LBB135_1810
.LBB135_1689:
                                        ; implicit-def: $sgpr10
	s_cbranch_execz .LBB135_1873
; %bb.1690:
	v_cmp_gt_i16_e32 vcc_lo, 5, v12
	s_cbranch_vccnz .LBB135_1696
; %bb.1691:
	v_cmp_gt_i16_e32 vcc_lo, 8, v12
	s_cbranch_vccnz .LBB135_1698
	;; [unrolled: 3-line block ×3, first 2 shown]
; %bb.1693:
	v_cmp_lt_i16_e32 vcc_lo, 9, v12
	s_cbranch_vccz .LBB135_1706
; %bb.1694:
	global_load_b128 v[15:18], v[10:11], off
	s_waitcnt vmcnt(0)
	v_cmp_neq_f64_e32 vcc_lo, 0, v[15:16]
	v_cmp_neq_f64_e64 s0, 0, v[17:18]
	s_delay_alu instid0(VALU_DEP_1)
	s_or_b32 s10, vcc_lo, s0
	s_mov_b32 s0, 0
	s_and_b32 s10, s10, exec_lo
	s_branch .LBB135_1707
.LBB135_1695:
	s_mov_b32 s11, 0
                                        ; implicit-def: $sgpr10
	s_cbranch_execnz .LBB135_1837
	s_branch .LBB135_1869
.LBB135_1696:
                                        ; implicit-def: $sgpr10
	s_branch .LBB135_1725
.LBB135_1697:
	s_mov_b32 s13, -1
	s_mov_b32 s11, 0
                                        ; implicit-def: $sgpr10
	s_branch .LBB135_1818
.LBB135_1698:
	s_mov_b32 s0, -1
                                        ; implicit-def: $sgpr10
	s_branch .LBB135_1713
.LBB135_1699:
	s_mov_b32 s13, -1
	s_mov_b32 s11, 0
                                        ; implicit-def: $sgpr10
	s_branch .LBB135_1813
.LBB135_1700:
	s_mov_b32 s0, -1
                                        ; implicit-def: $sgpr10
	s_branch .LBB135_1710
.LBB135_1701:
	s_cbranch_execnz .LBB135_1745
; %bb.1702:
	s_or_b32 s1, s8, exec_lo
                                        ; implicit-def: $vgpr13
	s_cbranch_execz .LBB135_1679
	s_branch .LBB135_1680
.LBB135_1703:
	s_mov_b32 s13, -1
	s_mov_b32 s11, 0
	s_branch .LBB135_1809
.LBB135_1704:
	s_or_saveexec_b32 s7, s7
                                        ; implicit-def: $sgpr8
	s_delay_alu instid0(SALU_CYCLE_1)
	s_xor_b32 exec_lo, exec_lo, s7
	s_cbranch_execz .LBB135_1420
.LBB135_1705:
	v_add_f32_e64 v5, 0x46000000, |v0|
	s_and_not1_b32 s5, s5, exec_lo
	s_mov_b32 s8, 0
	s_delay_alu instid0(VALU_DEP_1) | instskip(NEXT) | instid1(VALU_DEP_1)
	v_and_b32_e32 v5, 0xff, v5
	v_cmp_ne_u32_e32 vcc_lo, 0, v5
	s_and_b32 s9, vcc_lo, exec_lo
	s_delay_alu instid0(SALU_CYCLE_1)
	s_or_b32 s5, s5, s9
	s_or_b32 exec_lo, exec_lo, s7
	v_mov_b32_e32 v6, s8
	s_and_saveexec_b32 s7, s5
	s_cbranch_execnz .LBB135_1421
	s_branch .LBB135_1422
.LBB135_1706:
	s_mov_b32 s0, -1
                                        ; implicit-def: $sgpr10
.LBB135_1707:
	s_delay_alu instid0(SALU_CYCLE_1)
	s_and_not1_b32 vcc_lo, exec_lo, s0
	s_cbranch_vccnz .LBB135_1709
; %bb.1708:
	global_load_b64 v[15:16], v[10:11], off
	s_and_not1_b32 s0, s10, exec_lo
	s_waitcnt vmcnt(0)
	v_or_b32_e32 v15, v15, v16
	s_delay_alu instid0(VALU_DEP_1) | instskip(NEXT) | instid1(VALU_DEP_1)
	v_and_b32_e32 v15, 0x7fffffff, v15
	v_cmp_ne_u32_e32 vcc_lo, 0, v15
	s_and_b32 s10, vcc_lo, exec_lo
	s_delay_alu instid0(SALU_CYCLE_1)
	s_or_b32 s10, s0, s10
.LBB135_1709:
	s_mov_b32 s0, 0
.LBB135_1710:
	s_delay_alu instid0(SALU_CYCLE_1)
	s_and_not1_b32 vcc_lo, exec_lo, s0
	s_cbranch_vccnz .LBB135_1712
; %bb.1711:
	global_load_b32 v15, v[10:11], off
	s_and_not1_b32 s0, s10, exec_lo
	s_waitcnt vmcnt(0)
	v_and_b32_e32 v15, 0x7fff7fff, v15
	s_delay_alu instid0(VALU_DEP_1) | instskip(SKIP_1) | instid1(SALU_CYCLE_1)
	v_cmp_ne_u32_e32 vcc_lo, 0, v15
	s_and_b32 s10, vcc_lo, exec_lo
	s_or_b32 s10, s0, s10
.LBB135_1712:
	s_mov_b32 s0, 0
.LBB135_1713:
	s_delay_alu instid0(SALU_CYCLE_1)
	s_and_not1_b32 vcc_lo, exec_lo, s0
	s_cbranch_vccnz .LBB135_1724
; %bb.1714:
	v_cmp_gt_i16_e32 vcc_lo, 6, v12
	s_cbranch_vccnz .LBB135_1717
; %bb.1715:
	v_cmp_lt_i16_e32 vcc_lo, 6, v12
	s_cbranch_vccz .LBB135_1718
; %bb.1716:
	global_load_b64 v[15:16], v[10:11], off
	s_mov_b32 s0, 0
	s_waitcnt vmcnt(0)
	v_cmp_neq_f64_e32 vcc_lo, 0, v[15:16]
	s_and_b32 s10, vcc_lo, exec_lo
	s_branch .LBB135_1719
.LBB135_1717:
	s_mov_b32 s0, -1
                                        ; implicit-def: $sgpr10
	s_branch .LBB135_1722
.LBB135_1718:
	s_mov_b32 s0, -1
                                        ; implicit-def: $sgpr10
.LBB135_1719:
	s_delay_alu instid0(SALU_CYCLE_1)
	s_and_not1_b32 vcc_lo, exec_lo, s0
	s_cbranch_vccnz .LBB135_1721
; %bb.1720:
	global_load_b32 v15, v[10:11], off
	s_and_not1_b32 s0, s10, exec_lo
	s_waitcnt vmcnt(0)
	v_cmp_neq_f32_e32 vcc_lo, 0, v15
	s_and_b32 s10, vcc_lo, exec_lo
	s_delay_alu instid0(SALU_CYCLE_1)
	s_or_b32 s10, s0, s10
.LBB135_1721:
	s_mov_b32 s0, 0
.LBB135_1722:
	s_delay_alu instid0(SALU_CYCLE_1)
	s_and_not1_b32 vcc_lo, exec_lo, s0
	s_cbranch_vccnz .LBB135_1724
; %bb.1723:
	global_load_u16 v15, v[10:11], off
	s_and_not1_b32 s0, s10, exec_lo
	s_waitcnt vmcnt(0)
	v_and_b32_e32 v15, 0x7fff, v15
	s_delay_alu instid0(VALU_DEP_1) | instskip(SKIP_1) | instid1(SALU_CYCLE_1)
	v_cmp_ne_u16_e32 vcc_lo, 0, v15
	s_and_b32 s10, vcc_lo, exec_lo
	s_or_b32 s10, s0, s10
.LBB135_1724:
	s_cbranch_execnz .LBB135_1744
.LBB135_1725:
	v_cmp_gt_i16_e32 vcc_lo, 2, v12
	s_cbranch_vccnz .LBB135_1729
; %bb.1726:
	v_cmp_gt_i16_e32 vcc_lo, 3, v12
	s_cbranch_vccnz .LBB135_1730
; %bb.1727:
	v_cmp_lt_i16_e32 vcc_lo, 3, v12
	s_cbranch_vccz .LBB135_1731
; %bb.1728:
	global_load_b64 v[15:16], v[10:11], off
	s_mov_b32 s0, 0
	s_waitcnt vmcnt(0)
	v_cmp_ne_u64_e32 vcc_lo, 0, v[15:16]
	s_and_b32 s10, vcc_lo, exec_lo
	s_branch .LBB135_1732
.LBB135_1729:
	s_mov_b32 s0, -1
                                        ; implicit-def: $sgpr10
	s_branch .LBB135_1738
.LBB135_1730:
	s_mov_b32 s0, -1
                                        ; implicit-def: $sgpr10
	s_branch .LBB135_1735
.LBB135_1731:
	s_mov_b32 s0, -1
                                        ; implicit-def: $sgpr10
.LBB135_1732:
	s_delay_alu instid0(SALU_CYCLE_1)
	s_and_not1_b32 vcc_lo, exec_lo, s0
	s_cbranch_vccnz .LBB135_1734
; %bb.1733:
	global_load_b32 v15, v[10:11], off
	s_and_not1_b32 s0, s10, exec_lo
	s_waitcnt vmcnt(0)
	v_cmp_ne_u32_e32 vcc_lo, 0, v15
	s_and_b32 s10, vcc_lo, exec_lo
	s_delay_alu instid0(SALU_CYCLE_1)
	s_or_b32 s10, s0, s10
.LBB135_1734:
	s_mov_b32 s0, 0
.LBB135_1735:
	s_delay_alu instid0(SALU_CYCLE_1)
	s_and_not1_b32 vcc_lo, exec_lo, s0
	s_cbranch_vccnz .LBB135_1737
; %bb.1736:
	global_load_u16 v15, v[10:11], off
	s_and_not1_b32 s0, s10, exec_lo
	s_waitcnt vmcnt(0)
	v_cmp_ne_u16_e32 vcc_lo, 0, v15
	s_and_b32 s10, vcc_lo, exec_lo
	s_delay_alu instid0(SALU_CYCLE_1)
	s_or_b32 s10, s0, s10
.LBB135_1737:
	s_mov_b32 s0, 0
.LBB135_1738:
	s_delay_alu instid0(SALU_CYCLE_1)
	s_and_not1_b32 vcc_lo, exec_lo, s0
	s_cbranch_vccnz .LBB135_1744
; %bb.1739:
	v_cmp_lt_i16_e32 vcc_lo, 0, v12
	s_mov_b32 s0, 0
	s_cbranch_vccz .LBB135_1741
; %bb.1740:
	global_load_u8 v15, v[10:11], off
	s_waitcnt vmcnt(0)
	v_cmp_ne_u16_e32 vcc_lo, 0, v15
	s_and_b32 s10, vcc_lo, exec_lo
	s_branch .LBB135_1742
.LBB135_1741:
	s_mov_b32 s0, -1
                                        ; implicit-def: $sgpr10
.LBB135_1742:
	s_delay_alu instid0(SALU_CYCLE_1)
	s_and_not1_b32 vcc_lo, exec_lo, s0
	s_cbranch_vccnz .LBB135_1744
; %bb.1743:
	global_load_u8 v10, v[10:11], off
	s_and_not1_b32 s0, s10, exec_lo
	s_waitcnt vmcnt(0)
	v_cmp_ne_u16_e32 vcc_lo, 0, v10
	s_and_b32 s10, vcc_lo, exec_lo
	s_delay_alu instid0(SALU_CYCLE_1)
	s_or_b32 s10, s0, s10
.LBB135_1744:
	s_branch .LBB135_1874
.LBB135_1745:
	s_trap 2
	s_sendmsg_rtn_b32 s0, sendmsg(MSG_RTN_GET_DOORBELL)
	s_mov_b32 ttmp2, m0
	s_waitcnt lgkmcnt(0)
	s_and_b32 s0, s0, 0x3ff
	s_delay_alu instid0(SALU_CYCLE_1) | instskip(NEXT) | instid1(SALU_CYCLE_1)
	s_bitset1_b32 s0, 10
	s_mov_b32 m0, s0
	s_sendmsg sendmsg(MSG_INTERRUPT)
	s_mov_b32 m0, ttmp2
.LBB135_1746:                           ; =>This Inner Loop Header: Depth=1
	s_sethalt 5
	s_branch .LBB135_1746
.LBB135_1747:
	s_mov_b32 s7, -1
.LBB135_1748:
                                        ; implicit-def: $sgpr8
.LBB135_1749:
	s_and_b32 vcc_lo, exec_lo, s12
	s_cbranch_vccz .LBB135_1751
; %bb.1750:
	v_cmp_ne_u16_e32 vcc_lo, 44, v4
	s_and_not1_b32 s7, s7, exec_lo
	s_mov_b32 s9, -1
	s_or_b32 s8, s8, exec_lo
	s_and_b32 s12, vcc_lo, exec_lo
	s_delay_alu instid0(SALU_CYCLE_1)
	s_or_b32 s7, s7, s12
.LBB135_1751:
	s_mov_b32 s12, 0
.LBB135_1752:
	s_delay_alu instid0(SALU_CYCLE_1)
	s_and_b32 vcc_lo, exec_lo, s12
	s_cbranch_vccz .LBB135_1756
; %bb.1753:
	v_cmp_eq_u16_e32 vcc_lo, 29, v4
	s_cbranch_vccz .LBB135_1755
; %bb.1754:
	global_load_b64 v[6:7], v[2:3], off
	s_mov_b32 s7, 0
	s_mov_b32 s9, -1
	s_mov_b32 s12, 0
	s_waitcnt vmcnt(0)
	v_cmp_ne_u64_e32 vcc_lo, 0, v[6:7]
	s_and_b32 s8, vcc_lo, exec_lo
	s_branch .LBB135_1757
.LBB135_1755:
	s_mov_b32 s7, -1
                                        ; implicit-def: $sgpr8
.LBB135_1756:
	s_mov_b32 s12, 0
.LBB135_1757:
	s_delay_alu instid0(SALU_CYCLE_1)
	s_and_b32 vcc_lo, exec_lo, s12
	s_cbranch_vccz .LBB135_1775
; %bb.1758:
	v_cmp_gt_i16_e32 vcc_lo, 27, v4
	s_cbranch_vccnz .LBB135_1761
; %bb.1759:
	v_cmp_lt_i16_e32 vcc_lo, 27, v4
	s_cbranch_vccz .LBB135_1762
; %bb.1760:
	global_load_b32 v1, v[2:3], off
	s_mov_b32 s9, 0
	s_waitcnt vmcnt(0)
	v_cmp_ne_u32_e32 vcc_lo, 0, v1
	s_and_b32 s8, vcc_lo, exec_lo
	s_branch .LBB135_1763
.LBB135_1761:
	s_mov_b32 s9, -1
                                        ; implicit-def: $sgpr8
	s_branch .LBB135_1766
.LBB135_1762:
	s_mov_b32 s9, -1
                                        ; implicit-def: $sgpr8
.LBB135_1763:
	s_delay_alu instid0(SALU_CYCLE_1)
	s_and_not1_b32 vcc_lo, exec_lo, s9
	s_cbranch_vccnz .LBB135_1765
; %bb.1764:
	global_load_u16 v1, v[2:3], off
	s_and_not1_b32 s8, s8, exec_lo
	s_waitcnt vmcnt(0)
	v_cmp_ne_u16_e32 vcc_lo, 0, v1
	s_and_b32 s9, vcc_lo, exec_lo
	s_delay_alu instid0(SALU_CYCLE_1)
	s_or_b32 s8, s8, s9
.LBB135_1765:
	s_mov_b32 s9, 0
.LBB135_1766:
	s_delay_alu instid0(SALU_CYCLE_1)
	s_and_not1_b32 vcc_lo, exec_lo, s9
	s_cbranch_vccnz .LBB135_1774
; %bb.1767:
	global_load_u8 v1, v[2:3], off
	s_mov_b32 s9, 0
	s_mov_b32 s12, exec_lo
                                        ; implicit-def: $sgpr8
	s_waitcnt vmcnt(0)
	v_cmpx_lt_i16_e32 0x7f, v1
	s_xor_b32 s12, exec_lo, s12
	s_cbranch_execz .LBB135_1787
; %bb.1768:
	s_mov_b32 s9, -1
	s_mov_b32 s13, exec_lo
                                        ; implicit-def: $sgpr8
	v_cmpx_eq_u16_e32 0x80, v1
; %bb.1769:
	s_mov_b32 s8, -1
	s_xor_b32 s9, exec_lo, -1
; %bb.1770:
	s_or_b32 exec_lo, exec_lo, s13
	s_delay_alu instid0(SALU_CYCLE_1)
	s_and_b32 s9, s9, exec_lo
	s_and_not1_saveexec_b32 s12, s12
	s_cbranch_execnz .LBB135_1788
.LBB135_1771:
	s_or_b32 exec_lo, exec_lo, s12
	s_and_saveexec_b32 s12, s9
	s_cbranch_execz .LBB135_1773
.LBB135_1772:
	v_and_b32_e32 v1, 0xffff, v1
	s_and_not1_b32 s8, s8, exec_lo
	s_delay_alu instid0(VALU_DEP_1) | instskip(NEXT) | instid1(VALU_DEP_1)
	v_and_b32_e32 v6, 7, v1
	v_clz_i32_u32_e32 v7, v6
	s_delay_alu instid0(VALU_DEP_1) | instskip(NEXT) | instid1(VALU_DEP_1)
	v_min_u32_e32 v7, 32, v7
	v_subrev_nc_u32_e32 v8, 28, v7
	v_sub_nc_u32_e32 v7, 29, v7
	s_delay_alu instid0(VALU_DEP_2) | instskip(SKIP_1) | instid1(VALU_DEP_2)
	v_lshlrev_b32_e32 v8, v8, v1
	v_bfe_u32 v1, v1, 3, 4
	v_and_b32_e32 v8, 7, v8
	s_delay_alu instid0(VALU_DEP_2) | instskip(NEXT) | instid1(VALU_DEP_2)
	v_cmp_eq_u32_e32 vcc_lo, 0, v1
	v_dual_cndmask_b32 v1, v1, v7 :: v_dual_cndmask_b32 v6, v6, v8
	s_delay_alu instid0(VALU_DEP_1) | instskip(NEXT) | instid1(VALU_DEP_2)
	v_lshl_add_u32 v1, v1, 23, 0x3b800000
	v_lshlrev_b32_e32 v6, 20, v6
	s_delay_alu instid0(VALU_DEP_1) | instskip(NEXT) | instid1(VALU_DEP_1)
	v_and_or_b32 v1, 0x7f800000, v1, v6
	v_cmp_ne_u32_e32 vcc_lo, 0, v1
	s_and_b32 s9, vcc_lo, exec_lo
	s_delay_alu instid0(SALU_CYCLE_1)
	s_or_b32 s8, s8, s9
.LBB135_1773:
	s_or_b32 exec_lo, exec_lo, s12
.LBB135_1774:
	s_mov_b32 s9, -1
.LBB135_1775:
	s_branch .LBB135_1335
.LBB135_1776:
	v_cmp_lt_i16_e32 vcc_lo, 22, v4
	s_cbranch_vccz .LBB135_1786
; %bb.1777:
	v_cmp_gt_i16_e32 vcc_lo, 24, v4
	s_cbranch_vccnz .LBB135_1789
; %bb.1778:
	v_cmp_lt_i16_e32 vcc_lo, 24, v4
	s_cbranch_vccz .LBB135_1790
; %bb.1779:
	global_load_u8 v1, v[2:3], off
	s_mov_b32 s9, exec_lo
                                        ; implicit-def: $sgpr8
	s_waitcnt vmcnt(0)
	v_cmpx_lt_i16_e32 0x7f, v1
	s_xor_b32 s9, exec_lo, s9
	s_cbranch_execz .LBB135_1802
; %bb.1780:
	s_mov_b32 s2, -1
	s_mov_b32 s12, exec_lo
                                        ; implicit-def: $sgpr8
	v_cmpx_eq_u16_e32 0x80, v1
; %bb.1781:
	s_mov_b32 s8, -1
	s_xor_b32 s2, exec_lo, -1
; %bb.1782:
	s_or_b32 exec_lo, exec_lo, s12
	s_delay_alu instid0(SALU_CYCLE_1)
	s_and_b32 s2, s2, exec_lo
	s_and_not1_saveexec_b32 s9, s9
	s_cbranch_execnz .LBB135_1803
.LBB135_1783:
	s_or_b32 exec_lo, exec_lo, s9
	s_and_saveexec_b32 s9, s2
	s_cbranch_execz .LBB135_1785
.LBB135_1784:
	v_and_b32_e32 v1, 0xffff, v1
	s_and_not1_b32 s2, s8, exec_lo
	s_delay_alu instid0(VALU_DEP_1) | instskip(NEXT) | instid1(VALU_DEP_1)
	v_and_b32_e32 v6, 3, v1
	v_clz_i32_u32_e32 v7, v6
	s_delay_alu instid0(VALU_DEP_1) | instskip(NEXT) | instid1(VALU_DEP_1)
	v_min_u32_e32 v7, 32, v7
	v_subrev_nc_u32_e32 v8, 29, v7
	v_sub_nc_u32_e32 v7, 30, v7
	s_delay_alu instid0(VALU_DEP_2) | instskip(SKIP_1) | instid1(VALU_DEP_2)
	v_lshlrev_b32_e32 v8, v8, v1
	v_bfe_u32 v1, v1, 2, 5
	v_and_b32_e32 v8, 3, v8
	s_delay_alu instid0(VALU_DEP_2) | instskip(NEXT) | instid1(VALU_DEP_2)
	v_cmp_eq_u32_e32 vcc_lo, 0, v1
	v_dual_cndmask_b32 v1, v1, v7 :: v_dual_cndmask_b32 v6, v6, v8
	s_delay_alu instid0(VALU_DEP_1) | instskip(NEXT) | instid1(VALU_DEP_2)
	v_lshl_add_u32 v1, v1, 23, 0x37800000
	v_lshlrev_b32_e32 v6, 21, v6
	s_delay_alu instid0(VALU_DEP_1) | instskip(NEXT) | instid1(VALU_DEP_1)
	v_and_or_b32 v1, 0x7f800000, v1, v6
	v_cmp_ne_u32_e32 vcc_lo, 0, v1
	s_and_b32 s8, vcc_lo, exec_lo
	s_delay_alu instid0(SALU_CYCLE_1)
	s_or_b32 s8, s2, s8
.LBB135_1785:
	s_or_b32 exec_lo, exec_lo, s9
	s_mov_b32 s2, 0
	s_branch .LBB135_1791
.LBB135_1786:
	s_mov_b32 s2, -1
                                        ; implicit-def: $sgpr8
	s_branch .LBB135_1797
.LBB135_1787:
	s_and_not1_saveexec_b32 s12, s12
	s_cbranch_execz .LBB135_1771
.LBB135_1788:
	v_cmp_ne_u16_e32 vcc_lo, 0, v1
	s_and_not1_b32 s9, s9, exec_lo
	s_and_not1_b32 s8, s8, exec_lo
	s_and_b32 s13, vcc_lo, exec_lo
	s_delay_alu instid0(SALU_CYCLE_1)
	s_or_b32 s9, s9, s13
	s_or_b32 exec_lo, exec_lo, s12
	s_and_saveexec_b32 s12, s9
	s_cbranch_execnz .LBB135_1772
	s_branch .LBB135_1773
.LBB135_1789:
	s_mov_b32 s2, -1
                                        ; implicit-def: $sgpr8
	s_branch .LBB135_1794
.LBB135_1790:
	s_mov_b32 s2, -1
                                        ; implicit-def: $sgpr8
.LBB135_1791:
	s_delay_alu instid0(SALU_CYCLE_1)
	s_and_b32 vcc_lo, exec_lo, s2
	s_cbranch_vccz .LBB135_1793
; %bb.1792:
	global_load_u8 v1, v[2:3], off
	s_and_not1_b32 s8, s8, exec_lo
	s_waitcnt vmcnt(0)
	v_lshlrev_b32_e32 v1, 24, v1
	s_delay_alu instid0(VALU_DEP_1) | instskip(NEXT) | instid1(VALU_DEP_1)
	v_and_b32_e32 v1, 0x7f000000, v1
	v_clz_i32_u32_e32 v6, v1
	v_add_nc_u32_e32 v8, 0x1000000, v1
	v_cmp_ne_u32_e32 vcc_lo, 0, v1
	s_delay_alu instid0(VALU_DEP_3) | instskip(NEXT) | instid1(VALU_DEP_3)
	v_min_u32_e32 v6, 32, v6
	v_ashrrev_i32_e32 v8, 8, v8
	s_delay_alu instid0(VALU_DEP_2) | instskip(NEXT) | instid1(VALU_DEP_1)
	v_sub_nc_u32_e64 v6, v6, 4 clamp
	v_lshlrev_b32_e32 v7, v6, v1
	v_lshlrev_b32_e32 v6, 23, v6
	s_delay_alu instid0(VALU_DEP_2) | instskip(NEXT) | instid1(VALU_DEP_1)
	v_lshrrev_b32_e32 v7, 4, v7
	v_sub_nc_u32_e32 v6, v7, v6
	v_and_b32_e32 v7, 0x7f800000, v8
	s_delay_alu instid0(VALU_DEP_2) | instskip(NEXT) | instid1(VALU_DEP_1)
	v_add_nc_u32_e32 v6, 0x3c000000, v6
	v_and_or_b32 v6, 0x7ff00000, v6, v7
	s_delay_alu instid0(VALU_DEP_1) | instskip(NEXT) | instid1(VALU_DEP_1)
	v_cmp_ne_u32_e64 s2, 0, v6
	s_and_b32 s2, vcc_lo, s2
	s_delay_alu instid0(SALU_CYCLE_1) | instskip(NEXT) | instid1(SALU_CYCLE_1)
	s_and_b32 s2, s2, exec_lo
	s_or_b32 s8, s8, s2
.LBB135_1793:
	s_mov_b32 s2, 0
.LBB135_1794:
	s_delay_alu instid0(SALU_CYCLE_1)
	s_and_not1_b32 vcc_lo, exec_lo, s2
	s_cbranch_vccnz .LBB135_1796
; %bb.1795:
	global_load_u8 v1, v[2:3], off
	s_and_not1_b32 s2, s8, exec_lo
	s_waitcnt vmcnt(0)
	v_lshlrev_b32_e32 v6, 25, v1
	v_lshlrev_b32_e32 v1, 8, v1
	s_delay_alu instid0(VALU_DEP_2) | instskip(NEXT) | instid1(VALU_DEP_2)
	v_lshrrev_b32_e32 v7, 4, v6
	v_and_or_b32 v1, 0x7f00, v1, 0.5
	s_delay_alu instid0(VALU_DEP_2) | instskip(NEXT) | instid1(VALU_DEP_2)
	v_or_b32_e32 v7, 0x70000000, v7
	v_add_f32_e32 v1, -0.5, v1
	s_delay_alu instid0(VALU_DEP_2) | instskip(SKIP_1) | instid1(VALU_DEP_2)
	v_mul_f32_e32 v7, 0x7800000, v7
	v_cmp_gt_u32_e32 vcc_lo, 0x8000000, v6
	v_cndmask_b32_e32 v1, v7, v1, vcc_lo
	s_delay_alu instid0(VALU_DEP_1) | instskip(SKIP_1) | instid1(SALU_CYCLE_1)
	v_cmp_neq_f32_e32 vcc_lo, 0, v1
	s_and_b32 s8, vcc_lo, exec_lo
	s_or_b32 s8, s2, s8
.LBB135_1796:
	s_mov_b32 s2, 0
	s_mov_b32 s9, -1
.LBB135_1797:
	s_and_not1_b32 vcc_lo, exec_lo, s2
	s_mov_b32 s2, 0
	s_cbranch_vccnz .LBB135_1335
; %bb.1798:
	v_cmp_lt_i16_e32 vcc_lo, 14, v4
	s_cbranch_vccz .LBB135_1801
; %bb.1799:
	v_cmp_eq_u16_e32 vcc_lo, 15, v4
	s_cbranch_vccz .LBB135_1804
; %bb.1800:
	global_load_u16 v1, v[2:3], off
	s_mov_b32 s7, 0
	s_mov_b32 s9, -1
	s_waitcnt vmcnt(0)
	v_and_b32_e32 v1, 0x7fff, v1
	s_delay_alu instid0(VALU_DEP_1)
	v_cmp_ne_u16_e32 vcc_lo, 0, v1
	s_and_b32 s8, vcc_lo, exec_lo
	s_branch .LBB135_1806
.LBB135_1801:
	s_mov_b32 s2, -1
	s_branch .LBB135_1805
.LBB135_1802:
	s_and_not1_saveexec_b32 s9, s9
	s_cbranch_execz .LBB135_1783
.LBB135_1803:
	v_cmp_ne_u16_e32 vcc_lo, 0, v1
	s_and_not1_b32 s2, s2, exec_lo
	s_and_not1_b32 s8, s8, exec_lo
	s_and_b32 s12, vcc_lo, exec_lo
	s_delay_alu instid0(SALU_CYCLE_1)
	s_or_b32 s2, s2, s12
	s_or_b32 exec_lo, exec_lo, s9
	s_and_saveexec_b32 s9, s2
	s_cbranch_execnz .LBB135_1784
	s_branch .LBB135_1785
.LBB135_1804:
	s_mov_b32 s7, -1
.LBB135_1805:
                                        ; implicit-def: $sgpr8
.LBB135_1806:
	s_and_b32 vcc_lo, exec_lo, s2
	s_mov_b32 s2, 0
	s_cbranch_vccz .LBB135_1335
; %bb.1807:
	v_cmp_ne_u16_e32 vcc_lo, 11, v4
	s_and_not1_b32 s7, s7, exec_lo
	s_mov_b32 s2, -1
	s_and_not1_b32 s8, s8, exec_lo
	s_and_b32 s12, vcc_lo, exec_lo
	s_delay_alu instid0(SALU_CYCLE_1)
	s_or_b32 s7, s7, s12
	s_branch .LBB135_1335
.LBB135_1808:
	s_mov_b32 s11, -1
.LBB135_1809:
                                        ; implicit-def: $sgpr10
.LBB135_1810:
	s_and_b32 vcc_lo, exec_lo, s13
	s_cbranch_vccz .LBB135_1812
; %bb.1811:
	v_cmp_ne_u16_e64 s11, 44, v12
	s_mov_b32 s12, -1
	s_or_b32 s10, s10, exec_lo
.LBB135_1812:
	s_mov_b32 s13, 0
.LBB135_1813:
	s_delay_alu instid0(SALU_CYCLE_1)
	s_and_b32 vcc_lo, exec_lo, s13
	s_cbranch_vccz .LBB135_1817
; %bb.1814:
	v_cmp_eq_u16_e32 vcc_lo, 29, v12
	s_cbranch_vccz .LBB135_1816
; %bb.1815:
	global_load_b64 v[15:16], v[10:11], off
	s_mov_b32 s11, 0
	s_mov_b32 s12, -1
	s_mov_b32 s13, 0
	s_waitcnt vmcnt(0)
	v_cmp_ne_u64_e32 vcc_lo, 0, v[15:16]
	s_and_b32 s10, vcc_lo, exec_lo
	s_branch .LBB135_1818
.LBB135_1816:
	s_mov_b32 s11, -1
                                        ; implicit-def: $sgpr10
.LBB135_1817:
	s_mov_b32 s13, 0
.LBB135_1818:
	s_delay_alu instid0(SALU_CYCLE_1)
	s_and_b32 vcc_lo, exec_lo, s13
	s_cbranch_vccz .LBB135_1836
; %bb.1819:
	v_cmp_gt_i16_e32 vcc_lo, 27, v12
	s_cbranch_vccnz .LBB135_1822
; %bb.1820:
	v_cmp_lt_i16_e32 vcc_lo, 27, v12
	s_cbranch_vccz .LBB135_1823
; %bb.1821:
	global_load_b32 v15, v[10:11], off
	s_mov_b32 s12, 0
	s_waitcnt vmcnt(0)
	v_cmp_ne_u32_e32 vcc_lo, 0, v15
	s_and_b32 s10, vcc_lo, exec_lo
	s_branch .LBB135_1824
.LBB135_1822:
	s_mov_b32 s12, -1
                                        ; implicit-def: $sgpr10
	s_branch .LBB135_1827
.LBB135_1823:
	s_mov_b32 s12, -1
                                        ; implicit-def: $sgpr10
.LBB135_1824:
	s_delay_alu instid0(SALU_CYCLE_1)
	s_and_not1_b32 vcc_lo, exec_lo, s12
	s_cbranch_vccnz .LBB135_1826
; %bb.1825:
	global_load_u16 v15, v[10:11], off
	s_and_not1_b32 s10, s10, exec_lo
	s_waitcnt vmcnt(0)
	v_cmp_ne_u16_e32 vcc_lo, 0, v15
	s_and_b32 s12, vcc_lo, exec_lo
	s_delay_alu instid0(SALU_CYCLE_1)
	s_or_b32 s10, s10, s12
.LBB135_1826:
	s_mov_b32 s12, 0
.LBB135_1827:
	s_delay_alu instid0(SALU_CYCLE_1)
	s_and_not1_b32 vcc_lo, exec_lo, s12
	s_cbranch_vccnz .LBB135_1835
; %bb.1828:
	global_load_u8 v15, v[10:11], off
	s_mov_b32 s12, 0
	s_mov_b32 s13, exec_lo
                                        ; implicit-def: $sgpr10
	s_waitcnt vmcnt(0)
	v_cmpx_lt_i16_e32 0x7f, v15
	s_xor_b32 s13, exec_lo, s13
	s_cbranch_execz .LBB135_1848
; %bb.1829:
	s_mov_b32 s12, -1
	s_mov_b32 s14, exec_lo
                                        ; implicit-def: $sgpr10
	v_cmpx_eq_u16_e32 0x80, v15
; %bb.1830:
	s_mov_b32 s10, -1
	s_xor_b32 s12, exec_lo, -1
; %bb.1831:
	s_or_b32 exec_lo, exec_lo, s14
	s_delay_alu instid0(SALU_CYCLE_1)
	s_and_b32 s12, s12, exec_lo
	s_and_not1_saveexec_b32 s13, s13
	s_cbranch_execnz .LBB135_1849
.LBB135_1832:
	s_or_b32 exec_lo, exec_lo, s13
	s_and_saveexec_b32 s13, s12
	s_cbranch_execz .LBB135_1834
.LBB135_1833:
	v_and_b32_e32 v15, 0xffff, v15
	s_and_not1_b32 s10, s10, exec_lo
	s_delay_alu instid0(VALU_DEP_1) | instskip(NEXT) | instid1(VALU_DEP_1)
	v_and_b32_e32 v16, 7, v15
	v_clz_i32_u32_e32 v17, v16
	s_delay_alu instid0(VALU_DEP_1) | instskip(NEXT) | instid1(VALU_DEP_1)
	v_min_u32_e32 v17, 32, v17
	v_subrev_nc_u32_e32 v18, 28, v17
	v_sub_nc_u32_e32 v17, 29, v17
	s_delay_alu instid0(VALU_DEP_2) | instskip(SKIP_1) | instid1(VALU_DEP_2)
	v_lshlrev_b32_e32 v18, v18, v15
	v_bfe_u32 v15, v15, 3, 4
	v_and_b32_e32 v18, 7, v18
	s_delay_alu instid0(VALU_DEP_2) | instskip(NEXT) | instid1(VALU_DEP_2)
	v_cmp_eq_u32_e32 vcc_lo, 0, v15
	v_dual_cndmask_b32 v15, v15, v17 :: v_dual_cndmask_b32 v16, v16, v18
	s_delay_alu instid0(VALU_DEP_1) | instskip(NEXT) | instid1(VALU_DEP_2)
	v_lshl_add_u32 v15, v15, 23, 0x3b800000
	v_lshlrev_b32_e32 v16, 20, v16
	s_delay_alu instid0(VALU_DEP_1) | instskip(NEXT) | instid1(VALU_DEP_1)
	v_and_or_b32 v15, 0x7f800000, v15, v16
	v_cmp_ne_u32_e32 vcc_lo, 0, v15
	s_and_b32 s12, vcc_lo, exec_lo
	s_delay_alu instid0(SALU_CYCLE_1)
	s_or_b32 s10, s10, s12
.LBB135_1834:
	s_or_b32 exec_lo, exec_lo, s13
.LBB135_1835:
	s_mov_b32 s12, -1
.LBB135_1836:
	s_branch .LBB135_1869
.LBB135_1837:
	v_cmp_lt_i16_e32 vcc_lo, 22, v12
	s_cbranch_vccz .LBB135_1847
; %bb.1838:
	v_cmp_gt_i16_e32 vcc_lo, 24, v12
	s_cbranch_vccnz .LBB135_1850
; %bb.1839:
	v_cmp_lt_i16_e32 vcc_lo, 24, v12
	s_cbranch_vccz .LBB135_1851
; %bb.1840:
	global_load_u8 v15, v[10:11], off
	s_mov_b32 s12, exec_lo
                                        ; implicit-def: $sgpr10
	s_waitcnt vmcnt(0)
	v_cmpx_lt_i16_e32 0x7f, v15
	s_xor_b32 s12, exec_lo, s12
	s_cbranch_execz .LBB135_1863
; %bb.1841:
	s_mov_b32 s0, -1
	s_mov_b32 s13, exec_lo
                                        ; implicit-def: $sgpr10
	v_cmpx_eq_u16_e32 0x80, v15
; %bb.1842:
	s_mov_b32 s10, -1
	s_xor_b32 s0, exec_lo, -1
; %bb.1843:
	s_or_b32 exec_lo, exec_lo, s13
	s_delay_alu instid0(SALU_CYCLE_1)
	s_and_b32 s0, s0, exec_lo
	s_and_not1_saveexec_b32 s12, s12
	s_cbranch_execnz .LBB135_1864
.LBB135_1844:
	s_or_b32 exec_lo, exec_lo, s12
	s_and_saveexec_b32 s12, s0
	s_cbranch_execz .LBB135_1846
.LBB135_1845:
	v_and_b32_e32 v15, 0xffff, v15
	s_and_not1_b32 s0, s10, exec_lo
	s_delay_alu instid0(VALU_DEP_1) | instskip(NEXT) | instid1(VALU_DEP_1)
	v_and_b32_e32 v16, 3, v15
	v_clz_i32_u32_e32 v17, v16
	s_delay_alu instid0(VALU_DEP_1) | instskip(NEXT) | instid1(VALU_DEP_1)
	v_min_u32_e32 v17, 32, v17
	v_subrev_nc_u32_e32 v18, 29, v17
	v_sub_nc_u32_e32 v17, 30, v17
	s_delay_alu instid0(VALU_DEP_2) | instskip(SKIP_1) | instid1(VALU_DEP_2)
	v_lshlrev_b32_e32 v18, v18, v15
	v_bfe_u32 v15, v15, 2, 5
	v_and_b32_e32 v18, 3, v18
	s_delay_alu instid0(VALU_DEP_2) | instskip(NEXT) | instid1(VALU_DEP_2)
	v_cmp_eq_u32_e32 vcc_lo, 0, v15
	v_dual_cndmask_b32 v15, v15, v17 :: v_dual_cndmask_b32 v16, v16, v18
	s_delay_alu instid0(VALU_DEP_1) | instskip(NEXT) | instid1(VALU_DEP_2)
	v_lshl_add_u32 v15, v15, 23, 0x37800000
	v_lshlrev_b32_e32 v16, 21, v16
	s_delay_alu instid0(VALU_DEP_1) | instskip(NEXT) | instid1(VALU_DEP_1)
	v_and_or_b32 v15, 0x7f800000, v15, v16
	v_cmp_ne_u32_e32 vcc_lo, 0, v15
	s_and_b32 s10, vcc_lo, exec_lo
	s_delay_alu instid0(SALU_CYCLE_1)
	s_or_b32 s10, s0, s10
.LBB135_1846:
	s_or_b32 exec_lo, exec_lo, s12
	s_mov_b32 s0, 0
	s_branch .LBB135_1852
.LBB135_1847:
	s_mov_b32 s0, -1
                                        ; implicit-def: $sgpr10
	s_branch .LBB135_1858
.LBB135_1848:
	s_and_not1_saveexec_b32 s13, s13
	s_cbranch_execz .LBB135_1832
.LBB135_1849:
	v_cmp_ne_u16_e32 vcc_lo, 0, v15
	s_and_not1_b32 s12, s12, exec_lo
	s_and_not1_b32 s10, s10, exec_lo
	s_and_b32 s14, vcc_lo, exec_lo
	s_delay_alu instid0(SALU_CYCLE_1)
	s_or_b32 s12, s12, s14
	s_or_b32 exec_lo, exec_lo, s13
	s_and_saveexec_b32 s13, s12
	s_cbranch_execnz .LBB135_1833
	s_branch .LBB135_1834
.LBB135_1850:
	s_mov_b32 s0, -1
                                        ; implicit-def: $sgpr10
	s_branch .LBB135_1855
.LBB135_1851:
	s_mov_b32 s0, -1
                                        ; implicit-def: $sgpr10
.LBB135_1852:
	s_delay_alu instid0(SALU_CYCLE_1)
	s_and_b32 vcc_lo, exec_lo, s0
	s_cbranch_vccz .LBB135_1854
; %bb.1853:
	global_load_u8 v15, v[10:11], off
	s_and_not1_b32 s10, s10, exec_lo
	s_waitcnt vmcnt(0)
	v_lshlrev_b32_e32 v15, 24, v15
	s_delay_alu instid0(VALU_DEP_1) | instskip(NEXT) | instid1(VALU_DEP_1)
	v_and_b32_e32 v15, 0x7f000000, v15
	v_clz_i32_u32_e32 v16, v15
	v_add_nc_u32_e32 v18, 0x1000000, v15
	v_cmp_ne_u32_e32 vcc_lo, 0, v15
	s_delay_alu instid0(VALU_DEP_3) | instskip(NEXT) | instid1(VALU_DEP_3)
	v_min_u32_e32 v16, 32, v16
	v_ashrrev_i32_e32 v18, 8, v18
	s_delay_alu instid0(VALU_DEP_2) | instskip(NEXT) | instid1(VALU_DEP_1)
	v_sub_nc_u32_e64 v16, v16, 4 clamp
	v_lshlrev_b32_e32 v17, v16, v15
	v_lshlrev_b32_e32 v16, 23, v16
	s_delay_alu instid0(VALU_DEP_2) | instskip(NEXT) | instid1(VALU_DEP_1)
	v_lshrrev_b32_e32 v17, 4, v17
	v_sub_nc_u32_e32 v16, v17, v16
	v_and_b32_e32 v17, 0x7f800000, v18
	s_delay_alu instid0(VALU_DEP_2) | instskip(NEXT) | instid1(VALU_DEP_1)
	v_add_nc_u32_e32 v16, 0x3c000000, v16
	v_and_or_b32 v16, 0x7ff00000, v16, v17
	s_delay_alu instid0(VALU_DEP_1) | instskip(NEXT) | instid1(VALU_DEP_1)
	v_cmp_ne_u32_e64 s0, 0, v16
	s_and_b32 s0, vcc_lo, s0
	s_delay_alu instid0(SALU_CYCLE_1) | instskip(NEXT) | instid1(SALU_CYCLE_1)
	s_and_b32 s0, s0, exec_lo
	s_or_b32 s10, s10, s0
.LBB135_1854:
	s_mov_b32 s0, 0
.LBB135_1855:
	s_delay_alu instid0(SALU_CYCLE_1)
	s_and_not1_b32 vcc_lo, exec_lo, s0
	s_cbranch_vccnz .LBB135_1857
; %bb.1856:
	global_load_u8 v15, v[10:11], off
	s_and_not1_b32 s0, s10, exec_lo
	s_waitcnt vmcnt(0)
	v_lshlrev_b32_e32 v16, 25, v15
	v_lshlrev_b32_e32 v15, 8, v15
	s_delay_alu instid0(VALU_DEP_2) | instskip(NEXT) | instid1(VALU_DEP_2)
	v_lshrrev_b32_e32 v17, 4, v16
	v_and_or_b32 v15, 0x7f00, v15, 0.5
	s_delay_alu instid0(VALU_DEP_2) | instskip(NEXT) | instid1(VALU_DEP_2)
	v_or_b32_e32 v17, 0x70000000, v17
	v_add_f32_e32 v15, -0.5, v15
	s_delay_alu instid0(VALU_DEP_2) | instskip(SKIP_1) | instid1(VALU_DEP_2)
	v_mul_f32_e32 v17, 0x7800000, v17
	v_cmp_gt_u32_e32 vcc_lo, 0x8000000, v16
	v_cndmask_b32_e32 v15, v17, v15, vcc_lo
	s_delay_alu instid0(VALU_DEP_1) | instskip(SKIP_1) | instid1(SALU_CYCLE_1)
	v_cmp_neq_f32_e32 vcc_lo, 0, v15
	s_and_b32 s10, vcc_lo, exec_lo
	s_or_b32 s10, s0, s10
.LBB135_1857:
	s_mov_b32 s0, 0
	s_mov_b32 s12, -1
.LBB135_1858:
	s_and_not1_b32 vcc_lo, exec_lo, s0
	s_mov_b32 s0, 0
	s_cbranch_vccnz .LBB135_1869
; %bb.1859:
	v_cmp_lt_i16_e32 vcc_lo, 14, v12
	s_cbranch_vccz .LBB135_1862
; %bb.1860:
	v_cmp_eq_u16_e32 vcc_lo, 15, v12
	s_cbranch_vccz .LBB135_1865
; %bb.1861:
	global_load_u16 v15, v[10:11], off
	s_mov_b32 s11, 0
	s_mov_b32 s12, -1
	s_waitcnt vmcnt(0)
	v_and_b32_e32 v15, 0x7fff, v15
	s_delay_alu instid0(VALU_DEP_1)
	v_cmp_ne_u16_e32 vcc_lo, 0, v15
	s_and_b32 s10, vcc_lo, exec_lo
	s_branch .LBB135_1867
.LBB135_1862:
	s_mov_b32 s0, -1
	s_branch .LBB135_1866
.LBB135_1863:
	s_and_not1_saveexec_b32 s12, s12
	s_cbranch_execz .LBB135_1844
.LBB135_1864:
	v_cmp_ne_u16_e32 vcc_lo, 0, v15
	s_and_not1_b32 s0, s0, exec_lo
	s_and_not1_b32 s10, s10, exec_lo
	s_and_b32 s13, vcc_lo, exec_lo
	s_delay_alu instid0(SALU_CYCLE_1)
	s_or_b32 s0, s0, s13
	s_or_b32 exec_lo, exec_lo, s12
	s_and_saveexec_b32 s12, s0
	s_cbranch_execnz .LBB135_1845
	s_branch .LBB135_1846
.LBB135_1865:
	s_mov_b32 s11, -1
.LBB135_1866:
                                        ; implicit-def: $sgpr10
.LBB135_1867:
	s_and_b32 vcc_lo, exec_lo, s0
	s_mov_b32 s0, 0
	s_cbranch_vccz .LBB135_1869
; %bb.1868:
	v_cmp_ne_u16_e64 s11, 11, v12
	s_mov_b32 s0, -1
	s_and_not1_b32 s10, s10, exec_lo
.LBB135_1869:
	s_delay_alu instid0(VALU_DEP_1)
	s_and_b32 vcc_lo, exec_lo, s11
	s_cbranch_vccnz .LBB135_1893
; %bb.1870:
	s_and_not1_b32 vcc_lo, exec_lo, s0
	s_cbranch_vccnz .LBB135_1872
.LBB135_1871:
	global_load_u8 v15, v[10:11], off
	s_and_not1_b32 s0, s10, exec_lo
	s_mov_b32 s12, -1
	s_waitcnt vmcnt(0)
	v_cmp_ne_u16_e32 vcc_lo, 0, v15
	s_and_b32 s10, vcc_lo, exec_lo
	s_delay_alu instid0(SALU_CYCLE_1)
	s_or_b32 s10, s0, s10
.LBB135_1872:
.LBB135_1873:
	s_and_not1_b32 vcc_lo, exec_lo, s12
	s_cbranch_vccnz .LBB135_3064
.LBB135_1874:
	v_cmp_gt_i16_e32 vcc_lo, 11, v14
	v_add_co_u32 v9, s0, s6, v9
	s_delay_alu instid0(VALU_DEP_1)
	v_add_co_ci_u32_e64 v10, null, s7, 0, s0
	s_mov_b32 s12, 0
	s_cbranch_vccnz .LBB135_1881
; %bb.1875:
	v_cmp_lt_i16_e32 vcc_lo, 25, v14
	s_mov_b32 s11, 0
	s_cbranch_vccz .LBB135_1887
; %bb.1876:
	v_cmp_lt_i16_e32 vcc_lo, 28, v14
	s_cbranch_vccz .LBB135_1889
; %bb.1877:
	v_cmp_lt_i16_e32 vcc_lo, 43, v14
	;; [unrolled: 3-line block ×3, first 2 shown]
	s_cbranch_vccz .LBB135_1897
; %bb.1879:
	v_cmp_eq_u16_e32 vcc_lo, 46, v14
	s_mov_b32 s13, 0
	s_cbranch_vccz .LBB135_1940
; %bb.1880:
	global_load_b32 v11, v[9:10], off
	s_mov_b32 s0, 0
	s_mov_b32 s12, -1
	s_waitcnt vmcnt(0)
	v_lshlrev_b32_e32 v11, 16, v11
	s_delay_alu instid0(VALU_DEP_1)
	v_cvt_f16_f32_e32 v11, v11
	s_branch .LBB135_1942
.LBB135_1881:
                                        ; implicit-def: $vgpr11
	s_cbranch_execz .LBB135_2008
; %bb.1882:
	v_cmp_gt_i16_e32 vcc_lo, 5, v14
	s_cbranch_vccnz .LBB135_1888
; %bb.1883:
	v_cmp_gt_i16_e32 vcc_lo, 8, v14
	s_cbranch_vccnz .LBB135_1890
	;; [unrolled: 3-line block ×3, first 2 shown]
; %bb.1885:
	v_cmp_lt_i16_e32 vcc_lo, 9, v14
	s_cbranch_vccz .LBB135_1898
; %bb.1886:
	global_load_b64 v[15:16], v[9:10], off
	s_mov_b32 s0, 0
	s_waitcnt vmcnt(0)
	v_cvt_f32_f64_e32 v11, v[15:16]
	s_delay_alu instid0(VALU_DEP_1)
	v_cvt_f16_f32_e32 v11, v11
	s_branch .LBB135_1899
.LBB135_1887:
	s_mov_b32 s13, -1
	s_mov_b32 s0, 0
                                        ; implicit-def: $vgpr11
	s_branch .LBB135_1971
.LBB135_1888:
	s_mov_b32 s0, -1
                                        ; implicit-def: $vgpr11
	s_branch .LBB135_1917
.LBB135_1889:
	s_mov_b32 s13, -1
	s_mov_b32 s0, 0
                                        ; implicit-def: $vgpr11
	s_branch .LBB135_1952
.LBB135_1890:
	s_mov_b32 s0, -1
                                        ; implicit-def: $vgpr11
	s_branch .LBB135_1905
.LBB135_1891:
	s_mov_b32 s13, -1
	s_mov_b32 s0, 0
                                        ; implicit-def: $vgpr11
	s_branch .LBB135_1947
.LBB135_1892:
	s_mov_b32 s0, -1
                                        ; implicit-def: $vgpr11
	s_branch .LBB135_1902
.LBB135_1893:
	s_cbranch_execnz .LBB135_1938
; %bb.1894:
	s_mov_b32 s12, 0
	s_and_not1_b32 s10, s10, exec_lo
	s_or_b32 s1, s1, exec_lo
	s_cbranch_execz .LBB135_1871
	s_branch .LBB135_1872
.LBB135_1895:
	s_or_saveexec_b32 s8, s8
                                        ; implicit-def: $sgpr9
	s_delay_alu instid0(SALU_CYCLE_1)
	s_xor_b32 exec_lo, exec_lo, s8
	s_cbranch_execz .LBB135_1432
.LBB135_1896:
	v_add_f32_e64 v5, 0x42800000, |v0|
	s_and_not1_b32 s7, s7, exec_lo
	s_mov_b32 s9, 0
	s_delay_alu instid0(VALU_DEP_1) | instskip(NEXT) | instid1(VALU_DEP_1)
	v_and_b32_e32 v5, 0xff, v5
	v_cmp_ne_u32_e32 vcc_lo, 0, v5
	s_and_b32 s10, vcc_lo, exec_lo
	s_delay_alu instid0(SALU_CYCLE_1)
	s_or_b32 s7, s7, s10
	s_or_b32 exec_lo, exec_lo, s8
	v_mov_b32_e32 v6, s9
	s_and_saveexec_b32 s8, s7
	s_cbranch_execnz .LBB135_1433
	s_branch .LBB135_1434
.LBB135_1897:
	s_mov_b32 s13, -1
	s_mov_b32 s0, 0
	s_branch .LBB135_1941
.LBB135_1898:
	s_mov_b32 s0, -1
                                        ; implicit-def: $vgpr11
.LBB135_1899:
	s_delay_alu instid0(SALU_CYCLE_1)
	s_and_not1_b32 vcc_lo, exec_lo, s0
	s_cbranch_vccnz .LBB135_1901
; %bb.1900:
	global_load_b32 v11, v[9:10], off
	s_waitcnt vmcnt(0)
	v_cvt_f16_f32_e32 v11, v11
.LBB135_1901:
	s_mov_b32 s0, 0
.LBB135_1902:
	s_delay_alu instid0(SALU_CYCLE_1)
	s_and_not1_b32 vcc_lo, exec_lo, s0
	s_cbranch_vccnz .LBB135_1904
; %bb.1903:
	global_load_b32 v11, v[9:10], off
.LBB135_1904:
	s_mov_b32 s0, 0
.LBB135_1905:
	s_delay_alu instid0(SALU_CYCLE_1)
	s_and_not1_b32 vcc_lo, exec_lo, s0
	s_cbranch_vccnz .LBB135_1916
; %bb.1906:
	v_cmp_gt_i16_e32 vcc_lo, 6, v14
	s_cbranch_vccnz .LBB135_1909
; %bb.1907:
	v_cmp_lt_i16_e32 vcc_lo, 6, v14
	s_cbranch_vccz .LBB135_1910
; %bb.1908:
	global_load_b64 v[15:16], v[9:10], off
	s_mov_b32 s0, 0
	s_waitcnt vmcnt(0)
	v_cvt_f32_f64_e32 v11, v[15:16]
	s_delay_alu instid0(VALU_DEP_1)
	v_cvt_f16_f32_e32 v11, v11
	s_branch .LBB135_1911
.LBB135_1909:
	s_mov_b32 s0, -1
                                        ; implicit-def: $vgpr11
	s_branch .LBB135_1914
.LBB135_1910:
	s_mov_b32 s0, -1
                                        ; implicit-def: $vgpr11
.LBB135_1911:
	s_delay_alu instid0(SALU_CYCLE_1)
	s_and_not1_b32 vcc_lo, exec_lo, s0
	s_cbranch_vccnz .LBB135_1913
; %bb.1912:
	global_load_b32 v11, v[9:10], off
	s_waitcnt vmcnt(0)
	v_cvt_f16_f32_e32 v11, v11
.LBB135_1913:
	s_mov_b32 s0, 0
.LBB135_1914:
	s_delay_alu instid0(SALU_CYCLE_1)
	s_and_not1_b32 vcc_lo, exec_lo, s0
	s_cbranch_vccnz .LBB135_1916
; %bb.1915:
	global_load_u16 v11, v[9:10], off
.LBB135_1916:
	s_mov_b32 s0, 0
.LBB135_1917:
	s_delay_alu instid0(SALU_CYCLE_1)
	s_and_not1_b32 vcc_lo, exec_lo, s0
	s_cbranch_vccnz .LBB135_1937
; %bb.1918:
	v_cmp_gt_i16_e32 vcc_lo, 2, v14
	s_cbranch_vccnz .LBB135_1922
; %bb.1919:
	v_cmp_gt_i16_e32 vcc_lo, 3, v14
	s_cbranch_vccnz .LBB135_1923
; %bb.1920:
	v_cmp_lt_i16_e32 vcc_lo, 3, v14
	s_cbranch_vccz .LBB135_1924
; %bb.1921:
	global_load_b64 v[15:16], v[9:10], off
	s_mov_b32 s0, 0
	s_waitcnt vmcnt(0)
	v_xor_b32_e32 v11, v15, v16
	v_cls_i32_e32 v17, v16
	s_delay_alu instid0(VALU_DEP_2) | instskip(NEXT) | instid1(VALU_DEP_2)
	v_ashrrev_i32_e32 v11, 31, v11
	v_add_nc_u32_e32 v17, -1, v17
	s_delay_alu instid0(VALU_DEP_2) | instskip(NEXT) | instid1(VALU_DEP_1)
	v_add_nc_u32_e32 v11, 32, v11
	v_min_u32_e32 v11, v17, v11
	s_delay_alu instid0(VALU_DEP_1) | instskip(SKIP_1) | instid1(VALU_DEP_2)
	v_lshlrev_b64 v[15:16], v11, v[15:16]
	v_sub_nc_u32_e32 v11, 32, v11
	v_min_u32_e32 v15, 1, v15
	s_delay_alu instid0(VALU_DEP_1) | instskip(NEXT) | instid1(VALU_DEP_1)
	v_or_b32_e32 v15, v16, v15
	v_cvt_f32_i32_e32 v15, v15
	s_delay_alu instid0(VALU_DEP_1) | instskip(NEXT) | instid1(VALU_DEP_1)
	v_ldexp_f32 v11, v15, v11
	v_cvt_f16_f32_e32 v11, v11
	s_branch .LBB135_1925
.LBB135_1922:
	s_mov_b32 s0, -1
                                        ; implicit-def: $vgpr11
	s_branch .LBB135_1931
.LBB135_1923:
	s_mov_b32 s0, -1
                                        ; implicit-def: $vgpr11
	s_branch .LBB135_1928
.LBB135_1924:
	s_mov_b32 s0, -1
                                        ; implicit-def: $vgpr11
.LBB135_1925:
	s_delay_alu instid0(SALU_CYCLE_1)
	s_and_not1_b32 vcc_lo, exec_lo, s0
	s_cbranch_vccnz .LBB135_1927
; %bb.1926:
	global_load_b32 v11, v[9:10], off
	s_waitcnt vmcnt(0)
	v_cvt_f32_i32_e32 v11, v11
	s_delay_alu instid0(VALU_DEP_1)
	v_cvt_f16_f32_e32 v11, v11
.LBB135_1927:
	s_mov_b32 s0, 0
.LBB135_1928:
	s_delay_alu instid0(SALU_CYCLE_1)
	s_and_not1_b32 vcc_lo, exec_lo, s0
	s_cbranch_vccnz .LBB135_1930
; %bb.1929:
	global_load_u16 v11, v[9:10], off
	s_waitcnt vmcnt(0)
	v_cvt_f16_i16_e32 v11, v11
.LBB135_1930:
	s_mov_b32 s0, 0
.LBB135_1931:
	s_delay_alu instid0(SALU_CYCLE_1)
	s_and_not1_b32 vcc_lo, exec_lo, s0
	s_cbranch_vccnz .LBB135_1937
; %bb.1932:
	v_cmp_lt_i16_e32 vcc_lo, 0, v14
	s_mov_b32 s0, 0
	s_cbranch_vccz .LBB135_1934
; %bb.1933:
	global_load_i8 v11, v[9:10], off
	s_waitcnt vmcnt(0)
	v_cvt_f16_i16_e32 v11, v11
	s_branch .LBB135_1935
.LBB135_1934:
	s_mov_b32 s0, -1
                                        ; implicit-def: $vgpr11
.LBB135_1935:
	s_delay_alu instid0(SALU_CYCLE_1)
	s_and_not1_b32 vcc_lo, exec_lo, s0
	s_cbranch_vccnz .LBB135_1937
; %bb.1936:
	global_load_u8 v9, v[9:10], off
	s_waitcnt vmcnt(0)
	v_cvt_f16_u16_e32 v11, v9
.LBB135_1937:
	s_branch .LBB135_2009
.LBB135_1938:
	s_trap 2
	s_sendmsg_rtn_b32 s0, sendmsg(MSG_RTN_GET_DOORBELL)
	s_mov_b32 ttmp2, m0
	s_waitcnt lgkmcnt(0)
	s_and_b32 s0, s0, 0x3ff
	s_delay_alu instid0(SALU_CYCLE_1) | instskip(NEXT) | instid1(SALU_CYCLE_1)
	s_bitset1_b32 s0, 10
	s_mov_b32 m0, s0
	s_sendmsg sendmsg(MSG_INTERRUPT)
	s_mov_b32 m0, ttmp2
.LBB135_1939:                           ; =>This Inner Loop Header: Depth=1
	s_sethalt 5
	s_branch .LBB135_1939
.LBB135_1940:
	s_mov_b32 s0, -1
.LBB135_1941:
                                        ; implicit-def: $vgpr11
.LBB135_1942:
	s_and_b32 vcc_lo, exec_lo, s13
	s_cbranch_vccz .LBB135_1946
; %bb.1943:
	v_cmp_eq_u16_e32 vcc_lo, 44, v14
	s_cbranch_vccz .LBB135_1945
; %bb.1944:
	global_load_u8 v11, v[9:10], off
	s_mov_b32 s0, 0
	s_mov_b32 s12, -1
	s_waitcnt vmcnt(0)
	v_lshlrev_b32_e32 v15, 23, v11
	v_cmp_ne_u32_e32 vcc_lo, 0xff, v11
	s_delay_alu instid0(VALU_DEP_2) | instskip(NEXT) | instid1(VALU_DEP_1)
	v_cvt_f16_f32_e32 v15, v15
	v_cndmask_b32_e32 v15, 0x7e00, v15, vcc_lo
	v_cmp_ne_u32_e32 vcc_lo, 0, v11
	s_delay_alu instid0(VALU_DEP_2)
	v_cndmask_b32_e32 v11, 0, v15, vcc_lo
	s_branch .LBB135_1946
.LBB135_1945:
	s_mov_b32 s0, -1
                                        ; implicit-def: $vgpr11
.LBB135_1946:
	s_mov_b32 s13, 0
.LBB135_1947:
	s_delay_alu instid0(SALU_CYCLE_1)
	s_and_b32 vcc_lo, exec_lo, s13
	s_cbranch_vccz .LBB135_1951
; %bb.1948:
	v_cmp_eq_u16_e32 vcc_lo, 29, v14
	s_cbranch_vccz .LBB135_1950
; %bb.1949:
	global_load_b64 v[15:16], v[9:10], off
	s_mov_b32 s0, 0
	s_mov_b32 s12, -1
	s_mov_b32 s13, 0
	s_waitcnt vmcnt(0)
	v_clz_i32_u32_e32 v11, v16
	s_delay_alu instid0(VALU_DEP_1) | instskip(NEXT) | instid1(VALU_DEP_1)
	v_min_u32_e32 v11, 32, v11
	v_lshlrev_b64 v[15:16], v11, v[15:16]
	v_sub_nc_u32_e32 v11, 32, v11
	s_delay_alu instid0(VALU_DEP_2) | instskip(NEXT) | instid1(VALU_DEP_1)
	v_min_u32_e32 v15, 1, v15
	v_or_b32_e32 v15, v16, v15
	s_delay_alu instid0(VALU_DEP_1) | instskip(NEXT) | instid1(VALU_DEP_1)
	v_cvt_f32_u32_e32 v15, v15
	v_ldexp_f32 v11, v15, v11
	s_delay_alu instid0(VALU_DEP_1)
	v_cvt_f16_f32_e32 v11, v11
	s_branch .LBB135_1952
.LBB135_1950:
	s_mov_b32 s0, -1
                                        ; implicit-def: $vgpr11
.LBB135_1951:
	s_mov_b32 s13, 0
.LBB135_1952:
	s_delay_alu instid0(SALU_CYCLE_1)
	s_and_b32 vcc_lo, exec_lo, s13
	s_cbranch_vccz .LBB135_1970
; %bb.1953:
	v_cmp_gt_i16_e32 vcc_lo, 27, v14
	s_cbranch_vccnz .LBB135_1956
; %bb.1954:
	v_cmp_lt_i16_e32 vcc_lo, 27, v14
	s_cbranch_vccz .LBB135_1957
; %bb.1955:
	global_load_b32 v11, v[9:10], off
	s_mov_b32 s12, 0
	s_waitcnt vmcnt(0)
	v_cvt_f32_u32_e32 v11, v11
	s_delay_alu instid0(VALU_DEP_1)
	v_cvt_f16_f32_e32 v11, v11
	s_branch .LBB135_1958
.LBB135_1956:
	s_mov_b32 s12, -1
                                        ; implicit-def: $vgpr11
	s_branch .LBB135_1961
.LBB135_1957:
	s_mov_b32 s12, -1
                                        ; implicit-def: $vgpr11
.LBB135_1958:
	s_delay_alu instid0(SALU_CYCLE_1)
	s_and_not1_b32 vcc_lo, exec_lo, s12
	s_cbranch_vccnz .LBB135_1960
; %bb.1959:
	global_load_u16 v11, v[9:10], off
	s_waitcnt vmcnt(0)
	v_cvt_f16_u16_e32 v11, v11
.LBB135_1960:
	s_mov_b32 s12, 0
.LBB135_1961:
	s_delay_alu instid0(SALU_CYCLE_1)
	s_and_not1_b32 vcc_lo, exec_lo, s12
	s_cbranch_vccnz .LBB135_1969
; %bb.1962:
	global_load_u8 v15, v[9:10], off
	s_mov_b32 s12, 0
	s_mov_b32 s14, exec_lo
                                        ; implicit-def: $sgpr13
	s_waitcnt vmcnt(0)
	v_cmpx_lt_i16_e32 0x7f, v15
	s_xor_b32 s14, exec_lo, s14
	s_cbranch_execz .LBB135_1983
; %bb.1963:
	s_mov_b32 s12, -1
	s_mov_b32 s15, exec_lo
                                        ; implicit-def: $sgpr13
	v_cmpx_eq_u16_e32 0x80, v15
; %bb.1964:
	s_movk_i32 s13, 0x7e00
	s_xor_b32 s12, exec_lo, -1
; %bb.1965:
	s_or_b32 exec_lo, exec_lo, s15
	s_delay_alu instid0(SALU_CYCLE_1)
	s_and_b32 s12, s12, exec_lo
	s_or_saveexec_b32 s14, s14
	v_mov_b32_e32 v11, s13
	s_xor_b32 exec_lo, exec_lo, s14
	s_cbranch_execnz .LBB135_1984
.LBB135_1966:
	s_or_b32 exec_lo, exec_lo, s14
	s_and_saveexec_b32 s13, s12
	s_cbranch_execz .LBB135_1968
.LBB135_1967:
	v_and_b32_e32 v11, 0xffff, v15
	v_lshlrev_b32_e32 v15, 24, v15
	s_delay_alu instid0(VALU_DEP_2) | instskip(NEXT) | instid1(VALU_DEP_2)
	v_and_b32_e32 v16, 7, v11
	v_and_b32_e32 v15, 0x80000000, v15
	s_delay_alu instid0(VALU_DEP_2) | instskip(NEXT) | instid1(VALU_DEP_1)
	v_clz_i32_u32_e32 v17, v16
	v_min_u32_e32 v17, 32, v17
	s_delay_alu instid0(VALU_DEP_1) | instskip(SKIP_1) | instid1(VALU_DEP_2)
	v_subrev_nc_u32_e32 v18, 28, v17
	v_sub_nc_u32_e32 v17, 29, v17
	v_lshlrev_b32_e32 v18, v18, v11
	v_bfe_u32 v11, v11, 3, 4
	s_delay_alu instid0(VALU_DEP_2) | instskip(NEXT) | instid1(VALU_DEP_2)
	v_and_b32_e32 v18, 7, v18
	v_cmp_eq_u32_e32 vcc_lo, 0, v11
	s_delay_alu instid0(VALU_DEP_2) | instskip(NEXT) | instid1(VALU_DEP_1)
	v_dual_cndmask_b32 v11, v11, v17 :: v_dual_cndmask_b32 v16, v16, v18
	v_lshl_add_u32 v11, v11, 23, 0x3b800000
	s_delay_alu instid0(VALU_DEP_2) | instskip(NEXT) | instid1(VALU_DEP_1)
	v_lshlrev_b32_e32 v16, 20, v16
	v_or3_b32 v11, v15, v11, v16
	s_delay_alu instid0(VALU_DEP_1)
	v_cvt_f16_f32_e32 v11, v11
.LBB135_1968:
	s_or_b32 exec_lo, exec_lo, s13
.LBB135_1969:
	s_mov_b32 s12, -1
.LBB135_1970:
	s_mov_b32 s13, 0
.LBB135_1971:
	s_delay_alu instid0(SALU_CYCLE_1)
	s_and_b32 vcc_lo, exec_lo, s13
	s_cbranch_vccz .LBB135_2004
; %bb.1972:
	v_cmp_lt_i16_e32 vcc_lo, 22, v14
	s_cbranch_vccz .LBB135_1982
; %bb.1973:
	v_cmp_gt_i16_e32 vcc_lo, 24, v14
	s_cbranch_vccnz .LBB135_1985
; %bb.1974:
	v_cmp_lt_i16_e32 vcc_lo, 24, v14
	s_cbranch_vccz .LBB135_1986
; %bb.1975:
	global_load_u8 v15, v[9:10], off
	s_mov_b32 s13, exec_lo
                                        ; implicit-def: $sgpr12
	s_waitcnt vmcnt(0)
	v_cmpx_lt_i16_e32 0x7f, v15
	s_xor_b32 s13, exec_lo, s13
	s_cbranch_execz .LBB135_1998
; %bb.1976:
	s_mov_b32 s11, -1
	s_mov_b32 s14, exec_lo
                                        ; implicit-def: $sgpr12
	v_cmpx_eq_u16_e32 0x80, v15
; %bb.1977:
	s_movk_i32 s12, 0x7e00
	s_xor_b32 s11, exec_lo, -1
; %bb.1978:
	s_or_b32 exec_lo, exec_lo, s14
	s_delay_alu instid0(SALU_CYCLE_1)
	s_and_b32 s11, s11, exec_lo
	s_or_saveexec_b32 s13, s13
	v_mov_b32_e32 v11, s12
	s_xor_b32 exec_lo, exec_lo, s13
	s_cbranch_execnz .LBB135_1999
.LBB135_1979:
	s_or_b32 exec_lo, exec_lo, s13
	s_and_saveexec_b32 s12, s11
	s_cbranch_execz .LBB135_1981
.LBB135_1980:
	v_and_b32_e32 v11, 0xffff, v15
	v_lshlrev_b32_e32 v15, 24, v15
	s_delay_alu instid0(VALU_DEP_2) | instskip(NEXT) | instid1(VALU_DEP_2)
	v_and_b32_e32 v16, 3, v11
	v_and_b32_e32 v15, 0x80000000, v15
	s_delay_alu instid0(VALU_DEP_2) | instskip(NEXT) | instid1(VALU_DEP_1)
	v_clz_i32_u32_e32 v17, v16
	v_min_u32_e32 v17, 32, v17
	s_delay_alu instid0(VALU_DEP_1) | instskip(SKIP_1) | instid1(VALU_DEP_2)
	v_subrev_nc_u32_e32 v18, 29, v17
	v_sub_nc_u32_e32 v17, 30, v17
	v_lshlrev_b32_e32 v18, v18, v11
	v_bfe_u32 v11, v11, 2, 5
	s_delay_alu instid0(VALU_DEP_2) | instskip(NEXT) | instid1(VALU_DEP_2)
	v_and_b32_e32 v18, 3, v18
	v_cmp_eq_u32_e32 vcc_lo, 0, v11
	s_delay_alu instid0(VALU_DEP_2) | instskip(NEXT) | instid1(VALU_DEP_1)
	v_dual_cndmask_b32 v11, v11, v17 :: v_dual_cndmask_b32 v16, v16, v18
	v_lshl_add_u32 v11, v11, 23, 0x37800000
	s_delay_alu instid0(VALU_DEP_2) | instskip(NEXT) | instid1(VALU_DEP_1)
	v_lshlrev_b32_e32 v16, 21, v16
	v_or3_b32 v11, v15, v11, v16
	s_delay_alu instid0(VALU_DEP_1)
	v_cvt_f16_f32_e32 v11, v11
.LBB135_1981:
	s_or_b32 exec_lo, exec_lo, s12
	s_mov_b32 s11, 0
	s_branch .LBB135_1987
.LBB135_1982:
	s_mov_b32 s11, -1
                                        ; implicit-def: $vgpr11
	s_branch .LBB135_1993
.LBB135_1983:
	s_or_saveexec_b32 s14, s14
	v_mov_b32_e32 v11, s13
	s_xor_b32 exec_lo, exec_lo, s14
	s_cbranch_execz .LBB135_1966
.LBB135_1984:
	v_cmp_ne_u16_e32 vcc_lo, 0, v15
	v_mov_b32_e32 v11, v15
	s_and_not1_b32 s12, s12, exec_lo
	s_and_b32 s13, vcc_lo, exec_lo
	s_delay_alu instid0(SALU_CYCLE_1)
	s_or_b32 s12, s12, s13
	s_or_b32 exec_lo, exec_lo, s14
	s_and_saveexec_b32 s13, s12
	s_cbranch_execnz .LBB135_1967
	s_branch .LBB135_1968
.LBB135_1985:
	s_mov_b32 s11, -1
                                        ; implicit-def: $vgpr11
	s_branch .LBB135_1990
.LBB135_1986:
	s_mov_b32 s11, -1
                                        ; implicit-def: $vgpr11
.LBB135_1987:
	s_delay_alu instid0(SALU_CYCLE_1)
	s_and_b32 vcc_lo, exec_lo, s11
	s_cbranch_vccz .LBB135_1989
; %bb.1988:
	global_load_u8 v11, v[9:10], off
	s_waitcnt vmcnt(0)
	v_lshlrev_b32_e32 v11, 24, v11
	s_delay_alu instid0(VALU_DEP_1) | instskip(NEXT) | instid1(VALU_DEP_1)
	v_and_b32_e32 v15, 0x7f000000, v11
	v_clz_i32_u32_e32 v16, v15
	v_cmp_ne_u32_e32 vcc_lo, 0, v15
	v_add_nc_u32_e32 v18, 0x1000000, v15
	s_delay_alu instid0(VALU_DEP_3) | instskip(NEXT) | instid1(VALU_DEP_1)
	v_min_u32_e32 v16, 32, v16
	v_sub_nc_u32_e64 v16, v16, 4 clamp
	s_delay_alu instid0(VALU_DEP_1) | instskip(SKIP_1) | instid1(VALU_DEP_2)
	v_lshlrev_b32_e32 v17, v16, v15
	v_lshlrev_b32_e32 v16, 23, v16
	v_lshrrev_b32_e32 v17, 4, v17
	s_delay_alu instid0(VALU_DEP_1) | instskip(SKIP_1) | instid1(VALU_DEP_2)
	v_sub_nc_u32_e32 v16, v17, v16
	v_ashrrev_i32_e32 v17, 8, v18
	v_add_nc_u32_e32 v16, 0x3c000000, v16
	s_delay_alu instid0(VALU_DEP_1) | instskip(NEXT) | instid1(VALU_DEP_1)
	v_and_or_b32 v16, 0x7f800000, v17, v16
	v_cndmask_b32_e32 v15, 0, v16, vcc_lo
	s_delay_alu instid0(VALU_DEP_1) | instskip(NEXT) | instid1(VALU_DEP_1)
	v_and_or_b32 v11, 0x80000000, v11, v15
	v_cvt_f16_f32_e32 v11, v11
.LBB135_1989:
	s_mov_b32 s11, 0
.LBB135_1990:
	s_delay_alu instid0(SALU_CYCLE_1)
	s_and_not1_b32 vcc_lo, exec_lo, s11
	s_cbranch_vccnz .LBB135_1992
; %bb.1991:
	global_load_u8 v11, v[9:10], off
	s_waitcnt vmcnt(0)
	v_lshlrev_b32_e32 v15, 25, v11
	v_lshlrev_b16 v11, 8, v11
	s_delay_alu instid0(VALU_DEP_2) | instskip(NEXT) | instid1(VALU_DEP_2)
	v_lshrrev_b32_e32 v16, 4, v15
	v_and_or_b32 v17, 0x7f00, v11, 0.5
	v_bfe_i32 v11, v11, 0, 16
	s_delay_alu instid0(VALU_DEP_3) | instskip(NEXT) | instid1(VALU_DEP_1)
	v_or_b32_e32 v16, 0x70000000, v16
	v_dual_add_f32 v17, -0.5, v17 :: v_dual_mul_f32 v16, 0x7800000, v16
	v_cmp_gt_u32_e32 vcc_lo, 0x8000000, v15
	s_delay_alu instid0(VALU_DEP_2) | instskip(NEXT) | instid1(VALU_DEP_1)
	v_cndmask_b32_e32 v15, v16, v17, vcc_lo
	v_and_or_b32 v11, 0x80000000, v11, v15
	s_delay_alu instid0(VALU_DEP_1)
	v_cvt_f16_f32_e32 v11, v11
.LBB135_1992:
	s_mov_b32 s11, 0
	s_mov_b32 s12, -1
.LBB135_1993:
	s_and_not1_b32 vcc_lo, exec_lo, s11
	s_mov_b32 s11, 0
	s_cbranch_vccnz .LBB135_2004
; %bb.1994:
	v_cmp_lt_i16_e32 vcc_lo, 14, v14
	s_cbranch_vccz .LBB135_1997
; %bb.1995:
	v_cmp_eq_u16_e32 vcc_lo, 15, v14
	s_cbranch_vccz .LBB135_2000
; %bb.1996:
	global_load_u16 v11, v[9:10], off
	s_mov_b32 s0, 0
	s_mov_b32 s12, -1
	s_waitcnt vmcnt(0)
	v_lshlrev_b32_e32 v11, 16, v11
	s_delay_alu instid0(VALU_DEP_1)
	v_cvt_f16_f32_e32 v11, v11
	s_branch .LBB135_2002
.LBB135_1997:
	s_mov_b32 s11, -1
	s_branch .LBB135_2001
.LBB135_1998:
	s_or_saveexec_b32 s13, s13
	v_mov_b32_e32 v11, s12
	s_xor_b32 exec_lo, exec_lo, s13
	s_cbranch_execz .LBB135_1979
.LBB135_1999:
	v_cmp_ne_u16_e32 vcc_lo, 0, v15
	v_mov_b32_e32 v11, v15
	s_and_not1_b32 s11, s11, exec_lo
	s_and_b32 s12, vcc_lo, exec_lo
	s_delay_alu instid0(SALU_CYCLE_1)
	s_or_b32 s11, s11, s12
	s_or_b32 exec_lo, exec_lo, s13
	s_and_saveexec_b32 s12, s11
	s_cbranch_execnz .LBB135_1980
	s_branch .LBB135_1981
.LBB135_2000:
	s_mov_b32 s0, -1
.LBB135_2001:
                                        ; implicit-def: $vgpr11
.LBB135_2002:
	s_and_b32 vcc_lo, exec_lo, s11
	s_mov_b32 s11, 0
	s_cbranch_vccz .LBB135_2004
; %bb.2003:
	v_cmp_ne_u16_e64 s0, 11, v14
	s_mov_b32 s11, -1
                                        ; implicit-def: $vgpr11
.LBB135_2004:
	s_delay_alu instid0(VALU_DEP_1)
	s_and_b32 vcc_lo, exec_lo, s0
	s_cbranch_vccnz .LBB135_2020
; %bb.2005:
	s_and_not1_b32 vcc_lo, exec_lo, s11
	s_cbranch_vccnz .LBB135_2007
.LBB135_2006:
	global_load_u8 v11, v[9:10], off
	s_mov_b32 s12, -1
	s_waitcnt vmcnt(0)
	v_cmp_ne_u16_e32 vcc_lo, 0, v11
	v_cndmask_b32_e64 v11, 0, 0x3c00, vcc_lo
.LBB135_2007:
.LBB135_2008:
	s_and_not1_b32 vcc_lo, exec_lo, s12
	s_cbranch_vccnz .LBB135_3064
.LBB135_2009:
	v_cmp_gt_i16_e32 vcc_lo, 11, v12
	v_add_co_u32 v8, s0, s2, v8
	s_delay_alu instid0(VALU_DEP_1)
	v_add_co_ci_u32_e64 v9, null, s3, 0, s0
	s_mov_b32 s13, 0
	s_cbranch_vccnz .LBB135_2016
; %bb.2010:
	v_cmp_lt_i16_e32 vcc_lo, 25, v12
	s_mov_b32 s0, 0
	s_cbranch_vccz .LBB135_2017
; %bb.2011:
	v_cmp_lt_i16_e32 vcc_lo, 28, v12
	s_cbranch_vccz .LBB135_2018
; %bb.2012:
	v_cmp_lt_i16_e32 vcc_lo, 43, v12
	;; [unrolled: 3-line block ×3, first 2 shown]
	s_cbranch_vccz .LBB135_2022
; %bb.2014:
	v_cmp_eq_u16_e32 vcc_lo, 46, v12
	s_mov_b32 s14, 0
	s_cbranch_vccz .LBB135_2025
; %bb.2015:
	global_load_b32 v10, v[8:9], off
	s_mov_b32 s12, 0
	s_mov_b32 s13, -1
	s_waitcnt vmcnt(0)
	v_and_b32_e32 v10, 0x7fff7fff, v10
	s_delay_alu instid0(VALU_DEP_1)
	v_cmp_ne_u32_e32 vcc_lo, 0, v10
	s_and_b32 s11, vcc_lo, exec_lo
	s_branch .LBB135_2027
.LBB135_2016:
	s_mov_b32 s0, -1
                                        ; implicit-def: $sgpr11
	s_branch .LBB135_2091
.LBB135_2017:
	s_mov_b32 s14, -1
	s_mov_b32 s12, 0
                                        ; implicit-def: $sgpr11
	s_branch .LBB135_2054
.LBB135_2018:
	s_mov_b32 s14, -1
	s_mov_b32 s12, 0
                                        ; implicit-def: $sgpr11
	s_branch .LBB135_2035
.LBB135_2019:
	s_mov_b32 s14, -1
	s_mov_b32 s12, 0
                                        ; implicit-def: $sgpr11
	s_branch .LBB135_2030
.LBB135_2020:
	s_cbranch_execnz .LBB135_2023
; %bb.2021:
	s_or_b32 s1, s1, exec_lo
                                        ; implicit-def: $vgpr11
	s_cbranch_execz .LBB135_2006
	s_branch .LBB135_2007
.LBB135_2022:
	s_mov_b32 s14, -1
	s_mov_b32 s12, 0
	s_branch .LBB135_2026
.LBB135_2023:
	s_trap 2
	s_sendmsg_rtn_b32 s0, sendmsg(MSG_RTN_GET_DOORBELL)
	s_mov_b32 ttmp2, m0
	s_waitcnt lgkmcnt(0)
	s_and_b32 s0, s0, 0x3ff
	s_delay_alu instid0(SALU_CYCLE_1) | instskip(NEXT) | instid1(SALU_CYCLE_1)
	s_bitset1_b32 s0, 10
	s_mov_b32 m0, s0
	s_sendmsg sendmsg(MSG_INTERRUPT)
	s_mov_b32 m0, ttmp2
.LBB135_2024:                           ; =>This Inner Loop Header: Depth=1
	s_sethalt 5
	s_branch .LBB135_2024
.LBB135_2025:
	s_mov_b32 s12, -1
.LBB135_2026:
                                        ; implicit-def: $sgpr11
.LBB135_2027:
	s_and_b32 vcc_lo, exec_lo, s14
	s_cbranch_vccz .LBB135_2029
; %bb.2028:
	v_cmp_ne_u16_e64 s12, 44, v12
	s_mov_b32 s13, -1
	s_or_b32 s11, s11, exec_lo
.LBB135_2029:
	s_mov_b32 s14, 0
.LBB135_2030:
	s_delay_alu instid0(SALU_CYCLE_1)
	s_and_b32 vcc_lo, exec_lo, s14
	s_cbranch_vccz .LBB135_2034
; %bb.2031:
	v_cmp_eq_u16_e32 vcc_lo, 29, v12
	s_cbranch_vccz .LBB135_2033
; %bb.2032:
	global_load_b64 v[15:16], v[8:9], off
	s_mov_b32 s12, 0
	s_mov_b32 s13, -1
	s_mov_b32 s14, 0
	s_waitcnt vmcnt(0)
	v_cmp_ne_u64_e32 vcc_lo, 0, v[15:16]
	s_and_b32 s11, vcc_lo, exec_lo
	s_branch .LBB135_2035
.LBB135_2033:
	s_mov_b32 s12, -1
                                        ; implicit-def: $sgpr11
.LBB135_2034:
	s_mov_b32 s14, 0
.LBB135_2035:
	s_delay_alu instid0(SALU_CYCLE_1)
	s_and_b32 vcc_lo, exec_lo, s14
	s_cbranch_vccz .LBB135_2053
; %bb.2036:
	v_cmp_gt_i16_e32 vcc_lo, 27, v12
	s_cbranch_vccnz .LBB135_2039
; %bb.2037:
	v_cmp_lt_i16_e32 vcc_lo, 27, v12
	s_cbranch_vccz .LBB135_2040
; %bb.2038:
	global_load_b32 v10, v[8:9], off
	s_mov_b32 s13, 0
	s_waitcnt vmcnt(0)
	v_cmp_ne_u32_e32 vcc_lo, 0, v10
	s_and_b32 s11, vcc_lo, exec_lo
	s_branch .LBB135_2041
.LBB135_2039:
	s_mov_b32 s13, -1
                                        ; implicit-def: $sgpr11
	s_branch .LBB135_2044
.LBB135_2040:
	s_mov_b32 s13, -1
                                        ; implicit-def: $sgpr11
.LBB135_2041:
	s_delay_alu instid0(SALU_CYCLE_1)
	s_and_not1_b32 vcc_lo, exec_lo, s13
	s_cbranch_vccnz .LBB135_2043
; %bb.2042:
	global_load_u16 v10, v[8:9], off
	s_and_not1_b32 s11, s11, exec_lo
	s_waitcnt vmcnt(0)
	v_cmp_ne_u16_e32 vcc_lo, 0, v10
	s_and_b32 s13, vcc_lo, exec_lo
	s_delay_alu instid0(SALU_CYCLE_1)
	s_or_b32 s11, s11, s13
.LBB135_2043:
	s_mov_b32 s13, 0
.LBB135_2044:
	s_delay_alu instid0(SALU_CYCLE_1)
	s_and_not1_b32 vcc_lo, exec_lo, s13
	s_cbranch_vccnz .LBB135_2052
; %bb.2045:
	global_load_u8 v10, v[8:9], off
	s_mov_b32 s13, 0
	s_mov_b32 s14, exec_lo
                                        ; implicit-def: $sgpr11
	s_waitcnt vmcnt(0)
	v_cmpx_lt_i16_e32 0x7f, v10
	s_xor_b32 s14, exec_lo, s14
	s_cbranch_execz .LBB135_2066
; %bb.2046:
	s_mov_b32 s13, -1
	s_mov_b32 s15, exec_lo
                                        ; implicit-def: $sgpr11
	v_cmpx_eq_u16_e32 0x80, v10
; %bb.2047:
	s_mov_b32 s11, -1
	s_xor_b32 s13, exec_lo, -1
; %bb.2048:
	s_or_b32 exec_lo, exec_lo, s15
	s_delay_alu instid0(SALU_CYCLE_1)
	s_and_b32 s13, s13, exec_lo
	s_and_not1_saveexec_b32 s14, s14
	s_cbranch_execnz .LBB135_2067
.LBB135_2049:
	s_or_b32 exec_lo, exec_lo, s14
	s_and_saveexec_b32 s14, s13
	s_cbranch_execz .LBB135_2051
.LBB135_2050:
	v_and_b32_e32 v10, 0xffff, v10
	s_and_not1_b32 s11, s11, exec_lo
	s_delay_alu instid0(VALU_DEP_1) | instskip(NEXT) | instid1(VALU_DEP_1)
	v_and_b32_e32 v15, 7, v10
	v_clz_i32_u32_e32 v16, v15
	s_delay_alu instid0(VALU_DEP_1) | instskip(NEXT) | instid1(VALU_DEP_1)
	v_min_u32_e32 v16, 32, v16
	v_subrev_nc_u32_e32 v17, 28, v16
	v_sub_nc_u32_e32 v16, 29, v16
	s_delay_alu instid0(VALU_DEP_2) | instskip(SKIP_1) | instid1(VALU_DEP_2)
	v_lshlrev_b32_e32 v17, v17, v10
	v_bfe_u32 v10, v10, 3, 4
	v_and_b32_e32 v17, 7, v17
	s_delay_alu instid0(VALU_DEP_2) | instskip(NEXT) | instid1(VALU_DEP_2)
	v_cmp_eq_u32_e32 vcc_lo, 0, v10
	v_dual_cndmask_b32 v10, v10, v16 :: v_dual_cndmask_b32 v15, v15, v17
	s_delay_alu instid0(VALU_DEP_1) | instskip(NEXT) | instid1(VALU_DEP_2)
	v_lshl_add_u32 v10, v10, 23, 0x3b800000
	v_lshlrev_b32_e32 v15, 20, v15
	s_delay_alu instid0(VALU_DEP_1) | instskip(NEXT) | instid1(VALU_DEP_1)
	v_and_or_b32 v10, 0x7f800000, v10, v15
	v_cmp_ne_u32_e32 vcc_lo, 0, v10
	s_and_b32 s13, vcc_lo, exec_lo
	s_delay_alu instid0(SALU_CYCLE_1)
	s_or_b32 s11, s11, s13
.LBB135_2051:
	s_or_b32 exec_lo, exec_lo, s14
.LBB135_2052:
	s_mov_b32 s13, -1
.LBB135_2053:
	s_mov_b32 s14, 0
.LBB135_2054:
	s_delay_alu instid0(SALU_CYCLE_1)
	s_and_b32 vcc_lo, exec_lo, s14
	s_cbranch_vccz .LBB135_2087
; %bb.2055:
	v_cmp_lt_i16_e32 vcc_lo, 22, v12
	s_cbranch_vccz .LBB135_2065
; %bb.2056:
	v_cmp_gt_i16_e32 vcc_lo, 24, v12
	s_cbranch_vccnz .LBB135_2068
; %bb.2057:
	v_cmp_lt_i16_e32 vcc_lo, 24, v12
	s_cbranch_vccz .LBB135_2069
; %bb.2058:
	global_load_u8 v10, v[8:9], off
	s_mov_b32 s13, exec_lo
                                        ; implicit-def: $sgpr11
	s_waitcnt vmcnt(0)
	v_cmpx_lt_i16_e32 0x7f, v10
	s_xor_b32 s13, exec_lo, s13
	s_cbranch_execz .LBB135_2081
; %bb.2059:
	s_mov_b32 s0, -1
	s_mov_b32 s14, exec_lo
                                        ; implicit-def: $sgpr11
	v_cmpx_eq_u16_e32 0x80, v10
; %bb.2060:
	s_mov_b32 s11, -1
	s_xor_b32 s0, exec_lo, -1
; %bb.2061:
	s_or_b32 exec_lo, exec_lo, s14
	s_delay_alu instid0(SALU_CYCLE_1)
	s_and_b32 s0, s0, exec_lo
	s_and_not1_saveexec_b32 s13, s13
	s_cbranch_execnz .LBB135_2082
.LBB135_2062:
	s_or_b32 exec_lo, exec_lo, s13
	s_and_saveexec_b32 s13, s0
	s_cbranch_execz .LBB135_2064
.LBB135_2063:
	v_and_b32_e32 v10, 0xffff, v10
	s_and_not1_b32 s0, s11, exec_lo
	s_delay_alu instid0(VALU_DEP_1) | instskip(NEXT) | instid1(VALU_DEP_1)
	v_and_b32_e32 v15, 3, v10
	v_clz_i32_u32_e32 v16, v15
	s_delay_alu instid0(VALU_DEP_1) | instskip(NEXT) | instid1(VALU_DEP_1)
	v_min_u32_e32 v16, 32, v16
	v_subrev_nc_u32_e32 v17, 29, v16
	v_sub_nc_u32_e32 v16, 30, v16
	s_delay_alu instid0(VALU_DEP_2) | instskip(SKIP_1) | instid1(VALU_DEP_2)
	v_lshlrev_b32_e32 v17, v17, v10
	v_bfe_u32 v10, v10, 2, 5
	v_and_b32_e32 v17, 3, v17
	s_delay_alu instid0(VALU_DEP_2) | instskip(NEXT) | instid1(VALU_DEP_2)
	v_cmp_eq_u32_e32 vcc_lo, 0, v10
	v_dual_cndmask_b32 v10, v10, v16 :: v_dual_cndmask_b32 v15, v15, v17
	s_delay_alu instid0(VALU_DEP_1) | instskip(NEXT) | instid1(VALU_DEP_2)
	v_lshl_add_u32 v10, v10, 23, 0x37800000
	v_lshlrev_b32_e32 v15, 21, v15
	s_delay_alu instid0(VALU_DEP_1) | instskip(NEXT) | instid1(VALU_DEP_1)
	v_and_or_b32 v10, 0x7f800000, v10, v15
	v_cmp_ne_u32_e32 vcc_lo, 0, v10
	s_and_b32 s11, vcc_lo, exec_lo
	s_delay_alu instid0(SALU_CYCLE_1)
	s_or_b32 s11, s0, s11
.LBB135_2064:
	s_or_b32 exec_lo, exec_lo, s13
	s_mov_b32 s0, 0
	s_branch .LBB135_2070
.LBB135_2065:
	s_mov_b32 s0, -1
                                        ; implicit-def: $sgpr11
	s_branch .LBB135_2076
.LBB135_2066:
	s_and_not1_saveexec_b32 s14, s14
	s_cbranch_execz .LBB135_2049
.LBB135_2067:
	v_cmp_ne_u16_e32 vcc_lo, 0, v10
	s_and_not1_b32 s13, s13, exec_lo
	s_and_not1_b32 s11, s11, exec_lo
	s_and_b32 s15, vcc_lo, exec_lo
	s_delay_alu instid0(SALU_CYCLE_1)
	s_or_b32 s13, s13, s15
	s_or_b32 exec_lo, exec_lo, s14
	s_and_saveexec_b32 s14, s13
	s_cbranch_execnz .LBB135_2050
	s_branch .LBB135_2051
.LBB135_2068:
	s_mov_b32 s0, -1
                                        ; implicit-def: $sgpr11
	s_branch .LBB135_2073
.LBB135_2069:
	s_mov_b32 s0, -1
                                        ; implicit-def: $sgpr11
.LBB135_2070:
	s_delay_alu instid0(SALU_CYCLE_1)
	s_and_b32 vcc_lo, exec_lo, s0
	s_cbranch_vccz .LBB135_2072
; %bb.2071:
	global_load_u8 v10, v[8:9], off
	s_and_not1_b32 s11, s11, exec_lo
	s_waitcnt vmcnt(0)
	v_lshlrev_b32_e32 v10, 24, v10
	s_delay_alu instid0(VALU_DEP_1) | instskip(NEXT) | instid1(VALU_DEP_1)
	v_and_b32_e32 v10, 0x7f000000, v10
	v_clz_i32_u32_e32 v15, v10
	v_add_nc_u32_e32 v17, 0x1000000, v10
	v_cmp_ne_u32_e32 vcc_lo, 0, v10
	s_delay_alu instid0(VALU_DEP_3) | instskip(NEXT) | instid1(VALU_DEP_3)
	v_min_u32_e32 v15, 32, v15
	v_ashrrev_i32_e32 v17, 8, v17
	s_delay_alu instid0(VALU_DEP_2) | instskip(NEXT) | instid1(VALU_DEP_1)
	v_sub_nc_u32_e64 v15, v15, 4 clamp
	v_lshlrev_b32_e32 v16, v15, v10
	v_lshlrev_b32_e32 v15, 23, v15
	s_delay_alu instid0(VALU_DEP_2) | instskip(NEXT) | instid1(VALU_DEP_1)
	v_lshrrev_b32_e32 v16, 4, v16
	v_sub_nc_u32_e32 v15, v16, v15
	v_and_b32_e32 v16, 0x7f800000, v17
	s_delay_alu instid0(VALU_DEP_2) | instskip(NEXT) | instid1(VALU_DEP_1)
	v_add_nc_u32_e32 v15, 0x3c000000, v15
	v_and_or_b32 v15, 0x7ff00000, v15, v16
	s_delay_alu instid0(VALU_DEP_1) | instskip(NEXT) | instid1(VALU_DEP_1)
	v_cmp_ne_u32_e64 s0, 0, v15
	s_and_b32 s0, vcc_lo, s0
	s_delay_alu instid0(SALU_CYCLE_1) | instskip(NEXT) | instid1(SALU_CYCLE_1)
	s_and_b32 s0, s0, exec_lo
	s_or_b32 s11, s11, s0
.LBB135_2072:
	s_mov_b32 s0, 0
.LBB135_2073:
	s_delay_alu instid0(SALU_CYCLE_1)
	s_and_not1_b32 vcc_lo, exec_lo, s0
	s_cbranch_vccnz .LBB135_2075
; %bb.2074:
	global_load_u8 v10, v[8:9], off
	s_and_not1_b32 s0, s11, exec_lo
	s_waitcnt vmcnt(0)
	v_lshlrev_b32_e32 v15, 25, v10
	v_lshlrev_b32_e32 v10, 8, v10
	s_delay_alu instid0(VALU_DEP_2) | instskip(NEXT) | instid1(VALU_DEP_2)
	v_lshrrev_b32_e32 v16, 4, v15
	v_and_or_b32 v10, 0x7f00, v10, 0.5
	s_delay_alu instid0(VALU_DEP_2) | instskip(NEXT) | instid1(VALU_DEP_2)
	v_or_b32_e32 v16, 0x70000000, v16
	v_add_f32_e32 v10, -0.5, v10
	s_delay_alu instid0(VALU_DEP_2) | instskip(SKIP_1) | instid1(VALU_DEP_2)
	v_mul_f32_e32 v16, 0x7800000, v16
	v_cmp_gt_u32_e32 vcc_lo, 0x8000000, v15
	v_cndmask_b32_e32 v10, v16, v10, vcc_lo
	s_delay_alu instid0(VALU_DEP_1) | instskip(SKIP_1) | instid1(SALU_CYCLE_1)
	v_cmp_neq_f32_e32 vcc_lo, 0, v10
	s_and_b32 s11, vcc_lo, exec_lo
	s_or_b32 s11, s0, s11
.LBB135_2075:
	s_mov_b32 s0, 0
	s_mov_b32 s13, -1
.LBB135_2076:
	s_and_not1_b32 vcc_lo, exec_lo, s0
	s_mov_b32 s0, 0
	s_cbranch_vccnz .LBB135_2087
; %bb.2077:
	v_cmp_lt_i16_e32 vcc_lo, 14, v12
	s_cbranch_vccz .LBB135_2080
; %bb.2078:
	v_cmp_eq_u16_e32 vcc_lo, 15, v12
	s_cbranch_vccz .LBB135_2083
; %bb.2079:
	global_load_u16 v10, v[8:9], off
	s_mov_b32 s12, 0
	s_mov_b32 s13, -1
	s_waitcnt vmcnt(0)
	v_and_b32_e32 v10, 0x7fff, v10
	s_delay_alu instid0(VALU_DEP_1)
	v_cmp_ne_u16_e32 vcc_lo, 0, v10
	s_and_b32 s11, vcc_lo, exec_lo
	s_branch .LBB135_2085
.LBB135_2080:
	s_mov_b32 s0, -1
	s_branch .LBB135_2084
.LBB135_2081:
	s_and_not1_saveexec_b32 s13, s13
	s_cbranch_execz .LBB135_2062
.LBB135_2082:
	v_cmp_ne_u16_e32 vcc_lo, 0, v10
	s_and_not1_b32 s0, s0, exec_lo
	s_and_not1_b32 s11, s11, exec_lo
	s_and_b32 s14, vcc_lo, exec_lo
	s_delay_alu instid0(SALU_CYCLE_1)
	s_or_b32 s0, s0, s14
	s_or_b32 exec_lo, exec_lo, s13
	s_and_saveexec_b32 s13, s0
	s_cbranch_execnz .LBB135_2063
	s_branch .LBB135_2064
.LBB135_2083:
	s_mov_b32 s12, -1
.LBB135_2084:
                                        ; implicit-def: $sgpr11
.LBB135_2085:
	s_and_b32 vcc_lo, exec_lo, s0
	s_mov_b32 s0, 0
	s_cbranch_vccz .LBB135_2087
; %bb.2086:
	v_cmp_ne_u16_e64 s12, 11, v12
	s_mov_b32 s0, -1
	s_and_not1_b32 s11, s11, exec_lo
.LBB135_2087:
	s_delay_alu instid0(VALU_DEP_1)
	s_and_b32 vcc_lo, exec_lo, s12
	s_cbranch_vccnz .LBB135_2152
; %bb.2088:
	s_and_not1_b32 vcc_lo, exec_lo, s0
	s_cbranch_vccnz .LBB135_2090
.LBB135_2089:
	global_load_u8 v10, v[8:9], off
	s_and_not1_b32 s0, s11, exec_lo
	s_mov_b32 s13, -1
	s_waitcnt vmcnt(0)
	v_cmp_ne_u16_e32 vcc_lo, 0, v10
	s_and_b32 s11, vcc_lo, exec_lo
	s_delay_alu instid0(SALU_CYCLE_1)
	s_or_b32 s11, s0, s11
.LBB135_2090:
	s_mov_b32 s0, 0
.LBB135_2091:
	s_delay_alu instid0(SALU_CYCLE_1)
	s_and_b32 vcc_lo, exec_lo, s0
	s_cbranch_vccz .LBB135_2140
; %bb.2092:
	v_cmp_gt_i16_e32 vcc_lo, 5, v12
	s_cbranch_vccnz .LBB135_2097
; %bb.2093:
	v_cmp_gt_i16_e32 vcc_lo, 8, v12
	s_cbranch_vccnz .LBB135_2098
	;; [unrolled: 3-line block ×3, first 2 shown]
; %bb.2095:
	v_cmp_lt_i16_e32 vcc_lo, 9, v12
	s_cbranch_vccz .LBB135_2100
; %bb.2096:
	global_load_b128 v[15:18], v[8:9], off
	s_waitcnt vmcnt(0)
	v_cmp_neq_f64_e32 vcc_lo, 0, v[15:16]
	v_cmp_neq_f64_e64 s0, 0, v[17:18]
	s_delay_alu instid0(VALU_DEP_1)
	s_or_b32 s11, vcc_lo, s0
	s_mov_b32 s0, 0
	s_and_b32 s11, s11, exec_lo
	s_branch .LBB135_2101
.LBB135_2097:
	s_mov_b32 s0, -1
                                        ; implicit-def: $sgpr11
	s_branch .LBB135_2119
.LBB135_2098:
	s_mov_b32 s0, -1
                                        ; implicit-def: $sgpr11
	s_branch .LBB135_2107
.LBB135_2099:
	s_mov_b32 s0, -1
                                        ; implicit-def: $sgpr11
	s_branch .LBB135_2104
.LBB135_2100:
	s_mov_b32 s0, -1
                                        ; implicit-def: $sgpr11
.LBB135_2101:
	s_delay_alu instid0(SALU_CYCLE_1)
	s_and_not1_b32 vcc_lo, exec_lo, s0
	s_cbranch_vccnz .LBB135_2103
; %bb.2102:
	global_load_b64 v[15:16], v[8:9], off
	s_and_not1_b32 s0, s11, exec_lo
	s_waitcnt vmcnt(0)
	v_or_b32_e32 v10, v15, v16
	s_delay_alu instid0(VALU_DEP_1) | instskip(NEXT) | instid1(VALU_DEP_1)
	v_and_b32_e32 v10, 0x7fffffff, v10
	v_cmp_ne_u32_e32 vcc_lo, 0, v10
	s_and_b32 s11, vcc_lo, exec_lo
	s_delay_alu instid0(SALU_CYCLE_1)
	s_or_b32 s11, s0, s11
.LBB135_2103:
	s_mov_b32 s0, 0
.LBB135_2104:
	s_delay_alu instid0(SALU_CYCLE_1)
	s_and_not1_b32 vcc_lo, exec_lo, s0
	s_cbranch_vccnz .LBB135_2106
; %bb.2105:
	global_load_b32 v10, v[8:9], off
	s_and_not1_b32 s0, s11, exec_lo
	s_waitcnt vmcnt(0)
	v_and_b32_e32 v10, 0x7fff7fff, v10
	s_delay_alu instid0(VALU_DEP_1) | instskip(SKIP_1) | instid1(SALU_CYCLE_1)
	v_cmp_ne_u32_e32 vcc_lo, 0, v10
	s_and_b32 s11, vcc_lo, exec_lo
	s_or_b32 s11, s0, s11
.LBB135_2106:
	s_mov_b32 s0, 0
.LBB135_2107:
	s_delay_alu instid0(SALU_CYCLE_1)
	s_and_not1_b32 vcc_lo, exec_lo, s0
	s_cbranch_vccnz .LBB135_2118
; %bb.2108:
	v_cmp_gt_i16_e32 vcc_lo, 6, v12
	s_cbranch_vccnz .LBB135_2111
; %bb.2109:
	v_cmp_lt_i16_e32 vcc_lo, 6, v12
	s_cbranch_vccz .LBB135_2112
; %bb.2110:
	global_load_b64 v[15:16], v[8:9], off
	s_mov_b32 s0, 0
	s_waitcnt vmcnt(0)
	v_cmp_neq_f64_e32 vcc_lo, 0, v[15:16]
	s_and_b32 s11, vcc_lo, exec_lo
	s_branch .LBB135_2113
.LBB135_2111:
	s_mov_b32 s0, -1
                                        ; implicit-def: $sgpr11
	s_branch .LBB135_2116
.LBB135_2112:
	s_mov_b32 s0, -1
                                        ; implicit-def: $sgpr11
.LBB135_2113:
	s_delay_alu instid0(SALU_CYCLE_1)
	s_and_not1_b32 vcc_lo, exec_lo, s0
	s_cbranch_vccnz .LBB135_2115
; %bb.2114:
	global_load_b32 v10, v[8:9], off
	s_and_not1_b32 s0, s11, exec_lo
	s_waitcnt vmcnt(0)
	v_cmp_neq_f32_e32 vcc_lo, 0, v10
	s_and_b32 s11, vcc_lo, exec_lo
	s_delay_alu instid0(SALU_CYCLE_1)
	s_or_b32 s11, s0, s11
.LBB135_2115:
	s_mov_b32 s0, 0
.LBB135_2116:
	s_delay_alu instid0(SALU_CYCLE_1)
	s_and_not1_b32 vcc_lo, exec_lo, s0
	s_cbranch_vccnz .LBB135_2118
; %bb.2117:
	global_load_u16 v10, v[8:9], off
	s_and_not1_b32 s0, s11, exec_lo
	s_waitcnt vmcnt(0)
	v_and_b32_e32 v10, 0x7fff, v10
	s_delay_alu instid0(VALU_DEP_1) | instskip(SKIP_1) | instid1(SALU_CYCLE_1)
	v_cmp_ne_u16_e32 vcc_lo, 0, v10
	s_and_b32 s11, vcc_lo, exec_lo
	s_or_b32 s11, s0, s11
.LBB135_2118:
	s_mov_b32 s0, 0
.LBB135_2119:
	s_delay_alu instid0(SALU_CYCLE_1)
	s_and_not1_b32 vcc_lo, exec_lo, s0
	s_cbranch_vccnz .LBB135_2139
; %bb.2120:
	v_cmp_gt_i16_e32 vcc_lo, 2, v12
	s_cbranch_vccnz .LBB135_2124
; %bb.2121:
	v_cmp_gt_i16_e32 vcc_lo, 3, v12
	s_cbranch_vccnz .LBB135_2125
; %bb.2122:
	v_cmp_lt_i16_e32 vcc_lo, 3, v12
	s_cbranch_vccz .LBB135_2126
; %bb.2123:
	global_load_b64 v[15:16], v[8:9], off
	s_mov_b32 s0, 0
	s_waitcnt vmcnt(0)
	v_cmp_ne_u64_e32 vcc_lo, 0, v[15:16]
	s_and_b32 s11, vcc_lo, exec_lo
	s_branch .LBB135_2127
.LBB135_2124:
	s_mov_b32 s0, -1
                                        ; implicit-def: $sgpr11
	s_branch .LBB135_2133
.LBB135_2125:
	s_mov_b32 s0, -1
                                        ; implicit-def: $sgpr11
	s_branch .LBB135_2130
.LBB135_2126:
	s_mov_b32 s0, -1
                                        ; implicit-def: $sgpr11
.LBB135_2127:
	s_delay_alu instid0(SALU_CYCLE_1)
	s_and_not1_b32 vcc_lo, exec_lo, s0
	s_cbranch_vccnz .LBB135_2129
; %bb.2128:
	global_load_b32 v10, v[8:9], off
	s_and_not1_b32 s0, s11, exec_lo
	s_waitcnt vmcnt(0)
	v_cmp_ne_u32_e32 vcc_lo, 0, v10
	s_and_b32 s11, vcc_lo, exec_lo
	s_delay_alu instid0(SALU_CYCLE_1)
	s_or_b32 s11, s0, s11
.LBB135_2129:
	s_mov_b32 s0, 0
.LBB135_2130:
	s_delay_alu instid0(SALU_CYCLE_1)
	s_and_not1_b32 vcc_lo, exec_lo, s0
	s_cbranch_vccnz .LBB135_2132
; %bb.2131:
	global_load_u16 v10, v[8:9], off
	s_and_not1_b32 s0, s11, exec_lo
	s_waitcnt vmcnt(0)
	v_cmp_ne_u16_e32 vcc_lo, 0, v10
	s_and_b32 s11, vcc_lo, exec_lo
	s_delay_alu instid0(SALU_CYCLE_1)
	s_or_b32 s11, s0, s11
.LBB135_2132:
	s_mov_b32 s0, 0
.LBB135_2133:
	s_delay_alu instid0(SALU_CYCLE_1)
	s_and_not1_b32 vcc_lo, exec_lo, s0
	s_cbranch_vccnz .LBB135_2139
; %bb.2134:
	v_cmp_lt_i16_e32 vcc_lo, 0, v12
	s_mov_b32 s0, 0
	s_cbranch_vccz .LBB135_2136
; %bb.2135:
	global_load_u8 v10, v[8:9], off
	s_waitcnt vmcnt(0)
	v_cmp_ne_u16_e32 vcc_lo, 0, v10
	s_and_b32 s11, vcc_lo, exec_lo
	s_branch .LBB135_2137
.LBB135_2136:
	s_mov_b32 s0, -1
                                        ; implicit-def: $sgpr11
.LBB135_2137:
	s_delay_alu instid0(SALU_CYCLE_1)
	s_and_not1_b32 vcc_lo, exec_lo, s0
	s_cbranch_vccnz .LBB135_2139
; %bb.2138:
	global_load_u8 v8, v[8:9], off
	s_and_not1_b32 s0, s11, exec_lo
	s_waitcnt vmcnt(0)
	v_cmp_ne_u16_e32 vcc_lo, 0, v8
	s_and_b32 s11, vcc_lo, exec_lo
	s_delay_alu instid0(SALU_CYCLE_1)
	s_or_b32 s11, s0, s11
.LBB135_2139:
	s_mov_b32 s13, -1
.LBB135_2140:
	s_delay_alu instid0(SALU_CYCLE_1)
	s_and_not1_b32 vcc_lo, exec_lo, s13
	s_cbranch_vccnz .LBB135_3064
; %bb.2141:
	v_cmp_gt_i16_e32 vcc_lo, 11, v14
	v_add_co_u32 v7, s0, s6, v7
	s_delay_alu instid0(VALU_DEP_1)
	v_add_co_ci_u32_e64 v8, null, s7, 0, s0
	s_mov_b32 s13, 0
	s_cbranch_vccnz .LBB135_2148
; %bb.2142:
	v_cmp_lt_i16_e32 vcc_lo, 25, v14
	s_mov_b32 s12, 0
	s_cbranch_vccz .LBB135_2149
; %bb.2143:
	v_cmp_lt_i16_e32 vcc_lo, 28, v14
	s_cbranch_vccz .LBB135_2150
; %bb.2144:
	v_cmp_lt_i16_e32 vcc_lo, 43, v14
	;; [unrolled: 3-line block ×3, first 2 shown]
	s_cbranch_vccz .LBB135_2154
; %bb.2146:
	v_cmp_eq_u16_e32 vcc_lo, 46, v14
	s_mov_b32 s14, 0
	s_cbranch_vccz .LBB135_2157
; %bb.2147:
	global_load_b32 v9, v[7:8], off
	s_mov_b32 s0, 0
	s_mov_b32 s13, -1
	s_waitcnt vmcnt(0)
	v_lshlrev_b32_e32 v9, 16, v9
	s_delay_alu instid0(VALU_DEP_1)
	v_cvt_f16_f32_e32 v9, v9
	s_branch .LBB135_2159
.LBB135_2148:
	s_mov_b32 s0, -1
                                        ; implicit-def: $vgpr9
	s_branch .LBB135_2225
.LBB135_2149:
	s_mov_b32 s14, -1
	s_mov_b32 s0, 0
                                        ; implicit-def: $vgpr9
	s_branch .LBB135_2188
.LBB135_2150:
	s_mov_b32 s14, -1
	s_mov_b32 s0, 0
                                        ; implicit-def: $vgpr9
	s_branch .LBB135_2169
.LBB135_2151:
	s_mov_b32 s14, -1
	s_mov_b32 s0, 0
                                        ; implicit-def: $vgpr9
	s_branch .LBB135_2164
.LBB135_2152:
	s_cbranch_execnz .LBB135_2155
; %bb.2153:
	s_mov_b32 s13, 0
	s_and_not1_b32 s11, s11, exec_lo
	s_or_b32 s1, s1, exec_lo
	s_cbranch_execz .LBB135_2089
	s_branch .LBB135_2090
.LBB135_2154:
	s_mov_b32 s14, -1
	s_mov_b32 s0, 0
	s_branch .LBB135_2158
.LBB135_2155:
	s_trap 2
	s_sendmsg_rtn_b32 s0, sendmsg(MSG_RTN_GET_DOORBELL)
	s_mov_b32 ttmp2, m0
	s_waitcnt lgkmcnt(0)
	s_and_b32 s0, s0, 0x3ff
	s_delay_alu instid0(SALU_CYCLE_1) | instskip(NEXT) | instid1(SALU_CYCLE_1)
	s_bitset1_b32 s0, 10
	s_mov_b32 m0, s0
	s_sendmsg sendmsg(MSG_INTERRUPT)
	s_mov_b32 m0, ttmp2
.LBB135_2156:                           ; =>This Inner Loop Header: Depth=1
	s_sethalt 5
	s_branch .LBB135_2156
.LBB135_2157:
	s_mov_b32 s0, -1
.LBB135_2158:
                                        ; implicit-def: $vgpr9
.LBB135_2159:
	s_and_b32 vcc_lo, exec_lo, s14
	s_cbranch_vccz .LBB135_2163
; %bb.2160:
	v_cmp_eq_u16_e32 vcc_lo, 44, v14
	s_cbranch_vccz .LBB135_2162
; %bb.2161:
	global_load_u8 v9, v[7:8], off
	s_mov_b32 s0, 0
	s_mov_b32 s13, -1
	s_waitcnt vmcnt(0)
	v_lshlrev_b32_e32 v10, 23, v9
	v_cmp_ne_u32_e32 vcc_lo, 0xff, v9
	s_delay_alu instid0(VALU_DEP_2) | instskip(NEXT) | instid1(VALU_DEP_1)
	v_cvt_f16_f32_e32 v10, v10
	v_cndmask_b32_e32 v10, 0x7e00, v10, vcc_lo
	v_cmp_ne_u32_e32 vcc_lo, 0, v9
	s_delay_alu instid0(VALU_DEP_2)
	v_cndmask_b32_e32 v9, 0, v10, vcc_lo
	s_branch .LBB135_2163
.LBB135_2162:
	s_mov_b32 s0, -1
                                        ; implicit-def: $vgpr9
.LBB135_2163:
	s_mov_b32 s14, 0
.LBB135_2164:
	s_delay_alu instid0(SALU_CYCLE_1)
	s_and_b32 vcc_lo, exec_lo, s14
	s_cbranch_vccz .LBB135_2168
; %bb.2165:
	v_cmp_eq_u16_e32 vcc_lo, 29, v14
	s_cbranch_vccz .LBB135_2167
; %bb.2166:
	global_load_b64 v[9:10], v[7:8], off
	s_mov_b32 s0, 0
	s_mov_b32 s13, -1
	s_mov_b32 s14, 0
	s_waitcnt vmcnt(0)
	v_clz_i32_u32_e32 v15, v10
	s_delay_alu instid0(VALU_DEP_1) | instskip(NEXT) | instid1(VALU_DEP_1)
	v_min_u32_e32 v15, 32, v15
	v_lshlrev_b64 v[9:10], v15, v[9:10]
	s_delay_alu instid0(VALU_DEP_1) | instskip(NEXT) | instid1(VALU_DEP_1)
	v_min_u32_e32 v9, 1, v9
	v_or_b32_e32 v9, v10, v9
	v_sub_nc_u32_e32 v10, 32, v15
	s_delay_alu instid0(VALU_DEP_2) | instskip(NEXT) | instid1(VALU_DEP_1)
	v_cvt_f32_u32_e32 v9, v9
	v_ldexp_f32 v9, v9, v10
	s_delay_alu instid0(VALU_DEP_1)
	v_cvt_f16_f32_e32 v9, v9
	s_branch .LBB135_2169
.LBB135_2167:
	s_mov_b32 s0, -1
                                        ; implicit-def: $vgpr9
.LBB135_2168:
	s_mov_b32 s14, 0
.LBB135_2169:
	s_delay_alu instid0(SALU_CYCLE_1)
	s_and_b32 vcc_lo, exec_lo, s14
	s_cbranch_vccz .LBB135_2187
; %bb.2170:
	v_cmp_gt_i16_e32 vcc_lo, 27, v14
	s_cbranch_vccnz .LBB135_2173
; %bb.2171:
	v_cmp_lt_i16_e32 vcc_lo, 27, v14
	s_cbranch_vccz .LBB135_2174
; %bb.2172:
	global_load_b32 v9, v[7:8], off
	s_mov_b32 s13, 0
	s_waitcnt vmcnt(0)
	v_cvt_f32_u32_e32 v9, v9
	s_delay_alu instid0(VALU_DEP_1)
	v_cvt_f16_f32_e32 v9, v9
	s_branch .LBB135_2175
.LBB135_2173:
	s_mov_b32 s13, -1
                                        ; implicit-def: $vgpr9
	s_branch .LBB135_2178
.LBB135_2174:
	s_mov_b32 s13, -1
                                        ; implicit-def: $vgpr9
.LBB135_2175:
	s_delay_alu instid0(SALU_CYCLE_1)
	s_and_not1_b32 vcc_lo, exec_lo, s13
	s_cbranch_vccnz .LBB135_2177
; %bb.2176:
	global_load_u16 v9, v[7:8], off
	s_waitcnt vmcnt(0)
	v_cvt_f16_u16_e32 v9, v9
.LBB135_2177:
	s_mov_b32 s13, 0
.LBB135_2178:
	s_delay_alu instid0(SALU_CYCLE_1)
	s_and_not1_b32 vcc_lo, exec_lo, s13
	s_cbranch_vccnz .LBB135_2186
; %bb.2179:
	global_load_u8 v10, v[7:8], off
	s_mov_b32 s13, 0
	s_mov_b32 s15, exec_lo
                                        ; implicit-def: $sgpr14
	s_waitcnt vmcnt(0)
	v_cmpx_lt_i16_e32 0x7f, v10
	s_xor_b32 s15, exec_lo, s15
	s_cbranch_execz .LBB135_2200
; %bb.2180:
	s_mov_b32 s13, -1
	s_mov_b32 s16, exec_lo
                                        ; implicit-def: $sgpr14
	v_cmpx_eq_u16_e32 0x80, v10
; %bb.2181:
	s_movk_i32 s14, 0x7e00
	s_xor_b32 s13, exec_lo, -1
; %bb.2182:
	s_or_b32 exec_lo, exec_lo, s16
	s_delay_alu instid0(SALU_CYCLE_1)
	s_and_b32 s13, s13, exec_lo
	s_or_saveexec_b32 s15, s15
	v_mov_b32_e32 v9, s14
	s_xor_b32 exec_lo, exec_lo, s15
	s_cbranch_execnz .LBB135_2201
.LBB135_2183:
	s_or_b32 exec_lo, exec_lo, s15
	s_and_saveexec_b32 s14, s13
	s_cbranch_execz .LBB135_2185
.LBB135_2184:
	v_and_b32_e32 v9, 0xffff, v10
	s_delay_alu instid0(VALU_DEP_1) | instskip(NEXT) | instid1(VALU_DEP_1)
	v_and_b32_e32 v15, 7, v9
	v_clz_i32_u32_e32 v16, v15
	s_delay_alu instid0(VALU_DEP_1) | instskip(NEXT) | instid1(VALU_DEP_1)
	v_min_u32_e32 v16, 32, v16
	v_subrev_nc_u32_e32 v17, 28, v16
	v_sub_nc_u32_e32 v16, 29, v16
	s_delay_alu instid0(VALU_DEP_2) | instskip(SKIP_1) | instid1(VALU_DEP_2)
	v_lshlrev_b32_e32 v17, v17, v9
	v_bfe_u32 v9, v9, 3, 4
	v_and_b32_e32 v17, 7, v17
	s_delay_alu instid0(VALU_DEP_2) | instskip(SKIP_1) | instid1(VALU_DEP_1)
	v_cmp_eq_u32_e32 vcc_lo, 0, v9
	v_dual_cndmask_b32 v9, v9, v16 :: v_dual_lshlrev_b32 v10, 24, v10
	v_dual_cndmask_b32 v15, v15, v17 :: v_dual_and_b32 v10, 0x80000000, v10
	s_delay_alu instid0(VALU_DEP_2) | instskip(NEXT) | instid1(VALU_DEP_2)
	v_lshl_add_u32 v9, v9, 23, 0x3b800000
	v_lshlrev_b32_e32 v15, 20, v15
	s_delay_alu instid0(VALU_DEP_1) | instskip(NEXT) | instid1(VALU_DEP_1)
	v_or3_b32 v9, v10, v9, v15
	v_cvt_f16_f32_e32 v9, v9
.LBB135_2185:
	s_or_b32 exec_lo, exec_lo, s14
.LBB135_2186:
	s_mov_b32 s13, -1
.LBB135_2187:
	s_mov_b32 s14, 0
.LBB135_2188:
	s_delay_alu instid0(SALU_CYCLE_1)
	s_and_b32 vcc_lo, exec_lo, s14
	s_cbranch_vccz .LBB135_2221
; %bb.2189:
	v_cmp_lt_i16_e32 vcc_lo, 22, v14
	s_cbranch_vccz .LBB135_2199
; %bb.2190:
	v_cmp_gt_i16_e32 vcc_lo, 24, v14
	s_cbranch_vccnz .LBB135_2202
; %bb.2191:
	v_cmp_lt_i16_e32 vcc_lo, 24, v14
	s_cbranch_vccz .LBB135_2203
; %bb.2192:
	global_load_u8 v10, v[7:8], off
	s_mov_b32 s14, exec_lo
                                        ; implicit-def: $sgpr13
	s_waitcnt vmcnt(0)
	v_cmpx_lt_i16_e32 0x7f, v10
	s_xor_b32 s14, exec_lo, s14
	s_cbranch_execz .LBB135_2215
; %bb.2193:
	s_mov_b32 s12, -1
	s_mov_b32 s15, exec_lo
                                        ; implicit-def: $sgpr13
	v_cmpx_eq_u16_e32 0x80, v10
; %bb.2194:
	s_movk_i32 s13, 0x7e00
	s_xor_b32 s12, exec_lo, -1
; %bb.2195:
	s_or_b32 exec_lo, exec_lo, s15
	s_delay_alu instid0(SALU_CYCLE_1)
	s_and_b32 s12, s12, exec_lo
	s_or_saveexec_b32 s14, s14
	v_mov_b32_e32 v9, s13
	s_xor_b32 exec_lo, exec_lo, s14
	s_cbranch_execnz .LBB135_2216
.LBB135_2196:
	s_or_b32 exec_lo, exec_lo, s14
	s_and_saveexec_b32 s13, s12
	s_cbranch_execz .LBB135_2198
.LBB135_2197:
	v_and_b32_e32 v9, 0xffff, v10
	s_delay_alu instid0(VALU_DEP_1) | instskip(NEXT) | instid1(VALU_DEP_1)
	v_and_b32_e32 v15, 3, v9
	v_clz_i32_u32_e32 v16, v15
	s_delay_alu instid0(VALU_DEP_1) | instskip(NEXT) | instid1(VALU_DEP_1)
	v_min_u32_e32 v16, 32, v16
	v_subrev_nc_u32_e32 v17, 29, v16
	v_sub_nc_u32_e32 v16, 30, v16
	s_delay_alu instid0(VALU_DEP_2) | instskip(SKIP_1) | instid1(VALU_DEP_2)
	v_lshlrev_b32_e32 v17, v17, v9
	v_bfe_u32 v9, v9, 2, 5
	v_and_b32_e32 v17, 3, v17
	s_delay_alu instid0(VALU_DEP_2) | instskip(SKIP_1) | instid1(VALU_DEP_1)
	v_cmp_eq_u32_e32 vcc_lo, 0, v9
	v_dual_cndmask_b32 v9, v9, v16 :: v_dual_lshlrev_b32 v10, 24, v10
	v_dual_cndmask_b32 v15, v15, v17 :: v_dual_and_b32 v10, 0x80000000, v10
	s_delay_alu instid0(VALU_DEP_2) | instskip(NEXT) | instid1(VALU_DEP_2)
	v_lshl_add_u32 v9, v9, 23, 0x37800000
	v_lshlrev_b32_e32 v15, 21, v15
	s_delay_alu instid0(VALU_DEP_1) | instskip(NEXT) | instid1(VALU_DEP_1)
	v_or3_b32 v9, v10, v9, v15
	v_cvt_f16_f32_e32 v9, v9
.LBB135_2198:
	s_or_b32 exec_lo, exec_lo, s13
	s_mov_b32 s12, 0
	s_branch .LBB135_2204
.LBB135_2199:
	s_mov_b32 s12, -1
                                        ; implicit-def: $vgpr9
	s_branch .LBB135_2210
.LBB135_2200:
	s_or_saveexec_b32 s15, s15
	v_mov_b32_e32 v9, s14
	s_xor_b32 exec_lo, exec_lo, s15
	s_cbranch_execz .LBB135_2183
.LBB135_2201:
	v_cmp_ne_u16_e32 vcc_lo, 0, v10
	v_mov_b32_e32 v9, v10
	s_and_not1_b32 s13, s13, exec_lo
	s_and_b32 s14, vcc_lo, exec_lo
	s_delay_alu instid0(SALU_CYCLE_1)
	s_or_b32 s13, s13, s14
	s_or_b32 exec_lo, exec_lo, s15
	s_and_saveexec_b32 s14, s13
	s_cbranch_execnz .LBB135_2184
	s_branch .LBB135_2185
.LBB135_2202:
	s_mov_b32 s12, -1
                                        ; implicit-def: $vgpr9
	s_branch .LBB135_2207
.LBB135_2203:
	s_mov_b32 s12, -1
                                        ; implicit-def: $vgpr9
.LBB135_2204:
	s_delay_alu instid0(SALU_CYCLE_1)
	s_and_b32 vcc_lo, exec_lo, s12
	s_cbranch_vccz .LBB135_2206
; %bb.2205:
	global_load_u8 v9, v[7:8], off
	s_waitcnt vmcnt(0)
	v_lshlrev_b32_e32 v9, 24, v9
	s_delay_alu instid0(VALU_DEP_1) | instskip(NEXT) | instid1(VALU_DEP_1)
	v_and_b32_e32 v10, 0x7f000000, v9
	v_clz_i32_u32_e32 v15, v10
	v_add_nc_u32_e32 v17, 0x1000000, v10
	v_cmp_ne_u32_e32 vcc_lo, 0, v10
	s_delay_alu instid0(VALU_DEP_3) | instskip(NEXT) | instid1(VALU_DEP_1)
	v_min_u32_e32 v15, 32, v15
	v_sub_nc_u32_e64 v15, v15, 4 clamp
	s_delay_alu instid0(VALU_DEP_1) | instskip(SKIP_1) | instid1(VALU_DEP_2)
	v_lshlrev_b32_e32 v16, v15, v10
	v_lshlrev_b32_e32 v15, 23, v15
	v_lshrrev_b32_e32 v16, 4, v16
	s_delay_alu instid0(VALU_DEP_1) | instskip(SKIP_1) | instid1(VALU_DEP_2)
	v_sub_nc_u32_e32 v15, v16, v15
	v_ashrrev_i32_e32 v16, 8, v17
	v_add_nc_u32_e32 v15, 0x3c000000, v15
	s_delay_alu instid0(VALU_DEP_1) | instskip(NEXT) | instid1(VALU_DEP_1)
	v_and_or_b32 v15, 0x7f800000, v16, v15
	v_cndmask_b32_e32 v10, 0, v15, vcc_lo
	s_delay_alu instid0(VALU_DEP_1) | instskip(NEXT) | instid1(VALU_DEP_1)
	v_and_or_b32 v9, 0x80000000, v9, v10
	v_cvt_f16_f32_e32 v9, v9
.LBB135_2206:
	s_mov_b32 s12, 0
.LBB135_2207:
	s_delay_alu instid0(SALU_CYCLE_1)
	s_and_not1_b32 vcc_lo, exec_lo, s12
	s_cbranch_vccnz .LBB135_2209
; %bb.2208:
	global_load_u8 v9, v[7:8], off
	s_waitcnt vmcnt(0)
	v_lshlrev_b32_e32 v10, 25, v9
	v_lshlrev_b16 v9, 8, v9
	s_delay_alu instid0(VALU_DEP_2) | instskip(NEXT) | instid1(VALU_DEP_2)
	v_lshrrev_b32_e32 v15, 4, v10
	v_and_or_b32 v16, 0x7f00, v9, 0.5
	v_bfe_i32 v9, v9, 0, 16
	s_delay_alu instid0(VALU_DEP_3) | instskip(NEXT) | instid1(VALU_DEP_1)
	v_or_b32_e32 v15, 0x70000000, v15
	v_dual_add_f32 v16, -0.5, v16 :: v_dual_mul_f32 v15, 0x7800000, v15
	v_cmp_gt_u32_e32 vcc_lo, 0x8000000, v10
	s_delay_alu instid0(VALU_DEP_2) | instskip(NEXT) | instid1(VALU_DEP_1)
	v_cndmask_b32_e32 v10, v15, v16, vcc_lo
	v_and_or_b32 v9, 0x80000000, v9, v10
	s_delay_alu instid0(VALU_DEP_1)
	v_cvt_f16_f32_e32 v9, v9
.LBB135_2209:
	s_mov_b32 s12, 0
	s_mov_b32 s13, -1
.LBB135_2210:
	s_and_not1_b32 vcc_lo, exec_lo, s12
	s_mov_b32 s12, 0
	s_cbranch_vccnz .LBB135_2221
; %bb.2211:
	v_cmp_lt_i16_e32 vcc_lo, 14, v14
	s_cbranch_vccz .LBB135_2214
; %bb.2212:
	v_cmp_eq_u16_e32 vcc_lo, 15, v14
	s_cbranch_vccz .LBB135_2217
; %bb.2213:
	global_load_u16 v9, v[7:8], off
	s_mov_b32 s0, 0
	s_mov_b32 s13, -1
	s_waitcnt vmcnt(0)
	v_lshlrev_b32_e32 v9, 16, v9
	s_delay_alu instid0(VALU_DEP_1)
	v_cvt_f16_f32_e32 v9, v9
	s_branch .LBB135_2219
.LBB135_2214:
	s_mov_b32 s12, -1
	s_branch .LBB135_2218
.LBB135_2215:
	s_or_saveexec_b32 s14, s14
	v_mov_b32_e32 v9, s13
	s_xor_b32 exec_lo, exec_lo, s14
	s_cbranch_execz .LBB135_2196
.LBB135_2216:
	v_cmp_ne_u16_e32 vcc_lo, 0, v10
	v_mov_b32_e32 v9, v10
	s_and_not1_b32 s12, s12, exec_lo
	s_and_b32 s13, vcc_lo, exec_lo
	s_delay_alu instid0(SALU_CYCLE_1)
	s_or_b32 s12, s12, s13
	s_or_b32 exec_lo, exec_lo, s14
	s_and_saveexec_b32 s13, s12
	s_cbranch_execnz .LBB135_2197
	s_branch .LBB135_2198
.LBB135_2217:
	s_mov_b32 s0, -1
.LBB135_2218:
                                        ; implicit-def: $vgpr9
.LBB135_2219:
	s_and_b32 vcc_lo, exec_lo, s12
	s_mov_b32 s12, 0
	s_cbranch_vccz .LBB135_2221
; %bb.2220:
	v_cmp_ne_u16_e64 s0, 11, v14
	s_mov_b32 s12, -1
                                        ; implicit-def: $vgpr9
.LBB135_2221:
	s_delay_alu instid0(VALU_DEP_1)
	s_and_b32 vcc_lo, exec_lo, s0
	s_cbranch_vccnz .LBB135_2286
; %bb.2222:
	s_and_not1_b32 vcc_lo, exec_lo, s12
	s_cbranch_vccnz .LBB135_2224
.LBB135_2223:
	global_load_u8 v9, v[7:8], off
	s_mov_b32 s13, -1
	s_waitcnt vmcnt(0)
	v_cmp_ne_u16_e32 vcc_lo, 0, v9
	v_cndmask_b32_e64 v9, 0, 0x3c00, vcc_lo
.LBB135_2224:
	s_mov_b32 s0, 0
.LBB135_2225:
	s_delay_alu instid0(SALU_CYCLE_1)
	s_and_b32 vcc_lo, exec_lo, s0
	s_cbranch_vccz .LBB135_2274
; %bb.2226:
	v_cmp_gt_i16_e32 vcc_lo, 5, v14
	s_cbranch_vccnz .LBB135_2231
; %bb.2227:
	v_cmp_gt_i16_e32 vcc_lo, 8, v14
	s_cbranch_vccnz .LBB135_2232
	;; [unrolled: 3-line block ×3, first 2 shown]
; %bb.2229:
	v_cmp_lt_i16_e32 vcc_lo, 9, v14
	s_cbranch_vccz .LBB135_2234
; %bb.2230:
	global_load_b64 v[9:10], v[7:8], off
	s_mov_b32 s0, 0
	s_waitcnt vmcnt(0)
	v_cvt_f32_f64_e32 v9, v[9:10]
	s_delay_alu instid0(VALU_DEP_1)
	v_cvt_f16_f32_e32 v9, v9
	s_branch .LBB135_2235
.LBB135_2231:
	s_mov_b32 s0, -1
                                        ; implicit-def: $vgpr9
	s_branch .LBB135_2253
.LBB135_2232:
	s_mov_b32 s0, -1
                                        ; implicit-def: $vgpr9
	s_branch .LBB135_2241
.LBB135_2233:
	s_mov_b32 s0, -1
                                        ; implicit-def: $vgpr9
	s_branch .LBB135_2238
.LBB135_2234:
	s_mov_b32 s0, -1
                                        ; implicit-def: $vgpr9
.LBB135_2235:
	s_delay_alu instid0(SALU_CYCLE_1)
	s_and_not1_b32 vcc_lo, exec_lo, s0
	s_cbranch_vccnz .LBB135_2237
; %bb.2236:
	global_load_b32 v9, v[7:8], off
	s_waitcnt vmcnt(0)
	v_cvt_f16_f32_e32 v9, v9
.LBB135_2237:
	s_mov_b32 s0, 0
.LBB135_2238:
	s_delay_alu instid0(SALU_CYCLE_1)
	s_and_not1_b32 vcc_lo, exec_lo, s0
	s_cbranch_vccnz .LBB135_2240
; %bb.2239:
	global_load_b32 v9, v[7:8], off
.LBB135_2240:
	s_mov_b32 s0, 0
.LBB135_2241:
	s_delay_alu instid0(SALU_CYCLE_1)
	s_and_not1_b32 vcc_lo, exec_lo, s0
	s_cbranch_vccnz .LBB135_2252
; %bb.2242:
	v_cmp_gt_i16_e32 vcc_lo, 6, v14
	s_cbranch_vccnz .LBB135_2245
; %bb.2243:
	v_cmp_lt_i16_e32 vcc_lo, 6, v14
	s_cbranch_vccz .LBB135_2246
; %bb.2244:
	global_load_b64 v[9:10], v[7:8], off
	s_mov_b32 s0, 0
	s_waitcnt vmcnt(0)
	v_cvt_f32_f64_e32 v9, v[9:10]
	s_delay_alu instid0(VALU_DEP_1)
	v_cvt_f16_f32_e32 v9, v9
	s_branch .LBB135_2247
.LBB135_2245:
	s_mov_b32 s0, -1
                                        ; implicit-def: $vgpr9
	s_branch .LBB135_2250
.LBB135_2246:
	s_mov_b32 s0, -1
                                        ; implicit-def: $vgpr9
.LBB135_2247:
	s_delay_alu instid0(SALU_CYCLE_1)
	s_and_not1_b32 vcc_lo, exec_lo, s0
	s_cbranch_vccnz .LBB135_2249
; %bb.2248:
	global_load_b32 v9, v[7:8], off
	s_waitcnt vmcnt(0)
	v_cvt_f16_f32_e32 v9, v9
.LBB135_2249:
	s_mov_b32 s0, 0
.LBB135_2250:
	s_delay_alu instid0(SALU_CYCLE_1)
	s_and_not1_b32 vcc_lo, exec_lo, s0
	s_cbranch_vccnz .LBB135_2252
; %bb.2251:
	global_load_u16 v9, v[7:8], off
.LBB135_2252:
	s_mov_b32 s0, 0
.LBB135_2253:
	s_delay_alu instid0(SALU_CYCLE_1)
	s_and_not1_b32 vcc_lo, exec_lo, s0
	s_cbranch_vccnz .LBB135_2273
; %bb.2254:
	v_cmp_gt_i16_e32 vcc_lo, 2, v14
	s_cbranch_vccnz .LBB135_2258
; %bb.2255:
	v_cmp_gt_i16_e32 vcc_lo, 3, v14
	s_cbranch_vccnz .LBB135_2259
; %bb.2256:
	v_cmp_lt_i16_e32 vcc_lo, 3, v14
	s_cbranch_vccz .LBB135_2260
; %bb.2257:
	global_load_b64 v[9:10], v[7:8], off
	s_mov_b32 s0, 0
	s_waitcnt vmcnt(0)
	v_xor_b32_e32 v15, v9, v10
	v_cls_i32_e32 v16, v10
	s_delay_alu instid0(VALU_DEP_2) | instskip(NEXT) | instid1(VALU_DEP_2)
	v_ashrrev_i32_e32 v15, 31, v15
	v_add_nc_u32_e32 v16, -1, v16
	s_delay_alu instid0(VALU_DEP_2) | instskip(NEXT) | instid1(VALU_DEP_1)
	v_add_nc_u32_e32 v15, 32, v15
	v_min_u32_e32 v15, v16, v15
	s_delay_alu instid0(VALU_DEP_1) | instskip(NEXT) | instid1(VALU_DEP_1)
	v_lshlrev_b64 v[9:10], v15, v[9:10]
	v_min_u32_e32 v9, 1, v9
	s_delay_alu instid0(VALU_DEP_1) | instskip(SKIP_1) | instid1(VALU_DEP_2)
	v_or_b32_e32 v9, v10, v9
	v_sub_nc_u32_e32 v10, 32, v15
	v_cvt_f32_i32_e32 v9, v9
	s_delay_alu instid0(VALU_DEP_1) | instskip(NEXT) | instid1(VALU_DEP_1)
	v_ldexp_f32 v9, v9, v10
	v_cvt_f16_f32_e32 v9, v9
	s_branch .LBB135_2261
.LBB135_2258:
	s_mov_b32 s0, -1
                                        ; implicit-def: $vgpr9
	s_branch .LBB135_2267
.LBB135_2259:
	s_mov_b32 s0, -1
                                        ; implicit-def: $vgpr9
	s_branch .LBB135_2264
.LBB135_2260:
	s_mov_b32 s0, -1
                                        ; implicit-def: $vgpr9
.LBB135_2261:
	s_delay_alu instid0(SALU_CYCLE_1)
	s_and_not1_b32 vcc_lo, exec_lo, s0
	s_cbranch_vccnz .LBB135_2263
; %bb.2262:
	global_load_b32 v9, v[7:8], off
	s_waitcnt vmcnt(0)
	v_cvt_f32_i32_e32 v9, v9
	s_delay_alu instid0(VALU_DEP_1)
	v_cvt_f16_f32_e32 v9, v9
.LBB135_2263:
	s_mov_b32 s0, 0
.LBB135_2264:
	s_delay_alu instid0(SALU_CYCLE_1)
	s_and_not1_b32 vcc_lo, exec_lo, s0
	s_cbranch_vccnz .LBB135_2266
; %bb.2265:
	global_load_u16 v9, v[7:8], off
	s_waitcnt vmcnt(0)
	v_cvt_f16_i16_e32 v9, v9
.LBB135_2266:
	s_mov_b32 s0, 0
.LBB135_2267:
	s_delay_alu instid0(SALU_CYCLE_1)
	s_and_not1_b32 vcc_lo, exec_lo, s0
	s_cbranch_vccnz .LBB135_2273
; %bb.2268:
	v_cmp_lt_i16_e32 vcc_lo, 0, v14
	s_mov_b32 s0, 0
	s_cbranch_vccz .LBB135_2270
; %bb.2269:
	global_load_i8 v9, v[7:8], off
	s_waitcnt vmcnt(0)
	v_cvt_f16_i16_e32 v9, v9
	s_branch .LBB135_2271
.LBB135_2270:
	s_mov_b32 s0, -1
                                        ; implicit-def: $vgpr9
.LBB135_2271:
	s_delay_alu instid0(SALU_CYCLE_1)
	s_and_not1_b32 vcc_lo, exec_lo, s0
	s_cbranch_vccnz .LBB135_2273
; %bb.2272:
	global_load_u8 v7, v[7:8], off
	s_waitcnt vmcnt(0)
	v_cvt_f16_u16_e32 v9, v7
.LBB135_2273:
	s_mov_b32 s13, -1
.LBB135_2274:
	s_delay_alu instid0(SALU_CYCLE_1)
	s_and_not1_b32 vcc_lo, exec_lo, s13
	s_cbranch_vccnz .LBB135_3064
; %bb.2275:
	v_cmp_gt_i16_e32 vcc_lo, 11, v12
	v_add_co_u32 v6, s0, s2, v6
	s_delay_alu instid0(VALU_DEP_1)
	v_add_co_ci_u32_e64 v7, null, s3, 0, s0
	s_mov_b32 s14, 0
	s_cbranch_vccnz .LBB135_2282
; %bb.2276:
	v_cmp_lt_i16_e32 vcc_lo, 25, v12
	s_mov_b32 s0, 0
	s_cbranch_vccz .LBB135_2283
; %bb.2277:
	v_cmp_lt_i16_e32 vcc_lo, 28, v12
	s_cbranch_vccz .LBB135_2284
; %bb.2278:
	v_cmp_lt_i16_e32 vcc_lo, 43, v12
	;; [unrolled: 3-line block ×3, first 2 shown]
	s_cbranch_vccz .LBB135_2288
; %bb.2280:
	v_cmp_eq_u16_e32 vcc_lo, 46, v12
	s_mov_b32 s15, 0
	s_cbranch_vccz .LBB135_2293
; %bb.2281:
	global_load_b32 v8, v[6:7], off
	s_mov_b32 s13, 0
	s_mov_b32 s14, -1
	s_waitcnt vmcnt(0)
	v_and_b32_e32 v8, 0x7fff7fff, v8
	s_delay_alu instid0(VALU_DEP_1)
	v_cmp_ne_u32_e32 vcc_lo, 0, v8
	s_and_b32 s12, vcc_lo, exec_lo
	s_branch .LBB135_2295
.LBB135_2282:
	s_mov_b32 s0, -1
                                        ; implicit-def: $sgpr12
	s_branch .LBB135_2359
.LBB135_2283:
	s_mov_b32 s15, -1
	s_mov_b32 s13, 0
                                        ; implicit-def: $sgpr12
	s_branch .LBB135_2322
.LBB135_2284:
	s_mov_b32 s15, -1
	s_mov_b32 s13, 0
                                        ; implicit-def: $sgpr12
	s_branch .LBB135_2303
.LBB135_2285:
	s_mov_b32 s15, -1
	s_mov_b32 s13, 0
                                        ; implicit-def: $sgpr12
	s_branch .LBB135_2298
.LBB135_2286:
	s_cbranch_execnz .LBB135_2289
; %bb.2287:
	s_or_b32 s1, s1, exec_lo
                                        ; implicit-def: $vgpr9
	s_cbranch_execz .LBB135_2223
	s_branch .LBB135_2224
.LBB135_2288:
	s_mov_b32 s15, -1
	s_mov_b32 s13, 0
	s_branch .LBB135_2294
.LBB135_2289:
	s_trap 2
	s_sendmsg_rtn_b32 s0, sendmsg(MSG_RTN_GET_DOORBELL)
	s_mov_b32 ttmp2, m0
	s_waitcnt lgkmcnt(0)
	s_and_b32 s0, s0, 0x3ff
	s_delay_alu instid0(SALU_CYCLE_1) | instskip(NEXT) | instid1(SALU_CYCLE_1)
	s_bitset1_b32 s0, 10
	s_mov_b32 m0, s0
	s_sendmsg sendmsg(MSG_INTERRUPT)
	s_mov_b32 m0, ttmp2
.LBB135_2290:                           ; =>This Inner Loop Header: Depth=1
	s_sethalt 5
	s_branch .LBB135_2290
.LBB135_2291:
	s_or_saveexec_b32 s49, s49
                                        ; implicit-def: $sgpr50
	s_delay_alu instid0(SALU_CYCLE_1)
	s_xor_b32 exec_lo, exec_lo, s49
	s_cbranch_execz .LBB135_1167
.LBB135_2292:
	v_add_f32_e64 v6, 0x42800000, |v5|
	s_and_not1_b32 s48, s48, exec_lo
	s_mov_b32 s50, 0
	s_delay_alu instid0(VALU_DEP_1) | instskip(NEXT) | instid1(VALU_DEP_1)
	v_and_b32_e32 v6, 0xff, v6
	v_cmp_ne_u32_e32 vcc_lo, 0, v6
	s_and_b32 s51, vcc_lo, exec_lo
	s_delay_alu instid0(SALU_CYCLE_1)
	s_or_b32 s48, s48, s51
	s_or_b32 exec_lo, exec_lo, s49
	v_mov_b32_e32 v7, s50
	s_and_saveexec_b32 s49, s48
	s_cbranch_execnz .LBB135_1168
	s_branch .LBB135_1169
.LBB135_2293:
	s_mov_b32 s13, -1
.LBB135_2294:
                                        ; implicit-def: $sgpr12
.LBB135_2295:
	s_and_b32 vcc_lo, exec_lo, s15
	s_cbranch_vccz .LBB135_2297
; %bb.2296:
	v_cmp_ne_u16_e64 s13, 44, v12
	s_mov_b32 s14, -1
	s_or_b32 s12, s12, exec_lo
.LBB135_2297:
	s_mov_b32 s15, 0
.LBB135_2298:
	s_delay_alu instid0(SALU_CYCLE_1)
	s_and_b32 vcc_lo, exec_lo, s15
	s_cbranch_vccz .LBB135_2302
; %bb.2299:
	v_cmp_eq_u16_e32 vcc_lo, 29, v12
	s_cbranch_vccz .LBB135_2301
; %bb.2300:
	global_load_b64 v[15:16], v[6:7], off
	s_mov_b32 s13, 0
	s_mov_b32 s14, -1
	s_mov_b32 s15, 0
	s_waitcnt vmcnt(0)
	v_cmp_ne_u64_e32 vcc_lo, 0, v[15:16]
	s_and_b32 s12, vcc_lo, exec_lo
	s_branch .LBB135_2303
.LBB135_2301:
	s_mov_b32 s13, -1
                                        ; implicit-def: $sgpr12
.LBB135_2302:
	s_mov_b32 s15, 0
.LBB135_2303:
	s_delay_alu instid0(SALU_CYCLE_1)
	s_and_b32 vcc_lo, exec_lo, s15
	s_cbranch_vccz .LBB135_2321
; %bb.2304:
	v_cmp_gt_i16_e32 vcc_lo, 27, v12
	s_cbranch_vccnz .LBB135_2307
; %bb.2305:
	v_cmp_lt_i16_e32 vcc_lo, 27, v12
	s_cbranch_vccz .LBB135_2308
; %bb.2306:
	global_load_b32 v8, v[6:7], off
	s_mov_b32 s14, 0
	s_waitcnt vmcnt(0)
	v_cmp_ne_u32_e32 vcc_lo, 0, v8
	s_and_b32 s12, vcc_lo, exec_lo
	s_branch .LBB135_2309
.LBB135_2307:
	s_mov_b32 s14, -1
                                        ; implicit-def: $sgpr12
	s_branch .LBB135_2312
.LBB135_2308:
	s_mov_b32 s14, -1
                                        ; implicit-def: $sgpr12
.LBB135_2309:
	s_delay_alu instid0(SALU_CYCLE_1)
	s_and_not1_b32 vcc_lo, exec_lo, s14
	s_cbranch_vccnz .LBB135_2311
; %bb.2310:
	global_load_u16 v8, v[6:7], off
	s_and_not1_b32 s12, s12, exec_lo
	s_waitcnt vmcnt(0)
	v_cmp_ne_u16_e32 vcc_lo, 0, v8
	s_and_b32 s14, vcc_lo, exec_lo
	s_delay_alu instid0(SALU_CYCLE_1)
	s_or_b32 s12, s12, s14
.LBB135_2311:
	s_mov_b32 s14, 0
.LBB135_2312:
	s_delay_alu instid0(SALU_CYCLE_1)
	s_and_not1_b32 vcc_lo, exec_lo, s14
	s_cbranch_vccnz .LBB135_2320
; %bb.2313:
	global_load_u8 v8, v[6:7], off
	s_mov_b32 s14, 0
	s_mov_b32 s15, exec_lo
                                        ; implicit-def: $sgpr12
	s_waitcnt vmcnt(0)
	v_cmpx_lt_i16_e32 0x7f, v8
	s_xor_b32 s15, exec_lo, s15
	s_cbranch_execz .LBB135_2334
; %bb.2314:
	s_mov_b32 s14, -1
	s_mov_b32 s16, exec_lo
                                        ; implicit-def: $sgpr12
	v_cmpx_eq_u16_e32 0x80, v8
; %bb.2315:
	s_mov_b32 s12, -1
	s_xor_b32 s14, exec_lo, -1
; %bb.2316:
	s_or_b32 exec_lo, exec_lo, s16
	s_delay_alu instid0(SALU_CYCLE_1)
	s_and_b32 s14, s14, exec_lo
	s_and_not1_saveexec_b32 s15, s15
	s_cbranch_execnz .LBB135_2335
.LBB135_2317:
	s_or_b32 exec_lo, exec_lo, s15
	s_and_saveexec_b32 s15, s14
	s_cbranch_execz .LBB135_2319
.LBB135_2318:
	v_and_b32_e32 v8, 0xffff, v8
	s_and_not1_b32 s12, s12, exec_lo
	s_delay_alu instid0(VALU_DEP_1) | instskip(NEXT) | instid1(VALU_DEP_1)
	v_and_b32_e32 v10, 7, v8
	v_clz_i32_u32_e32 v15, v10
	s_delay_alu instid0(VALU_DEP_1) | instskip(NEXT) | instid1(VALU_DEP_1)
	v_min_u32_e32 v15, 32, v15
	v_subrev_nc_u32_e32 v16, 28, v15
	v_sub_nc_u32_e32 v15, 29, v15
	s_delay_alu instid0(VALU_DEP_2) | instskip(SKIP_1) | instid1(VALU_DEP_2)
	v_lshlrev_b32_e32 v16, v16, v8
	v_bfe_u32 v8, v8, 3, 4
	v_and_b32_e32 v16, 7, v16
	s_delay_alu instid0(VALU_DEP_2) | instskip(SKIP_1) | instid1(VALU_DEP_3)
	v_cmp_eq_u32_e32 vcc_lo, 0, v8
	v_cndmask_b32_e32 v8, v8, v15, vcc_lo
	v_cndmask_b32_e32 v10, v10, v16, vcc_lo
	s_delay_alu instid0(VALU_DEP_2) | instskip(NEXT) | instid1(VALU_DEP_2)
	v_lshl_add_u32 v8, v8, 23, 0x3b800000
	v_lshlrev_b32_e32 v10, 20, v10
	s_delay_alu instid0(VALU_DEP_1) | instskip(NEXT) | instid1(VALU_DEP_1)
	v_and_or_b32 v8, 0x7f800000, v8, v10
	v_cmp_ne_u32_e32 vcc_lo, 0, v8
	s_and_b32 s14, vcc_lo, exec_lo
	s_delay_alu instid0(SALU_CYCLE_1)
	s_or_b32 s12, s12, s14
.LBB135_2319:
	s_or_b32 exec_lo, exec_lo, s15
.LBB135_2320:
	s_mov_b32 s14, -1
.LBB135_2321:
	s_mov_b32 s15, 0
.LBB135_2322:
	s_delay_alu instid0(SALU_CYCLE_1)
	s_and_b32 vcc_lo, exec_lo, s15
	s_cbranch_vccz .LBB135_2355
; %bb.2323:
	v_cmp_lt_i16_e32 vcc_lo, 22, v12
	s_cbranch_vccz .LBB135_2333
; %bb.2324:
	v_cmp_gt_i16_e32 vcc_lo, 24, v12
	s_cbranch_vccnz .LBB135_2336
; %bb.2325:
	v_cmp_lt_i16_e32 vcc_lo, 24, v12
	s_cbranch_vccz .LBB135_2337
; %bb.2326:
	global_load_u8 v8, v[6:7], off
	s_mov_b32 s14, exec_lo
                                        ; implicit-def: $sgpr12
	s_waitcnt vmcnt(0)
	v_cmpx_lt_i16_e32 0x7f, v8
	s_xor_b32 s14, exec_lo, s14
	s_cbranch_execz .LBB135_2349
; %bb.2327:
	s_mov_b32 s0, -1
	s_mov_b32 s15, exec_lo
                                        ; implicit-def: $sgpr12
	v_cmpx_eq_u16_e32 0x80, v8
; %bb.2328:
	s_mov_b32 s12, -1
	s_xor_b32 s0, exec_lo, -1
; %bb.2329:
	s_or_b32 exec_lo, exec_lo, s15
	s_delay_alu instid0(SALU_CYCLE_1)
	s_and_b32 s0, s0, exec_lo
	s_and_not1_saveexec_b32 s14, s14
	s_cbranch_execnz .LBB135_2350
.LBB135_2330:
	s_or_b32 exec_lo, exec_lo, s14
	s_and_saveexec_b32 s14, s0
	s_cbranch_execz .LBB135_2332
.LBB135_2331:
	v_and_b32_e32 v8, 0xffff, v8
	s_and_not1_b32 s0, s12, exec_lo
	s_delay_alu instid0(VALU_DEP_1) | instskip(NEXT) | instid1(VALU_DEP_1)
	v_and_b32_e32 v10, 3, v8
	v_clz_i32_u32_e32 v15, v10
	s_delay_alu instid0(VALU_DEP_1) | instskip(NEXT) | instid1(VALU_DEP_1)
	v_min_u32_e32 v15, 32, v15
	v_subrev_nc_u32_e32 v16, 29, v15
	v_sub_nc_u32_e32 v15, 30, v15
	s_delay_alu instid0(VALU_DEP_2) | instskip(SKIP_1) | instid1(VALU_DEP_2)
	v_lshlrev_b32_e32 v16, v16, v8
	v_bfe_u32 v8, v8, 2, 5
	v_and_b32_e32 v16, 3, v16
	s_delay_alu instid0(VALU_DEP_2) | instskip(SKIP_1) | instid1(VALU_DEP_3)
	v_cmp_eq_u32_e32 vcc_lo, 0, v8
	v_cndmask_b32_e32 v8, v8, v15, vcc_lo
	v_cndmask_b32_e32 v10, v10, v16, vcc_lo
	s_delay_alu instid0(VALU_DEP_2) | instskip(NEXT) | instid1(VALU_DEP_2)
	v_lshl_add_u32 v8, v8, 23, 0x37800000
	v_lshlrev_b32_e32 v10, 21, v10
	s_delay_alu instid0(VALU_DEP_1) | instskip(NEXT) | instid1(VALU_DEP_1)
	v_and_or_b32 v8, 0x7f800000, v8, v10
	v_cmp_ne_u32_e32 vcc_lo, 0, v8
	s_and_b32 s12, vcc_lo, exec_lo
	s_delay_alu instid0(SALU_CYCLE_1)
	s_or_b32 s12, s0, s12
.LBB135_2332:
	s_or_b32 exec_lo, exec_lo, s14
	s_mov_b32 s0, 0
	s_branch .LBB135_2338
.LBB135_2333:
	s_mov_b32 s0, -1
                                        ; implicit-def: $sgpr12
	s_branch .LBB135_2344
.LBB135_2334:
	s_and_not1_saveexec_b32 s15, s15
	s_cbranch_execz .LBB135_2317
.LBB135_2335:
	v_cmp_ne_u16_e32 vcc_lo, 0, v8
	s_and_not1_b32 s14, s14, exec_lo
	s_and_not1_b32 s12, s12, exec_lo
	s_and_b32 s16, vcc_lo, exec_lo
	s_delay_alu instid0(SALU_CYCLE_1)
	s_or_b32 s14, s14, s16
	s_or_b32 exec_lo, exec_lo, s15
	s_and_saveexec_b32 s15, s14
	s_cbranch_execnz .LBB135_2318
	s_branch .LBB135_2319
.LBB135_2336:
	s_mov_b32 s0, -1
                                        ; implicit-def: $sgpr12
	s_branch .LBB135_2341
.LBB135_2337:
	s_mov_b32 s0, -1
                                        ; implicit-def: $sgpr12
.LBB135_2338:
	s_delay_alu instid0(SALU_CYCLE_1)
	s_and_b32 vcc_lo, exec_lo, s0
	s_cbranch_vccz .LBB135_2340
; %bb.2339:
	global_load_u8 v8, v[6:7], off
	s_and_not1_b32 s12, s12, exec_lo
	s_waitcnt vmcnt(0)
	v_lshlrev_b32_e32 v8, 24, v8
	s_delay_alu instid0(VALU_DEP_1) | instskip(NEXT) | instid1(VALU_DEP_1)
	v_and_b32_e32 v8, 0x7f000000, v8
	v_clz_i32_u32_e32 v10, v8
	v_add_nc_u32_e32 v16, 0x1000000, v8
	v_cmp_ne_u32_e32 vcc_lo, 0, v8
	s_delay_alu instid0(VALU_DEP_3) | instskip(NEXT) | instid1(VALU_DEP_3)
	v_min_u32_e32 v10, 32, v10
	v_ashrrev_i32_e32 v16, 8, v16
	s_delay_alu instid0(VALU_DEP_2) | instskip(NEXT) | instid1(VALU_DEP_1)
	v_sub_nc_u32_e64 v10, v10, 4 clamp
	v_lshlrev_b32_e32 v15, v10, v8
	v_lshlrev_b32_e32 v10, 23, v10
	s_delay_alu instid0(VALU_DEP_2) | instskip(NEXT) | instid1(VALU_DEP_1)
	v_lshrrev_b32_e32 v15, 4, v15
	v_sub_nc_u32_e32 v10, v15, v10
	v_and_b32_e32 v15, 0x7f800000, v16
	s_delay_alu instid0(VALU_DEP_2) | instskip(NEXT) | instid1(VALU_DEP_1)
	v_add_nc_u32_e32 v10, 0x3c000000, v10
	v_and_or_b32 v10, 0x7ff00000, v10, v15
	s_delay_alu instid0(VALU_DEP_1) | instskip(NEXT) | instid1(VALU_DEP_1)
	v_cmp_ne_u32_e64 s0, 0, v10
	s_and_b32 s0, vcc_lo, s0
	s_delay_alu instid0(SALU_CYCLE_1) | instskip(NEXT) | instid1(SALU_CYCLE_1)
	s_and_b32 s0, s0, exec_lo
	s_or_b32 s12, s12, s0
.LBB135_2340:
	s_mov_b32 s0, 0
.LBB135_2341:
	s_delay_alu instid0(SALU_CYCLE_1)
	s_and_not1_b32 vcc_lo, exec_lo, s0
	s_cbranch_vccnz .LBB135_2343
; %bb.2342:
	global_load_u8 v8, v[6:7], off
	s_and_not1_b32 s0, s12, exec_lo
	s_waitcnt vmcnt(0)
	v_lshlrev_b32_e32 v10, 25, v8
	v_lshlrev_b32_e32 v8, 8, v8
	s_delay_alu instid0(VALU_DEP_2) | instskip(NEXT) | instid1(VALU_DEP_2)
	v_lshrrev_b32_e32 v15, 4, v10
	v_and_or_b32 v8, 0x7f00, v8, 0.5
	s_delay_alu instid0(VALU_DEP_2) | instskip(NEXT) | instid1(VALU_DEP_1)
	v_or_b32_e32 v15, 0x70000000, v15
	v_dual_add_f32 v8, -0.5, v8 :: v_dual_mul_f32 v15, 0x7800000, v15
	v_cmp_gt_u32_e32 vcc_lo, 0x8000000, v10
	s_delay_alu instid0(VALU_DEP_2) | instskip(NEXT) | instid1(VALU_DEP_1)
	v_cndmask_b32_e32 v8, v15, v8, vcc_lo
	v_cmp_neq_f32_e32 vcc_lo, 0, v8
	s_and_b32 s12, vcc_lo, exec_lo
	s_delay_alu instid0(SALU_CYCLE_1)
	s_or_b32 s12, s0, s12
.LBB135_2343:
	s_mov_b32 s0, 0
	s_mov_b32 s14, -1
.LBB135_2344:
	s_and_not1_b32 vcc_lo, exec_lo, s0
	s_mov_b32 s0, 0
	s_cbranch_vccnz .LBB135_2355
; %bb.2345:
	v_cmp_lt_i16_e32 vcc_lo, 14, v12
	s_cbranch_vccz .LBB135_2348
; %bb.2346:
	v_cmp_eq_u16_e32 vcc_lo, 15, v12
	s_cbranch_vccz .LBB135_2351
; %bb.2347:
	global_load_u16 v8, v[6:7], off
	s_mov_b32 s13, 0
	s_mov_b32 s14, -1
	s_waitcnt vmcnt(0)
	v_and_b32_e32 v8, 0x7fff, v8
	s_delay_alu instid0(VALU_DEP_1)
	v_cmp_ne_u16_e32 vcc_lo, 0, v8
	s_and_b32 s12, vcc_lo, exec_lo
	s_branch .LBB135_2353
.LBB135_2348:
	s_mov_b32 s0, -1
	s_branch .LBB135_2352
.LBB135_2349:
	s_and_not1_saveexec_b32 s14, s14
	s_cbranch_execz .LBB135_2330
.LBB135_2350:
	v_cmp_ne_u16_e32 vcc_lo, 0, v8
	s_and_not1_b32 s0, s0, exec_lo
	s_and_not1_b32 s12, s12, exec_lo
	s_and_b32 s15, vcc_lo, exec_lo
	s_delay_alu instid0(SALU_CYCLE_1)
	s_or_b32 s0, s0, s15
	s_or_b32 exec_lo, exec_lo, s14
	s_and_saveexec_b32 s14, s0
	s_cbranch_execnz .LBB135_2331
	s_branch .LBB135_2332
.LBB135_2351:
	s_mov_b32 s13, -1
.LBB135_2352:
                                        ; implicit-def: $sgpr12
.LBB135_2353:
	s_and_b32 vcc_lo, exec_lo, s0
	s_mov_b32 s0, 0
	s_cbranch_vccz .LBB135_2355
; %bb.2354:
	v_cmp_ne_u16_e64 s13, 11, v12
	s_mov_b32 s0, -1
	s_and_not1_b32 s12, s12, exec_lo
.LBB135_2355:
	s_delay_alu instid0(VALU_DEP_1)
	s_and_b32 vcc_lo, exec_lo, s13
	s_cbranch_vccnz .LBB135_2420
; %bb.2356:
	s_and_not1_b32 vcc_lo, exec_lo, s0
	s_cbranch_vccnz .LBB135_2358
.LBB135_2357:
	global_load_u8 v8, v[6:7], off
	s_and_not1_b32 s0, s12, exec_lo
	s_mov_b32 s14, -1
	s_waitcnt vmcnt(0)
	v_cmp_ne_u16_e32 vcc_lo, 0, v8
	s_and_b32 s12, vcc_lo, exec_lo
	s_delay_alu instid0(SALU_CYCLE_1)
	s_or_b32 s12, s0, s12
.LBB135_2358:
	s_mov_b32 s0, 0
.LBB135_2359:
	s_delay_alu instid0(SALU_CYCLE_1)
	s_and_b32 vcc_lo, exec_lo, s0
	s_cbranch_vccz .LBB135_2408
; %bb.2360:
	v_cmp_gt_i16_e32 vcc_lo, 5, v12
	s_cbranch_vccnz .LBB135_2365
; %bb.2361:
	v_cmp_gt_i16_e32 vcc_lo, 8, v12
	s_cbranch_vccnz .LBB135_2366
	;; [unrolled: 3-line block ×3, first 2 shown]
; %bb.2363:
	v_cmp_lt_i16_e32 vcc_lo, 9, v12
	s_cbranch_vccz .LBB135_2368
; %bb.2364:
	global_load_b128 v[15:18], v[6:7], off
	s_waitcnt vmcnt(0)
	v_cmp_neq_f64_e32 vcc_lo, 0, v[15:16]
	v_cmp_neq_f64_e64 s0, 0, v[17:18]
	s_delay_alu instid0(VALU_DEP_1)
	s_or_b32 s12, vcc_lo, s0
	s_mov_b32 s0, 0
	s_and_b32 s12, s12, exec_lo
	s_branch .LBB135_2369
.LBB135_2365:
	s_mov_b32 s0, -1
                                        ; implicit-def: $sgpr12
	s_branch .LBB135_2387
.LBB135_2366:
	s_mov_b32 s0, -1
                                        ; implicit-def: $sgpr12
	s_branch .LBB135_2375
.LBB135_2367:
	s_mov_b32 s0, -1
                                        ; implicit-def: $sgpr12
	s_branch .LBB135_2372
.LBB135_2368:
	s_mov_b32 s0, -1
                                        ; implicit-def: $sgpr12
.LBB135_2369:
	s_delay_alu instid0(SALU_CYCLE_1)
	s_and_not1_b32 vcc_lo, exec_lo, s0
	s_cbranch_vccnz .LBB135_2371
; %bb.2370:
	global_load_b64 v[15:16], v[6:7], off
	s_and_not1_b32 s0, s12, exec_lo
	s_waitcnt vmcnt(0)
	v_or_b32_e32 v8, v15, v16
	s_delay_alu instid0(VALU_DEP_1) | instskip(NEXT) | instid1(VALU_DEP_1)
	v_and_b32_e32 v8, 0x7fffffff, v8
	v_cmp_ne_u32_e32 vcc_lo, 0, v8
	s_and_b32 s12, vcc_lo, exec_lo
	s_delay_alu instid0(SALU_CYCLE_1)
	s_or_b32 s12, s0, s12
.LBB135_2371:
	s_mov_b32 s0, 0
.LBB135_2372:
	s_delay_alu instid0(SALU_CYCLE_1)
	s_and_not1_b32 vcc_lo, exec_lo, s0
	s_cbranch_vccnz .LBB135_2374
; %bb.2373:
	global_load_b32 v8, v[6:7], off
	s_and_not1_b32 s0, s12, exec_lo
	s_waitcnt vmcnt(0)
	v_and_b32_e32 v8, 0x7fff7fff, v8
	s_delay_alu instid0(VALU_DEP_1) | instskip(SKIP_1) | instid1(SALU_CYCLE_1)
	v_cmp_ne_u32_e32 vcc_lo, 0, v8
	s_and_b32 s12, vcc_lo, exec_lo
	s_or_b32 s12, s0, s12
.LBB135_2374:
	s_mov_b32 s0, 0
.LBB135_2375:
	s_delay_alu instid0(SALU_CYCLE_1)
	s_and_not1_b32 vcc_lo, exec_lo, s0
	s_cbranch_vccnz .LBB135_2386
; %bb.2376:
	v_cmp_gt_i16_e32 vcc_lo, 6, v12
	s_cbranch_vccnz .LBB135_2379
; %bb.2377:
	v_cmp_lt_i16_e32 vcc_lo, 6, v12
	s_cbranch_vccz .LBB135_2380
; %bb.2378:
	global_load_b64 v[15:16], v[6:7], off
	s_mov_b32 s0, 0
	s_waitcnt vmcnt(0)
	v_cmp_neq_f64_e32 vcc_lo, 0, v[15:16]
	s_and_b32 s12, vcc_lo, exec_lo
	s_branch .LBB135_2381
.LBB135_2379:
	s_mov_b32 s0, -1
                                        ; implicit-def: $sgpr12
	s_branch .LBB135_2384
.LBB135_2380:
	s_mov_b32 s0, -1
                                        ; implicit-def: $sgpr12
.LBB135_2381:
	s_delay_alu instid0(SALU_CYCLE_1)
	s_and_not1_b32 vcc_lo, exec_lo, s0
	s_cbranch_vccnz .LBB135_2383
; %bb.2382:
	global_load_b32 v8, v[6:7], off
	s_and_not1_b32 s0, s12, exec_lo
	s_waitcnt vmcnt(0)
	v_cmp_neq_f32_e32 vcc_lo, 0, v8
	s_and_b32 s12, vcc_lo, exec_lo
	s_delay_alu instid0(SALU_CYCLE_1)
	s_or_b32 s12, s0, s12
.LBB135_2383:
	s_mov_b32 s0, 0
.LBB135_2384:
	s_delay_alu instid0(SALU_CYCLE_1)
	s_and_not1_b32 vcc_lo, exec_lo, s0
	s_cbranch_vccnz .LBB135_2386
; %bb.2385:
	global_load_u16 v8, v[6:7], off
	s_and_not1_b32 s0, s12, exec_lo
	s_waitcnt vmcnt(0)
	v_and_b32_e32 v8, 0x7fff, v8
	s_delay_alu instid0(VALU_DEP_1) | instskip(SKIP_1) | instid1(SALU_CYCLE_1)
	v_cmp_ne_u16_e32 vcc_lo, 0, v8
	s_and_b32 s12, vcc_lo, exec_lo
	s_or_b32 s12, s0, s12
.LBB135_2386:
	s_mov_b32 s0, 0
.LBB135_2387:
	s_delay_alu instid0(SALU_CYCLE_1)
	s_and_not1_b32 vcc_lo, exec_lo, s0
	s_cbranch_vccnz .LBB135_2407
; %bb.2388:
	v_cmp_gt_i16_e32 vcc_lo, 2, v12
	s_cbranch_vccnz .LBB135_2392
; %bb.2389:
	v_cmp_gt_i16_e32 vcc_lo, 3, v12
	s_cbranch_vccnz .LBB135_2393
; %bb.2390:
	v_cmp_lt_i16_e32 vcc_lo, 3, v12
	s_cbranch_vccz .LBB135_2394
; %bb.2391:
	global_load_b64 v[15:16], v[6:7], off
	s_mov_b32 s0, 0
	s_waitcnt vmcnt(0)
	v_cmp_ne_u64_e32 vcc_lo, 0, v[15:16]
	s_and_b32 s12, vcc_lo, exec_lo
	s_branch .LBB135_2395
.LBB135_2392:
	s_mov_b32 s0, -1
                                        ; implicit-def: $sgpr12
	s_branch .LBB135_2401
.LBB135_2393:
	s_mov_b32 s0, -1
                                        ; implicit-def: $sgpr12
	s_branch .LBB135_2398
.LBB135_2394:
	s_mov_b32 s0, -1
                                        ; implicit-def: $sgpr12
.LBB135_2395:
	s_delay_alu instid0(SALU_CYCLE_1)
	s_and_not1_b32 vcc_lo, exec_lo, s0
	s_cbranch_vccnz .LBB135_2397
; %bb.2396:
	global_load_b32 v8, v[6:7], off
	s_and_not1_b32 s0, s12, exec_lo
	s_waitcnt vmcnt(0)
	v_cmp_ne_u32_e32 vcc_lo, 0, v8
	s_and_b32 s12, vcc_lo, exec_lo
	s_delay_alu instid0(SALU_CYCLE_1)
	s_or_b32 s12, s0, s12
.LBB135_2397:
	s_mov_b32 s0, 0
.LBB135_2398:
	s_delay_alu instid0(SALU_CYCLE_1)
	s_and_not1_b32 vcc_lo, exec_lo, s0
	s_cbranch_vccnz .LBB135_2400
; %bb.2399:
	global_load_u16 v8, v[6:7], off
	s_and_not1_b32 s0, s12, exec_lo
	s_waitcnt vmcnt(0)
	v_cmp_ne_u16_e32 vcc_lo, 0, v8
	s_and_b32 s12, vcc_lo, exec_lo
	s_delay_alu instid0(SALU_CYCLE_1)
	s_or_b32 s12, s0, s12
.LBB135_2400:
	s_mov_b32 s0, 0
.LBB135_2401:
	s_delay_alu instid0(SALU_CYCLE_1)
	s_and_not1_b32 vcc_lo, exec_lo, s0
	s_cbranch_vccnz .LBB135_2407
; %bb.2402:
	v_cmp_lt_i16_e32 vcc_lo, 0, v12
	s_mov_b32 s0, 0
	s_cbranch_vccz .LBB135_2404
; %bb.2403:
	global_load_u8 v8, v[6:7], off
	s_waitcnt vmcnt(0)
	v_cmp_ne_u16_e32 vcc_lo, 0, v8
	s_and_b32 s12, vcc_lo, exec_lo
	s_branch .LBB135_2405
.LBB135_2404:
	s_mov_b32 s0, -1
                                        ; implicit-def: $sgpr12
.LBB135_2405:
	s_delay_alu instid0(SALU_CYCLE_1)
	s_and_not1_b32 vcc_lo, exec_lo, s0
	s_cbranch_vccnz .LBB135_2407
; %bb.2406:
	global_load_u8 v6, v[6:7], off
	s_and_not1_b32 s0, s12, exec_lo
	s_waitcnt vmcnt(0)
	v_cmp_ne_u16_e32 vcc_lo, 0, v6
	s_and_b32 s12, vcc_lo, exec_lo
	s_delay_alu instid0(SALU_CYCLE_1)
	s_or_b32 s12, s0, s12
.LBB135_2407:
	s_mov_b32 s14, -1
.LBB135_2408:
	s_delay_alu instid0(SALU_CYCLE_1)
	s_and_not1_b32 vcc_lo, exec_lo, s14
	s_cbranch_vccnz .LBB135_3064
; %bb.2409:
	v_cmp_gt_i16_e32 vcc_lo, 11, v14
	s_waitcnt vmcnt(0)
	v_add_co_u32 v5, s0, s6, v5
	s_delay_alu instid0(VALU_DEP_1)
	v_add_co_ci_u32_e64 v6, null, s7, 0, s0
	s_mov_b32 s7, 0
	s_cbranch_vccnz .LBB135_2416
; %bb.2410:
	v_cmp_lt_i16_e32 vcc_lo, 25, v14
	s_mov_b32 s6, 0
	s_cbranch_vccz .LBB135_2417
; %bb.2411:
	v_cmp_lt_i16_e32 vcc_lo, 28, v14
	s_cbranch_vccz .LBB135_2418
; %bb.2412:
	v_cmp_lt_i16_e32 vcc_lo, 43, v14
	;; [unrolled: 3-line block ×3, first 2 shown]
	s_cbranch_vccz .LBB135_2422
; %bb.2414:
	v_cmp_eq_u16_e32 vcc_lo, 46, v14
	s_mov_b32 s13, 0
	s_cbranch_vccz .LBB135_2425
; %bb.2415:
	global_load_b32 v7, v[5:6], off
	s_mov_b32 s0, 0
	s_mov_b32 s7, -1
	s_waitcnt vmcnt(0)
	v_lshlrev_b32_e32 v7, 16, v7
	s_delay_alu instid0(VALU_DEP_1)
	v_cvt_f16_f32_e32 v7, v7
	s_branch .LBB135_2427
.LBB135_2416:
	s_mov_b32 s0, -1
                                        ; implicit-def: $vgpr7
	s_branch .LBB135_2493
.LBB135_2417:
	s_mov_b32 s13, -1
	s_mov_b32 s0, 0
                                        ; implicit-def: $vgpr7
	s_branch .LBB135_2456
.LBB135_2418:
	s_mov_b32 s13, -1
	s_mov_b32 s0, 0
                                        ; implicit-def: $vgpr7
	s_branch .LBB135_2437
.LBB135_2419:
	s_mov_b32 s13, -1
	s_mov_b32 s0, 0
                                        ; implicit-def: $vgpr7
	s_branch .LBB135_2432
.LBB135_2420:
	s_cbranch_execnz .LBB135_2423
; %bb.2421:
	s_mov_b32 s14, 0
	s_and_not1_b32 s12, s12, exec_lo
	s_or_b32 s1, s1, exec_lo
	s_cbranch_execz .LBB135_2357
	s_branch .LBB135_2358
.LBB135_2422:
	s_mov_b32 s13, -1
	s_mov_b32 s0, 0
	s_branch .LBB135_2426
.LBB135_2423:
	s_trap 2
	s_sendmsg_rtn_b32 s0, sendmsg(MSG_RTN_GET_DOORBELL)
	s_mov_b32 ttmp2, m0
	s_waitcnt lgkmcnt(0)
	s_and_b32 s0, s0, 0x3ff
	s_delay_alu instid0(SALU_CYCLE_1) | instskip(NEXT) | instid1(SALU_CYCLE_1)
	s_bitset1_b32 s0, 10
	s_mov_b32 m0, s0
	s_sendmsg sendmsg(MSG_INTERRUPT)
	s_mov_b32 m0, ttmp2
.LBB135_2424:                           ; =>This Inner Loop Header: Depth=1
	s_sethalt 5
	s_branch .LBB135_2424
.LBB135_2425:
	s_mov_b32 s0, -1
.LBB135_2426:
                                        ; implicit-def: $vgpr7
.LBB135_2427:
	s_and_b32 vcc_lo, exec_lo, s13
	s_cbranch_vccz .LBB135_2431
; %bb.2428:
	v_cmp_eq_u16_e32 vcc_lo, 44, v14
	s_cbranch_vccz .LBB135_2430
; %bb.2429:
	global_load_u8 v7, v[5:6], off
	s_mov_b32 s0, 0
	s_mov_b32 s7, -1
	s_waitcnt vmcnt(0)
	v_lshlrev_b32_e32 v8, 23, v7
	v_cmp_ne_u32_e32 vcc_lo, 0xff, v7
	s_delay_alu instid0(VALU_DEP_2) | instskip(NEXT) | instid1(VALU_DEP_1)
	v_cvt_f16_f32_e32 v8, v8
	v_cndmask_b32_e32 v8, 0x7e00, v8, vcc_lo
	v_cmp_ne_u32_e32 vcc_lo, 0, v7
	s_delay_alu instid0(VALU_DEP_2)
	v_cndmask_b32_e32 v7, 0, v8, vcc_lo
	s_branch .LBB135_2431
.LBB135_2430:
	s_mov_b32 s0, -1
                                        ; implicit-def: $vgpr7
.LBB135_2431:
	s_mov_b32 s13, 0
.LBB135_2432:
	s_delay_alu instid0(SALU_CYCLE_1)
	s_and_b32 vcc_lo, exec_lo, s13
	s_cbranch_vccz .LBB135_2436
; %bb.2433:
	v_cmp_eq_u16_e32 vcc_lo, 29, v14
	s_cbranch_vccz .LBB135_2435
; %bb.2434:
	global_load_b64 v[7:8], v[5:6], off
	s_mov_b32 s0, 0
	s_mov_b32 s7, -1
	s_mov_b32 s13, 0
	s_waitcnt vmcnt(0)
	v_clz_i32_u32_e32 v10, v8
	s_delay_alu instid0(VALU_DEP_1) | instskip(NEXT) | instid1(VALU_DEP_1)
	v_min_u32_e32 v10, 32, v10
	v_lshlrev_b64 v[7:8], v10, v[7:8]
	s_delay_alu instid0(VALU_DEP_1) | instskip(NEXT) | instid1(VALU_DEP_1)
	v_min_u32_e32 v7, 1, v7
	v_or_b32_e32 v7, v8, v7
	v_sub_nc_u32_e32 v8, 32, v10
	s_delay_alu instid0(VALU_DEP_2) | instskip(NEXT) | instid1(VALU_DEP_1)
	v_cvt_f32_u32_e32 v7, v7
	v_ldexp_f32 v7, v7, v8
	s_delay_alu instid0(VALU_DEP_1)
	v_cvt_f16_f32_e32 v7, v7
	s_branch .LBB135_2437
.LBB135_2435:
	s_mov_b32 s0, -1
                                        ; implicit-def: $vgpr7
.LBB135_2436:
	s_mov_b32 s13, 0
.LBB135_2437:
	s_delay_alu instid0(SALU_CYCLE_1)
	s_and_b32 vcc_lo, exec_lo, s13
	s_cbranch_vccz .LBB135_2455
; %bb.2438:
	v_cmp_gt_i16_e32 vcc_lo, 27, v14
	s_cbranch_vccnz .LBB135_2441
; %bb.2439:
	v_cmp_lt_i16_e32 vcc_lo, 27, v14
	s_cbranch_vccz .LBB135_2442
; %bb.2440:
	global_load_b32 v7, v[5:6], off
	s_mov_b32 s7, 0
	s_waitcnt vmcnt(0)
	v_cvt_f32_u32_e32 v7, v7
	s_delay_alu instid0(VALU_DEP_1)
	v_cvt_f16_f32_e32 v7, v7
	s_branch .LBB135_2443
.LBB135_2441:
	s_mov_b32 s7, -1
                                        ; implicit-def: $vgpr7
	s_branch .LBB135_2446
.LBB135_2442:
	s_mov_b32 s7, -1
                                        ; implicit-def: $vgpr7
.LBB135_2443:
	s_delay_alu instid0(SALU_CYCLE_1)
	s_and_not1_b32 vcc_lo, exec_lo, s7
	s_cbranch_vccnz .LBB135_2445
; %bb.2444:
	global_load_u16 v7, v[5:6], off
	s_waitcnt vmcnt(0)
	v_cvt_f16_u16_e32 v7, v7
.LBB135_2445:
	s_mov_b32 s7, 0
.LBB135_2446:
	s_delay_alu instid0(SALU_CYCLE_1)
	s_and_not1_b32 vcc_lo, exec_lo, s7
	s_cbranch_vccnz .LBB135_2454
; %bb.2447:
	global_load_u8 v8, v[5:6], off
	s_mov_b32 s7, 0
	s_mov_b32 s14, exec_lo
                                        ; implicit-def: $sgpr13
	s_waitcnt vmcnt(0)
	v_cmpx_lt_i16_e32 0x7f, v8
	s_xor_b32 s14, exec_lo, s14
	s_cbranch_execz .LBB135_2468
; %bb.2448:
	s_mov_b32 s7, -1
	s_mov_b32 s15, exec_lo
                                        ; implicit-def: $sgpr13
	v_cmpx_eq_u16_e32 0x80, v8
; %bb.2449:
	s_movk_i32 s13, 0x7e00
	s_xor_b32 s7, exec_lo, -1
; %bb.2450:
	s_or_b32 exec_lo, exec_lo, s15
	s_delay_alu instid0(SALU_CYCLE_1)
	s_and_b32 s7, s7, exec_lo
	s_or_saveexec_b32 s14, s14
	v_mov_b32_e32 v7, s13
	s_xor_b32 exec_lo, exec_lo, s14
	s_cbranch_execnz .LBB135_2469
.LBB135_2451:
	s_or_b32 exec_lo, exec_lo, s14
	s_and_saveexec_b32 s13, s7
	s_cbranch_execz .LBB135_2453
.LBB135_2452:
	v_and_b32_e32 v7, 0xffff, v8
	v_lshlrev_b32_e32 v8, 24, v8
	s_delay_alu instid0(VALU_DEP_2) | instskip(NEXT) | instid1(VALU_DEP_2)
	v_and_b32_e32 v10, 7, v7
	v_and_b32_e32 v8, 0x80000000, v8
	s_delay_alu instid0(VALU_DEP_2) | instskip(NEXT) | instid1(VALU_DEP_1)
	v_clz_i32_u32_e32 v15, v10
	v_min_u32_e32 v15, 32, v15
	s_delay_alu instid0(VALU_DEP_1) | instskip(SKIP_1) | instid1(VALU_DEP_2)
	v_subrev_nc_u32_e32 v16, 28, v15
	v_sub_nc_u32_e32 v15, 29, v15
	v_lshlrev_b32_e32 v16, v16, v7
	v_bfe_u32 v7, v7, 3, 4
	s_delay_alu instid0(VALU_DEP_1) | instskip(NEXT) | instid1(VALU_DEP_3)
	v_cmp_eq_u32_e32 vcc_lo, 0, v7
	v_dual_cndmask_b32 v7, v7, v15 :: v_dual_and_b32 v16, 7, v16
	s_delay_alu instid0(VALU_DEP_1) | instskip(NEXT) | instid1(VALU_DEP_2)
	v_cndmask_b32_e32 v10, v10, v16, vcc_lo
	v_lshl_add_u32 v7, v7, 23, 0x3b800000
	s_delay_alu instid0(VALU_DEP_2) | instskip(NEXT) | instid1(VALU_DEP_1)
	v_lshlrev_b32_e32 v10, 20, v10
	v_or3_b32 v7, v8, v7, v10
	s_delay_alu instid0(VALU_DEP_1)
	v_cvt_f16_f32_e32 v7, v7
.LBB135_2453:
	s_or_b32 exec_lo, exec_lo, s13
.LBB135_2454:
	s_mov_b32 s7, -1
.LBB135_2455:
	s_mov_b32 s13, 0
.LBB135_2456:
	s_delay_alu instid0(SALU_CYCLE_1)
	s_and_b32 vcc_lo, exec_lo, s13
	s_cbranch_vccz .LBB135_2489
; %bb.2457:
	v_cmp_lt_i16_e32 vcc_lo, 22, v14
	s_cbranch_vccz .LBB135_2467
; %bb.2458:
	v_cmp_gt_i16_e32 vcc_lo, 24, v14
	s_cbranch_vccnz .LBB135_2470
; %bb.2459:
	v_cmp_lt_i16_e32 vcc_lo, 24, v14
	s_cbranch_vccz .LBB135_2471
; %bb.2460:
	global_load_u8 v8, v[5:6], off
	s_mov_b32 s13, exec_lo
                                        ; implicit-def: $sgpr7
	s_waitcnt vmcnt(0)
	v_cmpx_lt_i16_e32 0x7f, v8
	s_xor_b32 s13, exec_lo, s13
	s_cbranch_execz .LBB135_2483
; %bb.2461:
	s_mov_b32 s6, -1
	s_mov_b32 s14, exec_lo
                                        ; implicit-def: $sgpr7
	v_cmpx_eq_u16_e32 0x80, v8
; %bb.2462:
	s_movk_i32 s7, 0x7e00
	s_xor_b32 s6, exec_lo, -1
; %bb.2463:
	s_or_b32 exec_lo, exec_lo, s14
	s_delay_alu instid0(SALU_CYCLE_1)
	s_and_b32 s6, s6, exec_lo
	s_or_saveexec_b32 s13, s13
	v_mov_b32_e32 v7, s7
	s_xor_b32 exec_lo, exec_lo, s13
	s_cbranch_execnz .LBB135_2484
.LBB135_2464:
	s_or_b32 exec_lo, exec_lo, s13
	s_and_saveexec_b32 s7, s6
	s_cbranch_execz .LBB135_2466
.LBB135_2465:
	v_and_b32_e32 v7, 0xffff, v8
	v_lshlrev_b32_e32 v8, 24, v8
	s_delay_alu instid0(VALU_DEP_2) | instskip(NEXT) | instid1(VALU_DEP_2)
	v_and_b32_e32 v10, 3, v7
	v_and_b32_e32 v8, 0x80000000, v8
	s_delay_alu instid0(VALU_DEP_2) | instskip(NEXT) | instid1(VALU_DEP_1)
	v_clz_i32_u32_e32 v15, v10
	v_min_u32_e32 v15, 32, v15
	s_delay_alu instid0(VALU_DEP_1) | instskip(SKIP_1) | instid1(VALU_DEP_2)
	v_subrev_nc_u32_e32 v16, 29, v15
	v_sub_nc_u32_e32 v15, 30, v15
	v_lshlrev_b32_e32 v16, v16, v7
	v_bfe_u32 v7, v7, 2, 5
	s_delay_alu instid0(VALU_DEP_1) | instskip(NEXT) | instid1(VALU_DEP_3)
	v_cmp_eq_u32_e32 vcc_lo, 0, v7
	v_dual_cndmask_b32 v7, v7, v15 :: v_dual_and_b32 v16, 3, v16
	s_delay_alu instid0(VALU_DEP_1) | instskip(NEXT) | instid1(VALU_DEP_2)
	v_cndmask_b32_e32 v10, v10, v16, vcc_lo
	v_lshl_add_u32 v7, v7, 23, 0x37800000
	s_delay_alu instid0(VALU_DEP_2) | instskip(NEXT) | instid1(VALU_DEP_1)
	v_lshlrev_b32_e32 v10, 21, v10
	v_or3_b32 v7, v8, v7, v10
	s_delay_alu instid0(VALU_DEP_1)
	v_cvt_f16_f32_e32 v7, v7
.LBB135_2466:
	s_or_b32 exec_lo, exec_lo, s7
	s_mov_b32 s6, 0
	s_branch .LBB135_2472
.LBB135_2467:
	s_mov_b32 s6, -1
                                        ; implicit-def: $vgpr7
	s_branch .LBB135_2478
.LBB135_2468:
	s_or_saveexec_b32 s14, s14
	v_mov_b32_e32 v7, s13
	s_xor_b32 exec_lo, exec_lo, s14
	s_cbranch_execz .LBB135_2451
.LBB135_2469:
	v_cmp_ne_u16_e32 vcc_lo, 0, v8
	v_mov_b32_e32 v7, v8
	s_and_not1_b32 s7, s7, exec_lo
	s_and_b32 s13, vcc_lo, exec_lo
	s_delay_alu instid0(SALU_CYCLE_1)
	s_or_b32 s7, s7, s13
	s_or_b32 exec_lo, exec_lo, s14
	s_and_saveexec_b32 s13, s7
	s_cbranch_execnz .LBB135_2452
	s_branch .LBB135_2453
.LBB135_2470:
	s_mov_b32 s6, -1
                                        ; implicit-def: $vgpr7
	s_branch .LBB135_2475
.LBB135_2471:
	s_mov_b32 s6, -1
                                        ; implicit-def: $vgpr7
.LBB135_2472:
	s_delay_alu instid0(SALU_CYCLE_1)
	s_and_b32 vcc_lo, exec_lo, s6
	s_cbranch_vccz .LBB135_2474
; %bb.2473:
	global_load_u8 v7, v[5:6], off
	s_waitcnt vmcnt(0)
	v_lshlrev_b32_e32 v7, 24, v7
	s_delay_alu instid0(VALU_DEP_1) | instskip(NEXT) | instid1(VALU_DEP_1)
	v_and_b32_e32 v8, 0x7f000000, v7
	v_clz_i32_u32_e32 v10, v8
	v_add_nc_u32_e32 v16, 0x1000000, v8
	v_cmp_ne_u32_e32 vcc_lo, 0, v8
	s_delay_alu instid0(VALU_DEP_3) | instskip(NEXT) | instid1(VALU_DEP_1)
	v_min_u32_e32 v10, 32, v10
	v_sub_nc_u32_e64 v10, v10, 4 clamp
	s_delay_alu instid0(VALU_DEP_1) | instskip(SKIP_1) | instid1(VALU_DEP_2)
	v_lshlrev_b32_e32 v15, v10, v8
	v_lshlrev_b32_e32 v10, 23, v10
	v_lshrrev_b32_e32 v15, 4, v15
	s_delay_alu instid0(VALU_DEP_1) | instskip(SKIP_1) | instid1(VALU_DEP_2)
	v_sub_nc_u32_e32 v10, v15, v10
	v_ashrrev_i32_e32 v15, 8, v16
	v_add_nc_u32_e32 v10, 0x3c000000, v10
	s_delay_alu instid0(VALU_DEP_1) | instskip(NEXT) | instid1(VALU_DEP_1)
	v_and_or_b32 v10, 0x7f800000, v15, v10
	v_cndmask_b32_e32 v8, 0, v10, vcc_lo
	s_delay_alu instid0(VALU_DEP_1) | instskip(NEXT) | instid1(VALU_DEP_1)
	v_and_or_b32 v7, 0x80000000, v7, v8
	v_cvt_f16_f32_e32 v7, v7
.LBB135_2474:
	s_mov_b32 s6, 0
.LBB135_2475:
	s_delay_alu instid0(SALU_CYCLE_1)
	s_and_not1_b32 vcc_lo, exec_lo, s6
	s_cbranch_vccnz .LBB135_2477
; %bb.2476:
	global_load_u8 v7, v[5:6], off
	s_waitcnt vmcnt(0)
	v_lshlrev_b32_e32 v8, 25, v7
	v_lshlrev_b16 v7, 8, v7
	s_delay_alu instid0(VALU_DEP_2) | instskip(NEXT) | instid1(VALU_DEP_2)
	v_lshrrev_b32_e32 v10, 4, v8
	v_and_or_b32 v15, 0x7f00, v7, 0.5
	v_cmp_gt_u32_e32 vcc_lo, 0x8000000, v8
	v_bfe_i32 v7, v7, 0, 16
	s_delay_alu instid0(VALU_DEP_4) | instskip(NEXT) | instid1(VALU_DEP_1)
	v_or_b32_e32 v10, 0x70000000, v10
	v_dual_add_f32 v15, -0.5, v15 :: v_dual_mul_f32 v10, 0x7800000, v10
	s_delay_alu instid0(VALU_DEP_1) | instskip(NEXT) | instid1(VALU_DEP_1)
	v_cndmask_b32_e32 v8, v10, v15, vcc_lo
	v_and_or_b32 v7, 0x80000000, v7, v8
	s_delay_alu instid0(VALU_DEP_1)
	v_cvt_f16_f32_e32 v7, v7
.LBB135_2477:
	s_mov_b32 s6, 0
	s_mov_b32 s7, -1
.LBB135_2478:
	s_and_not1_b32 vcc_lo, exec_lo, s6
	s_mov_b32 s6, 0
	s_cbranch_vccnz .LBB135_2489
; %bb.2479:
	v_cmp_lt_i16_e32 vcc_lo, 14, v14
	s_cbranch_vccz .LBB135_2482
; %bb.2480:
	v_cmp_eq_u16_e32 vcc_lo, 15, v14
	s_cbranch_vccz .LBB135_2485
; %bb.2481:
	global_load_u16 v7, v[5:6], off
	s_mov_b32 s0, 0
	s_mov_b32 s7, -1
	s_waitcnt vmcnt(0)
	v_lshlrev_b32_e32 v7, 16, v7
	s_delay_alu instid0(VALU_DEP_1)
	v_cvt_f16_f32_e32 v7, v7
	s_branch .LBB135_2487
.LBB135_2482:
	s_mov_b32 s6, -1
	s_branch .LBB135_2486
.LBB135_2483:
	s_or_saveexec_b32 s13, s13
	v_mov_b32_e32 v7, s7
	s_xor_b32 exec_lo, exec_lo, s13
	s_cbranch_execz .LBB135_2464
.LBB135_2484:
	v_cmp_ne_u16_e32 vcc_lo, 0, v8
	v_mov_b32_e32 v7, v8
	s_and_not1_b32 s6, s6, exec_lo
	s_and_b32 s7, vcc_lo, exec_lo
	s_delay_alu instid0(SALU_CYCLE_1)
	s_or_b32 s6, s6, s7
	s_or_b32 exec_lo, exec_lo, s13
	s_and_saveexec_b32 s7, s6
	s_cbranch_execnz .LBB135_2465
	s_branch .LBB135_2466
.LBB135_2485:
	s_mov_b32 s0, -1
.LBB135_2486:
                                        ; implicit-def: $vgpr7
.LBB135_2487:
	s_and_b32 vcc_lo, exec_lo, s6
	s_mov_b32 s6, 0
	s_cbranch_vccz .LBB135_2489
; %bb.2488:
	v_cmp_ne_u16_e64 s0, 11, v14
	s_mov_b32 s6, -1
                                        ; implicit-def: $vgpr7
.LBB135_2489:
	s_delay_alu instid0(VALU_DEP_1)
	s_and_b32 vcc_lo, exec_lo, s0
	s_cbranch_vccnz .LBB135_2554
; %bb.2490:
	s_and_not1_b32 vcc_lo, exec_lo, s6
	s_cbranch_vccnz .LBB135_2492
.LBB135_2491:
	global_load_u8 v7, v[5:6], off
	s_mov_b32 s7, -1
	s_waitcnt vmcnt(0)
	v_cmp_ne_u16_e32 vcc_lo, 0, v7
	v_cndmask_b32_e64 v7, 0, 0x3c00, vcc_lo
.LBB135_2492:
	s_mov_b32 s0, 0
.LBB135_2493:
	s_delay_alu instid0(SALU_CYCLE_1)
	s_and_b32 vcc_lo, exec_lo, s0
	s_cbranch_vccz .LBB135_2542
; %bb.2494:
	v_cmp_gt_i16_e32 vcc_lo, 5, v14
	s_cbranch_vccnz .LBB135_2499
; %bb.2495:
	v_cmp_gt_i16_e32 vcc_lo, 8, v14
	s_cbranch_vccnz .LBB135_2500
	;; [unrolled: 3-line block ×3, first 2 shown]
; %bb.2497:
	v_cmp_lt_i16_e32 vcc_lo, 9, v14
	s_cbranch_vccz .LBB135_2502
; %bb.2498:
	global_load_b64 v[7:8], v[5:6], off
	s_mov_b32 s0, 0
	s_waitcnt vmcnt(0)
	v_cvt_f32_f64_e32 v7, v[7:8]
	s_delay_alu instid0(VALU_DEP_1)
	v_cvt_f16_f32_e32 v7, v7
	s_branch .LBB135_2503
.LBB135_2499:
	s_mov_b32 s0, -1
                                        ; implicit-def: $vgpr7
	s_branch .LBB135_2521
.LBB135_2500:
	s_mov_b32 s0, -1
                                        ; implicit-def: $vgpr7
	s_branch .LBB135_2509
.LBB135_2501:
	s_mov_b32 s0, -1
                                        ; implicit-def: $vgpr7
	s_branch .LBB135_2506
.LBB135_2502:
	s_mov_b32 s0, -1
                                        ; implicit-def: $vgpr7
.LBB135_2503:
	s_delay_alu instid0(SALU_CYCLE_1)
	s_and_not1_b32 vcc_lo, exec_lo, s0
	s_cbranch_vccnz .LBB135_2505
; %bb.2504:
	global_load_b32 v7, v[5:6], off
	s_waitcnt vmcnt(0)
	v_cvt_f16_f32_e32 v7, v7
.LBB135_2505:
	s_mov_b32 s0, 0
.LBB135_2506:
	s_delay_alu instid0(SALU_CYCLE_1)
	s_and_not1_b32 vcc_lo, exec_lo, s0
	s_cbranch_vccnz .LBB135_2508
; %bb.2507:
	global_load_b32 v7, v[5:6], off
.LBB135_2508:
	s_mov_b32 s0, 0
.LBB135_2509:
	s_delay_alu instid0(SALU_CYCLE_1)
	s_and_not1_b32 vcc_lo, exec_lo, s0
	s_cbranch_vccnz .LBB135_2520
; %bb.2510:
	v_cmp_gt_i16_e32 vcc_lo, 6, v14
	s_cbranch_vccnz .LBB135_2513
; %bb.2511:
	v_cmp_lt_i16_e32 vcc_lo, 6, v14
	s_cbranch_vccz .LBB135_2514
; %bb.2512:
	global_load_b64 v[7:8], v[5:6], off
	s_mov_b32 s0, 0
	s_waitcnt vmcnt(0)
	v_cvt_f32_f64_e32 v7, v[7:8]
	s_delay_alu instid0(VALU_DEP_1)
	v_cvt_f16_f32_e32 v7, v7
	s_branch .LBB135_2515
.LBB135_2513:
	s_mov_b32 s0, -1
                                        ; implicit-def: $vgpr7
	s_branch .LBB135_2518
.LBB135_2514:
	s_mov_b32 s0, -1
                                        ; implicit-def: $vgpr7
.LBB135_2515:
	s_delay_alu instid0(SALU_CYCLE_1)
	s_and_not1_b32 vcc_lo, exec_lo, s0
	s_cbranch_vccnz .LBB135_2517
; %bb.2516:
	global_load_b32 v7, v[5:6], off
	s_waitcnt vmcnt(0)
	v_cvt_f16_f32_e32 v7, v7
.LBB135_2517:
	s_mov_b32 s0, 0
.LBB135_2518:
	s_delay_alu instid0(SALU_CYCLE_1)
	s_and_not1_b32 vcc_lo, exec_lo, s0
	s_cbranch_vccnz .LBB135_2520
; %bb.2519:
	global_load_u16 v7, v[5:6], off
.LBB135_2520:
	s_mov_b32 s0, 0
.LBB135_2521:
	s_delay_alu instid0(SALU_CYCLE_1)
	s_and_not1_b32 vcc_lo, exec_lo, s0
	s_cbranch_vccnz .LBB135_2541
; %bb.2522:
	v_cmp_gt_i16_e32 vcc_lo, 2, v14
	s_cbranch_vccnz .LBB135_2526
; %bb.2523:
	v_cmp_gt_i16_e32 vcc_lo, 3, v14
	s_cbranch_vccnz .LBB135_2527
; %bb.2524:
	v_cmp_lt_i16_e32 vcc_lo, 3, v14
	s_cbranch_vccz .LBB135_2528
; %bb.2525:
	global_load_b64 v[7:8], v[5:6], off
	s_mov_b32 s0, 0
	s_waitcnt vmcnt(0)
	v_xor_b32_e32 v10, v7, v8
	v_cls_i32_e32 v15, v8
	s_delay_alu instid0(VALU_DEP_2) | instskip(NEXT) | instid1(VALU_DEP_2)
	v_ashrrev_i32_e32 v10, 31, v10
	v_add_nc_u32_e32 v15, -1, v15
	s_delay_alu instid0(VALU_DEP_2) | instskip(NEXT) | instid1(VALU_DEP_1)
	v_add_nc_u32_e32 v10, 32, v10
	v_min_u32_e32 v10, v15, v10
	s_delay_alu instid0(VALU_DEP_1) | instskip(NEXT) | instid1(VALU_DEP_1)
	v_lshlrev_b64 v[7:8], v10, v[7:8]
	v_min_u32_e32 v7, 1, v7
	s_delay_alu instid0(VALU_DEP_1) | instskip(SKIP_1) | instid1(VALU_DEP_2)
	v_or_b32_e32 v7, v8, v7
	v_sub_nc_u32_e32 v8, 32, v10
	v_cvt_f32_i32_e32 v7, v7
	s_delay_alu instid0(VALU_DEP_1) | instskip(NEXT) | instid1(VALU_DEP_1)
	v_ldexp_f32 v7, v7, v8
	v_cvt_f16_f32_e32 v7, v7
	s_branch .LBB135_2529
.LBB135_2526:
	s_mov_b32 s0, -1
                                        ; implicit-def: $vgpr7
	s_branch .LBB135_2535
.LBB135_2527:
	s_mov_b32 s0, -1
                                        ; implicit-def: $vgpr7
	s_branch .LBB135_2532
.LBB135_2528:
	s_mov_b32 s0, -1
                                        ; implicit-def: $vgpr7
.LBB135_2529:
	s_delay_alu instid0(SALU_CYCLE_1)
	s_and_not1_b32 vcc_lo, exec_lo, s0
	s_cbranch_vccnz .LBB135_2531
; %bb.2530:
	global_load_b32 v7, v[5:6], off
	s_waitcnt vmcnt(0)
	v_cvt_f32_i32_e32 v7, v7
	s_delay_alu instid0(VALU_DEP_1)
	v_cvt_f16_f32_e32 v7, v7
.LBB135_2531:
	s_mov_b32 s0, 0
.LBB135_2532:
	s_delay_alu instid0(SALU_CYCLE_1)
	s_and_not1_b32 vcc_lo, exec_lo, s0
	s_cbranch_vccnz .LBB135_2534
; %bb.2533:
	global_load_u16 v7, v[5:6], off
	s_waitcnt vmcnt(0)
	v_cvt_f16_i16_e32 v7, v7
.LBB135_2534:
	s_mov_b32 s0, 0
.LBB135_2535:
	s_delay_alu instid0(SALU_CYCLE_1)
	s_and_not1_b32 vcc_lo, exec_lo, s0
	s_cbranch_vccnz .LBB135_2541
; %bb.2536:
	v_cmp_lt_i16_e32 vcc_lo, 0, v14
	s_mov_b32 s0, 0
	s_cbranch_vccz .LBB135_2538
; %bb.2537:
	global_load_i8 v7, v[5:6], off
	s_waitcnt vmcnt(0)
	v_cvt_f16_i16_e32 v7, v7
	s_branch .LBB135_2539
.LBB135_2538:
	s_mov_b32 s0, -1
                                        ; implicit-def: $vgpr7
.LBB135_2539:
	s_delay_alu instid0(SALU_CYCLE_1)
	s_and_not1_b32 vcc_lo, exec_lo, s0
	s_cbranch_vccnz .LBB135_2541
; %bb.2540:
	global_load_u8 v5, v[5:6], off
	s_waitcnt vmcnt(0)
	v_cvt_f16_u16_e32 v7, v5
.LBB135_2541:
	s_mov_b32 s7, -1
.LBB135_2542:
	s_delay_alu instid0(SALU_CYCLE_1)
	s_and_not1_b32 vcc_lo, exec_lo, s7
	s_cbranch_vccnz .LBB135_3064
; %bb.2543:
	v_cmp_gt_i16_e32 vcc_lo, 11, v12
	v_add_co_u32 v4, s0, s2, v4
	s_delay_alu instid0(VALU_DEP_1)
	v_add_co_ci_u32_e64 v5, null, s3, 0, s0
	s_mov_b32 s3, 0
	s_cbranch_vccnz .LBB135_2550
; %bb.2544:
	v_cmp_lt_i16_e32 vcc_lo, 25, v12
	s_mov_b32 s0, 0
	s_cbranch_vccz .LBB135_2551
; %bb.2545:
	v_cmp_lt_i16_e32 vcc_lo, 28, v12
	s_cbranch_vccz .LBB135_2552
; %bb.2546:
	v_cmp_lt_i16_e32 vcc_lo, 43, v12
	;; [unrolled: 3-line block ×3, first 2 shown]
	s_cbranch_vccz .LBB135_2556
; %bb.2548:
	v_cmp_eq_u16_e32 vcc_lo, 46, v12
	s_mov_b32 s7, 0
	s_cbranch_vccz .LBB135_2559
; %bb.2549:
	global_load_b32 v6, v[4:5], off
	s_mov_b32 s2, 0
	s_mov_b32 s3, -1
	s_waitcnt vmcnt(0)
	v_and_b32_e32 v6, 0x7fff7fff, v6
	s_delay_alu instid0(VALU_DEP_1)
	v_cmp_ne_u32_e32 vcc_lo, 0, v6
	s_and_b32 s6, vcc_lo, exec_lo
	s_branch .LBB135_2561
.LBB135_2550:
	s_mov_b32 s0, -1
                                        ; implicit-def: $sgpr6
	s_branch .LBB135_2625
.LBB135_2551:
	s_mov_b32 s7, -1
	s_mov_b32 s2, 0
                                        ; implicit-def: $sgpr6
	s_branch .LBB135_2588
.LBB135_2552:
	s_mov_b32 s7, -1
	s_mov_b32 s2, 0
                                        ; implicit-def: $sgpr6
	s_branch .LBB135_2569
.LBB135_2553:
	s_mov_b32 s7, -1
	s_mov_b32 s2, 0
                                        ; implicit-def: $sgpr6
	s_branch .LBB135_2564
.LBB135_2554:
	s_cbranch_execnz .LBB135_2557
; %bb.2555:
	s_or_b32 s1, s1, exec_lo
                                        ; implicit-def: $vgpr7
	s_cbranch_execz .LBB135_2491
	s_branch .LBB135_2492
.LBB135_2556:
	s_mov_b32 s7, -1
	s_mov_b32 s2, 0
	s_branch .LBB135_2560
.LBB135_2557:
	s_trap 2
	s_sendmsg_rtn_b32 s0, sendmsg(MSG_RTN_GET_DOORBELL)
	s_mov_b32 ttmp2, m0
	s_waitcnt lgkmcnt(0)
	s_and_b32 s0, s0, 0x3ff
	s_delay_alu instid0(SALU_CYCLE_1) | instskip(NEXT) | instid1(SALU_CYCLE_1)
	s_bitset1_b32 s0, 10
	s_mov_b32 m0, s0
	s_sendmsg sendmsg(MSG_INTERRUPT)
	s_mov_b32 m0, ttmp2
.LBB135_2558:                           ; =>This Inner Loop Header: Depth=1
	s_sethalt 5
	s_branch .LBB135_2558
.LBB135_2559:
	s_mov_b32 s2, -1
.LBB135_2560:
                                        ; implicit-def: $sgpr6
.LBB135_2561:
	s_and_b32 vcc_lo, exec_lo, s7
	s_cbranch_vccz .LBB135_2563
; %bb.2562:
	v_cmp_ne_u16_e64 s2, 44, v12
	s_mov_b32 s3, -1
	s_or_b32 s6, s6, exec_lo
.LBB135_2563:
	s_mov_b32 s7, 0
.LBB135_2564:
	s_delay_alu instid0(SALU_CYCLE_1)
	s_and_b32 vcc_lo, exec_lo, s7
	s_cbranch_vccz .LBB135_2568
; %bb.2565:
	v_cmp_eq_u16_e32 vcc_lo, 29, v12
	s_cbranch_vccz .LBB135_2567
; %bb.2566:
	global_load_b64 v[14:15], v[4:5], off
	s_mov_b32 s2, 0
	s_mov_b32 s3, -1
	s_mov_b32 s7, 0
	s_waitcnt vmcnt(0)
	v_cmp_ne_u64_e32 vcc_lo, 0, v[14:15]
	s_and_b32 s6, vcc_lo, exec_lo
	s_branch .LBB135_2569
.LBB135_2567:
	s_mov_b32 s2, -1
                                        ; implicit-def: $sgpr6
.LBB135_2568:
	s_mov_b32 s7, 0
.LBB135_2569:
	s_delay_alu instid0(SALU_CYCLE_1)
	s_and_b32 vcc_lo, exec_lo, s7
	s_cbranch_vccz .LBB135_2587
; %bb.2570:
	v_cmp_gt_i16_e32 vcc_lo, 27, v12
	s_cbranch_vccnz .LBB135_2573
; %bb.2571:
	v_cmp_lt_i16_e32 vcc_lo, 27, v12
	s_cbranch_vccz .LBB135_2574
; %bb.2572:
	global_load_b32 v6, v[4:5], off
	s_mov_b32 s3, 0
	s_waitcnt vmcnt(0)
	v_cmp_ne_u32_e32 vcc_lo, 0, v6
	s_and_b32 s6, vcc_lo, exec_lo
	s_branch .LBB135_2575
.LBB135_2573:
	s_mov_b32 s3, -1
                                        ; implicit-def: $sgpr6
	s_branch .LBB135_2578
.LBB135_2574:
	s_mov_b32 s3, -1
                                        ; implicit-def: $sgpr6
.LBB135_2575:
	s_delay_alu instid0(SALU_CYCLE_1)
	s_and_not1_b32 vcc_lo, exec_lo, s3
	s_cbranch_vccnz .LBB135_2577
; %bb.2576:
	global_load_u16 v6, v[4:5], off
	s_and_not1_b32 s3, s6, exec_lo
	s_waitcnt vmcnt(0)
	v_cmp_ne_u16_e32 vcc_lo, 0, v6
	s_and_b32 s6, vcc_lo, exec_lo
	s_delay_alu instid0(SALU_CYCLE_1)
	s_or_b32 s6, s3, s6
.LBB135_2577:
	s_mov_b32 s3, 0
.LBB135_2578:
	s_delay_alu instid0(SALU_CYCLE_1)
	s_and_not1_b32 vcc_lo, exec_lo, s3
	s_cbranch_vccnz .LBB135_2586
; %bb.2579:
	global_load_u8 v6, v[4:5], off
	s_mov_b32 s3, 0
	s_mov_b32 s7, exec_lo
                                        ; implicit-def: $sgpr6
	s_waitcnt vmcnt(0)
	v_cmpx_lt_i16_e32 0x7f, v6
	s_xor_b32 s7, exec_lo, s7
	s_cbranch_execz .LBB135_2600
; %bb.2580:
	s_mov_b32 s3, -1
	s_mov_b32 s13, exec_lo
                                        ; implicit-def: $sgpr6
	v_cmpx_eq_u16_e32 0x80, v6
; %bb.2581:
	s_mov_b32 s6, -1
	s_xor_b32 s3, exec_lo, -1
; %bb.2582:
	s_or_b32 exec_lo, exec_lo, s13
	s_delay_alu instid0(SALU_CYCLE_1)
	s_and_b32 s3, s3, exec_lo
	s_and_not1_saveexec_b32 s7, s7
	s_cbranch_execnz .LBB135_2601
.LBB135_2583:
	s_or_b32 exec_lo, exec_lo, s7
	s_and_saveexec_b32 s7, s3
	s_cbranch_execz .LBB135_2585
.LBB135_2584:
	v_and_b32_e32 v6, 0xffff, v6
	s_and_not1_b32 s3, s6, exec_lo
	s_delay_alu instid0(VALU_DEP_1) | instskip(NEXT) | instid1(VALU_DEP_1)
	v_and_b32_e32 v8, 7, v6
	v_clz_i32_u32_e32 v10, v8
	s_delay_alu instid0(VALU_DEP_1) | instskip(NEXT) | instid1(VALU_DEP_1)
	v_min_u32_e32 v10, 32, v10
	v_subrev_nc_u32_e32 v14, 28, v10
	v_sub_nc_u32_e32 v10, 29, v10
	s_delay_alu instid0(VALU_DEP_2) | instskip(SKIP_1) | instid1(VALU_DEP_2)
	v_lshlrev_b32_e32 v14, v14, v6
	v_bfe_u32 v6, v6, 3, 4
	v_and_b32_e32 v14, 7, v14
	s_delay_alu instid0(VALU_DEP_2) | instskip(SKIP_1) | instid1(VALU_DEP_3)
	v_cmp_eq_u32_e32 vcc_lo, 0, v6
	v_cndmask_b32_e32 v6, v6, v10, vcc_lo
	v_cndmask_b32_e32 v8, v8, v14, vcc_lo
	s_delay_alu instid0(VALU_DEP_2) | instskip(NEXT) | instid1(VALU_DEP_2)
	v_lshl_add_u32 v6, v6, 23, 0x3b800000
	v_lshlrev_b32_e32 v8, 20, v8
	s_delay_alu instid0(VALU_DEP_1) | instskip(NEXT) | instid1(VALU_DEP_1)
	v_and_or_b32 v6, 0x7f800000, v6, v8
	v_cmp_ne_u32_e32 vcc_lo, 0, v6
	s_and_b32 s6, vcc_lo, exec_lo
	s_delay_alu instid0(SALU_CYCLE_1)
	s_or_b32 s6, s3, s6
.LBB135_2585:
	s_or_b32 exec_lo, exec_lo, s7
.LBB135_2586:
	s_mov_b32 s3, -1
.LBB135_2587:
	s_mov_b32 s7, 0
.LBB135_2588:
	s_delay_alu instid0(SALU_CYCLE_1)
	s_and_b32 vcc_lo, exec_lo, s7
	s_cbranch_vccz .LBB135_2621
; %bb.2589:
	v_cmp_lt_i16_e32 vcc_lo, 22, v12
	s_cbranch_vccz .LBB135_2599
; %bb.2590:
	v_cmp_gt_i16_e32 vcc_lo, 24, v12
	s_cbranch_vccnz .LBB135_2602
; %bb.2591:
	v_cmp_lt_i16_e32 vcc_lo, 24, v12
	s_cbranch_vccz .LBB135_2603
; %bb.2592:
	global_load_u8 v6, v[4:5], off
	s_mov_b32 s3, exec_lo
                                        ; implicit-def: $sgpr6
	s_waitcnt vmcnt(0)
	v_cmpx_lt_i16_e32 0x7f, v6
	s_xor_b32 s3, exec_lo, s3
	s_cbranch_execz .LBB135_2615
; %bb.2593:
	s_mov_b32 s0, -1
	s_mov_b32 s7, exec_lo
                                        ; implicit-def: $sgpr6
	v_cmpx_eq_u16_e32 0x80, v6
; %bb.2594:
	s_mov_b32 s6, -1
	s_xor_b32 s0, exec_lo, -1
; %bb.2595:
	s_or_b32 exec_lo, exec_lo, s7
	s_delay_alu instid0(SALU_CYCLE_1)
	s_and_b32 s0, s0, exec_lo
	s_and_not1_saveexec_b32 s3, s3
	s_cbranch_execnz .LBB135_2616
.LBB135_2596:
	s_or_b32 exec_lo, exec_lo, s3
	s_and_saveexec_b32 s3, s0
	s_cbranch_execz .LBB135_2598
.LBB135_2597:
	v_and_b32_e32 v6, 0xffff, v6
	s_and_not1_b32 s0, s6, exec_lo
	s_delay_alu instid0(VALU_DEP_1) | instskip(NEXT) | instid1(VALU_DEP_1)
	v_and_b32_e32 v8, 3, v6
	v_clz_i32_u32_e32 v10, v8
	s_delay_alu instid0(VALU_DEP_1) | instskip(NEXT) | instid1(VALU_DEP_1)
	v_min_u32_e32 v10, 32, v10
	v_subrev_nc_u32_e32 v14, 29, v10
	v_sub_nc_u32_e32 v10, 30, v10
	s_delay_alu instid0(VALU_DEP_2) | instskip(SKIP_1) | instid1(VALU_DEP_2)
	v_lshlrev_b32_e32 v14, v14, v6
	v_bfe_u32 v6, v6, 2, 5
	v_and_b32_e32 v14, 3, v14
	s_delay_alu instid0(VALU_DEP_2) | instskip(SKIP_1) | instid1(VALU_DEP_3)
	v_cmp_eq_u32_e32 vcc_lo, 0, v6
	v_cndmask_b32_e32 v6, v6, v10, vcc_lo
	v_cndmask_b32_e32 v8, v8, v14, vcc_lo
	s_delay_alu instid0(VALU_DEP_2) | instskip(NEXT) | instid1(VALU_DEP_2)
	v_lshl_add_u32 v6, v6, 23, 0x37800000
	v_lshlrev_b32_e32 v8, 21, v8
	s_delay_alu instid0(VALU_DEP_1) | instskip(NEXT) | instid1(VALU_DEP_1)
	v_and_or_b32 v6, 0x7f800000, v6, v8
	v_cmp_ne_u32_e32 vcc_lo, 0, v6
	s_and_b32 s6, vcc_lo, exec_lo
	s_delay_alu instid0(SALU_CYCLE_1)
	s_or_b32 s6, s0, s6
.LBB135_2598:
	s_or_b32 exec_lo, exec_lo, s3
	s_mov_b32 s0, 0
	s_branch .LBB135_2604
.LBB135_2599:
	s_mov_b32 s0, -1
                                        ; implicit-def: $sgpr6
	s_branch .LBB135_2610
.LBB135_2600:
	s_and_not1_saveexec_b32 s7, s7
	s_cbranch_execz .LBB135_2583
.LBB135_2601:
	v_cmp_ne_u16_e32 vcc_lo, 0, v6
	s_and_not1_b32 s3, s3, exec_lo
	s_and_not1_b32 s6, s6, exec_lo
	s_and_b32 s13, vcc_lo, exec_lo
	s_delay_alu instid0(SALU_CYCLE_1)
	s_or_b32 s3, s3, s13
	s_or_b32 exec_lo, exec_lo, s7
	s_and_saveexec_b32 s7, s3
	s_cbranch_execnz .LBB135_2584
	s_branch .LBB135_2585
.LBB135_2602:
	s_mov_b32 s0, -1
                                        ; implicit-def: $sgpr6
	s_branch .LBB135_2607
.LBB135_2603:
	s_mov_b32 s0, -1
                                        ; implicit-def: $sgpr6
.LBB135_2604:
	s_delay_alu instid0(SALU_CYCLE_1)
	s_and_b32 vcc_lo, exec_lo, s0
	s_cbranch_vccz .LBB135_2606
; %bb.2605:
	global_load_u8 v6, v[4:5], off
	s_and_not1_b32 s3, s6, exec_lo
	s_waitcnt vmcnt(0)
	v_lshlrev_b32_e32 v6, 24, v6
	s_delay_alu instid0(VALU_DEP_1) | instskip(NEXT) | instid1(VALU_DEP_1)
	v_and_b32_e32 v6, 0x7f000000, v6
	v_clz_i32_u32_e32 v8, v6
	v_add_nc_u32_e32 v14, 0x1000000, v6
	v_cmp_ne_u32_e32 vcc_lo, 0, v6
	s_delay_alu instid0(VALU_DEP_3) | instskip(NEXT) | instid1(VALU_DEP_3)
	v_min_u32_e32 v8, 32, v8
	v_ashrrev_i32_e32 v14, 8, v14
	s_delay_alu instid0(VALU_DEP_2) | instskip(NEXT) | instid1(VALU_DEP_1)
	v_sub_nc_u32_e64 v8, v8, 4 clamp
	v_lshlrev_b32_e32 v10, v8, v6
	v_lshlrev_b32_e32 v8, 23, v8
	s_delay_alu instid0(VALU_DEP_2) | instskip(NEXT) | instid1(VALU_DEP_1)
	v_lshrrev_b32_e32 v10, 4, v10
	v_sub_nc_u32_e32 v8, v10, v8
	v_and_b32_e32 v10, 0x7f800000, v14
	s_delay_alu instid0(VALU_DEP_2) | instskip(NEXT) | instid1(VALU_DEP_1)
	v_add_nc_u32_e32 v8, 0x3c000000, v8
	v_and_or_b32 v8, 0x7ff00000, v8, v10
	s_delay_alu instid0(VALU_DEP_1) | instskip(NEXT) | instid1(VALU_DEP_1)
	v_cmp_ne_u32_e64 s0, 0, v8
	s_and_b32 s0, vcc_lo, s0
	s_delay_alu instid0(SALU_CYCLE_1) | instskip(NEXT) | instid1(SALU_CYCLE_1)
	s_and_b32 s0, s0, exec_lo
	s_or_b32 s6, s3, s0
.LBB135_2606:
	s_mov_b32 s0, 0
.LBB135_2607:
	s_delay_alu instid0(SALU_CYCLE_1)
	s_and_not1_b32 vcc_lo, exec_lo, s0
	s_cbranch_vccnz .LBB135_2609
; %bb.2608:
	global_load_u8 v6, v[4:5], off
	s_and_not1_b32 s0, s6, exec_lo
	s_waitcnt vmcnt(0)
	v_lshlrev_b32_e32 v8, 25, v6
	v_lshlrev_b32_e32 v6, 8, v6
	s_delay_alu instid0(VALU_DEP_2) | instskip(NEXT) | instid1(VALU_DEP_2)
	v_lshrrev_b32_e32 v10, 4, v8
	v_and_or_b32 v6, 0x7f00, v6, 0.5
	v_cmp_gt_u32_e32 vcc_lo, 0x8000000, v8
	s_delay_alu instid0(VALU_DEP_3) | instskip(NEXT) | instid1(VALU_DEP_3)
	v_or_b32_e32 v10, 0x70000000, v10
	v_add_f32_e32 v6, -0.5, v6
	s_delay_alu instid0(VALU_DEP_2) | instskip(NEXT) | instid1(VALU_DEP_1)
	v_mul_f32_e32 v10, 0x7800000, v10
	v_cndmask_b32_e32 v6, v10, v6, vcc_lo
	s_delay_alu instid0(VALU_DEP_1) | instskip(SKIP_1) | instid1(SALU_CYCLE_1)
	v_cmp_neq_f32_e32 vcc_lo, 0, v6
	s_and_b32 s3, vcc_lo, exec_lo
	s_or_b32 s6, s0, s3
.LBB135_2609:
	s_mov_b32 s0, 0
	s_mov_b32 s3, -1
.LBB135_2610:
	s_and_not1_b32 vcc_lo, exec_lo, s0
	s_mov_b32 s0, 0
	s_cbranch_vccnz .LBB135_2621
; %bb.2611:
	v_cmp_lt_i16_e32 vcc_lo, 14, v12
	s_cbranch_vccz .LBB135_2614
; %bb.2612:
	v_cmp_eq_u16_e32 vcc_lo, 15, v12
	s_cbranch_vccz .LBB135_2617
; %bb.2613:
	global_load_u16 v6, v[4:5], off
	s_mov_b32 s2, 0
	s_mov_b32 s3, -1
	s_waitcnt vmcnt(0)
	v_and_b32_e32 v6, 0x7fff, v6
	s_delay_alu instid0(VALU_DEP_1)
	v_cmp_ne_u16_e32 vcc_lo, 0, v6
	s_and_b32 s6, vcc_lo, exec_lo
	s_branch .LBB135_2619
.LBB135_2614:
	s_mov_b32 s0, -1
	s_branch .LBB135_2618
.LBB135_2615:
	s_and_not1_saveexec_b32 s3, s3
	s_cbranch_execz .LBB135_2596
.LBB135_2616:
	v_cmp_ne_u16_e32 vcc_lo, 0, v6
	s_and_not1_b32 s0, s0, exec_lo
	s_and_not1_b32 s6, s6, exec_lo
	s_and_b32 s7, vcc_lo, exec_lo
	s_delay_alu instid0(SALU_CYCLE_1)
	s_or_b32 s0, s0, s7
	s_or_b32 exec_lo, exec_lo, s3
	s_and_saveexec_b32 s3, s0
	s_cbranch_execnz .LBB135_2597
	s_branch .LBB135_2598
.LBB135_2617:
	s_mov_b32 s2, -1
.LBB135_2618:
                                        ; implicit-def: $sgpr6
.LBB135_2619:
	s_and_b32 vcc_lo, exec_lo, s0
	s_mov_b32 s0, 0
	s_cbranch_vccz .LBB135_2621
; %bb.2620:
	v_cmp_ne_u16_e64 s2, 11, v12
	s_mov_b32 s0, -1
	s_and_not1_b32 s6, s6, exec_lo
.LBB135_2621:
	s_delay_alu instid0(VALU_DEP_1)
	s_and_b32 vcc_lo, exec_lo, s2
	s_cbranch_vccnz .LBB135_2684
; %bb.2622:
	s_and_not1_b32 vcc_lo, exec_lo, s0
	s_cbranch_vccnz .LBB135_2624
.LBB135_2623:
	global_load_u8 v6, v[4:5], off
	s_and_not1_b32 s0, s6, exec_lo
	s_mov_b32 s3, -1
	s_waitcnt vmcnt(0)
	v_cmp_ne_u16_e32 vcc_lo, 0, v6
	s_and_b32 s2, vcc_lo, exec_lo
	s_delay_alu instid0(SALU_CYCLE_1)
	s_or_b32 s6, s0, s2
.LBB135_2624:
	s_mov_b32 s0, 0
.LBB135_2625:
	s_delay_alu instid0(SALU_CYCLE_1)
	s_and_b32 vcc_lo, exec_lo, s0
	s_cbranch_vccz .LBB135_2674
; %bb.2626:
	v_cmp_gt_i16_e32 vcc_lo, 5, v12
	s_cbranch_vccnz .LBB135_2631
; %bb.2627:
	v_cmp_gt_i16_e32 vcc_lo, 8, v12
	s_cbranch_vccnz .LBB135_2632
	;; [unrolled: 3-line block ×3, first 2 shown]
; %bb.2629:
	v_cmp_lt_i16_e32 vcc_lo, 9, v12
	s_cbranch_vccz .LBB135_2634
; %bb.2630:
	global_load_b128 v[14:17], v[4:5], off
	s_waitcnt vmcnt(0)
	v_cmp_neq_f64_e32 vcc_lo, 0, v[14:15]
	v_cmp_neq_f64_e64 s0, 0, v[16:17]
	s_delay_alu instid0(VALU_DEP_1)
	s_or_b32 s2, vcc_lo, s0
	s_mov_b32 s0, 0
	s_and_b32 s6, s2, exec_lo
	s_branch .LBB135_2635
.LBB135_2631:
	s_mov_b32 s0, -1
                                        ; implicit-def: $sgpr6
	s_branch .LBB135_2653
.LBB135_2632:
	s_mov_b32 s0, -1
                                        ; implicit-def: $sgpr6
	s_branch .LBB135_2641
.LBB135_2633:
	s_mov_b32 s0, -1
                                        ; implicit-def: $sgpr6
	s_branch .LBB135_2638
.LBB135_2634:
	s_mov_b32 s0, -1
                                        ; implicit-def: $sgpr6
.LBB135_2635:
	s_delay_alu instid0(SALU_CYCLE_1)
	s_and_not1_b32 vcc_lo, exec_lo, s0
	s_cbranch_vccnz .LBB135_2637
; %bb.2636:
	global_load_b64 v[14:15], v[4:5], off
	s_and_not1_b32 s0, s6, exec_lo
	s_waitcnt vmcnt(0)
	v_or_b32_e32 v6, v14, v15
	s_delay_alu instid0(VALU_DEP_1) | instskip(NEXT) | instid1(VALU_DEP_1)
	v_and_b32_e32 v6, 0x7fffffff, v6
	v_cmp_ne_u32_e32 vcc_lo, 0, v6
	s_and_b32 s2, vcc_lo, exec_lo
	s_delay_alu instid0(SALU_CYCLE_1)
	s_or_b32 s6, s0, s2
.LBB135_2637:
	s_mov_b32 s0, 0
.LBB135_2638:
	s_delay_alu instid0(SALU_CYCLE_1)
	s_and_not1_b32 vcc_lo, exec_lo, s0
	s_cbranch_vccnz .LBB135_2640
; %bb.2639:
	global_load_b32 v6, v[4:5], off
	s_and_not1_b32 s0, s6, exec_lo
	s_waitcnt vmcnt(0)
	v_and_b32_e32 v6, 0x7fff7fff, v6
	s_delay_alu instid0(VALU_DEP_1) | instskip(SKIP_1) | instid1(SALU_CYCLE_1)
	v_cmp_ne_u32_e32 vcc_lo, 0, v6
	s_and_b32 s2, vcc_lo, exec_lo
	s_or_b32 s6, s0, s2
.LBB135_2640:
	s_mov_b32 s0, 0
.LBB135_2641:
	s_delay_alu instid0(SALU_CYCLE_1)
	s_and_not1_b32 vcc_lo, exec_lo, s0
	s_cbranch_vccnz .LBB135_2652
; %bb.2642:
	v_cmp_gt_i16_e32 vcc_lo, 6, v12
	s_cbranch_vccnz .LBB135_2645
; %bb.2643:
	v_cmp_lt_i16_e32 vcc_lo, 6, v12
	s_cbranch_vccz .LBB135_2646
; %bb.2644:
	global_load_b64 v[14:15], v[4:5], off
	s_mov_b32 s0, 0
	s_waitcnt vmcnt(0)
	v_cmp_neq_f64_e32 vcc_lo, 0, v[14:15]
	s_and_b32 s6, vcc_lo, exec_lo
	s_branch .LBB135_2647
.LBB135_2645:
	s_mov_b32 s0, -1
                                        ; implicit-def: $sgpr6
	s_branch .LBB135_2650
.LBB135_2646:
	s_mov_b32 s0, -1
                                        ; implicit-def: $sgpr6
.LBB135_2647:
	s_delay_alu instid0(SALU_CYCLE_1)
	s_and_not1_b32 vcc_lo, exec_lo, s0
	s_cbranch_vccnz .LBB135_2649
; %bb.2648:
	global_load_b32 v6, v[4:5], off
	s_and_not1_b32 s0, s6, exec_lo
	s_waitcnt vmcnt(0)
	v_cmp_neq_f32_e32 vcc_lo, 0, v6
	s_and_b32 s2, vcc_lo, exec_lo
	s_delay_alu instid0(SALU_CYCLE_1)
	s_or_b32 s6, s0, s2
.LBB135_2649:
	s_mov_b32 s0, 0
.LBB135_2650:
	s_delay_alu instid0(SALU_CYCLE_1)
	s_and_not1_b32 vcc_lo, exec_lo, s0
	s_cbranch_vccnz .LBB135_2652
; %bb.2651:
	global_load_u16 v6, v[4:5], off
	s_and_not1_b32 s0, s6, exec_lo
	s_waitcnt vmcnt(0)
	v_and_b32_e32 v6, 0x7fff, v6
	s_delay_alu instid0(VALU_DEP_1) | instskip(SKIP_1) | instid1(SALU_CYCLE_1)
	v_cmp_ne_u16_e32 vcc_lo, 0, v6
	s_and_b32 s2, vcc_lo, exec_lo
	s_or_b32 s6, s0, s2
.LBB135_2652:
	s_mov_b32 s0, 0
.LBB135_2653:
	s_delay_alu instid0(SALU_CYCLE_1)
	s_and_not1_b32 vcc_lo, exec_lo, s0
	s_cbranch_vccnz .LBB135_2673
; %bb.2654:
	v_cmp_gt_i16_e32 vcc_lo, 2, v12
	s_cbranch_vccnz .LBB135_2658
; %bb.2655:
	v_cmp_gt_i16_e32 vcc_lo, 3, v12
	s_cbranch_vccnz .LBB135_2659
; %bb.2656:
	v_cmp_lt_i16_e32 vcc_lo, 3, v12
	s_cbranch_vccz .LBB135_2660
; %bb.2657:
	global_load_b64 v[14:15], v[4:5], off
	s_mov_b32 s0, 0
	s_waitcnt vmcnt(0)
	v_cmp_ne_u64_e32 vcc_lo, 0, v[14:15]
	s_and_b32 s6, vcc_lo, exec_lo
	s_branch .LBB135_2661
.LBB135_2658:
	s_mov_b32 s0, -1
                                        ; implicit-def: $sgpr6
	s_branch .LBB135_2667
.LBB135_2659:
	s_mov_b32 s0, -1
                                        ; implicit-def: $sgpr6
	s_branch .LBB135_2664
.LBB135_2660:
	s_mov_b32 s0, -1
                                        ; implicit-def: $sgpr6
.LBB135_2661:
	s_delay_alu instid0(SALU_CYCLE_1)
	s_and_not1_b32 vcc_lo, exec_lo, s0
	s_cbranch_vccnz .LBB135_2663
; %bb.2662:
	global_load_b32 v6, v[4:5], off
	s_and_not1_b32 s0, s6, exec_lo
	s_waitcnt vmcnt(0)
	v_cmp_ne_u32_e32 vcc_lo, 0, v6
	s_and_b32 s2, vcc_lo, exec_lo
	s_delay_alu instid0(SALU_CYCLE_1)
	s_or_b32 s6, s0, s2
.LBB135_2663:
	s_mov_b32 s0, 0
.LBB135_2664:
	s_delay_alu instid0(SALU_CYCLE_1)
	s_and_not1_b32 vcc_lo, exec_lo, s0
	s_cbranch_vccnz .LBB135_2666
; %bb.2665:
	global_load_u16 v6, v[4:5], off
	s_and_not1_b32 s0, s6, exec_lo
	s_waitcnt vmcnt(0)
	v_cmp_ne_u16_e32 vcc_lo, 0, v6
	s_and_b32 s2, vcc_lo, exec_lo
	s_delay_alu instid0(SALU_CYCLE_1)
	s_or_b32 s6, s0, s2
.LBB135_2666:
	s_mov_b32 s0, 0
.LBB135_2667:
	s_delay_alu instid0(SALU_CYCLE_1)
	s_and_not1_b32 vcc_lo, exec_lo, s0
	s_cbranch_vccnz .LBB135_2673
; %bb.2668:
	v_cmp_lt_i16_e32 vcc_lo, 0, v12
	s_mov_b32 s0, 0
	s_cbranch_vccz .LBB135_2670
; %bb.2669:
	global_load_u8 v6, v[4:5], off
	s_waitcnt vmcnt(0)
	v_cmp_ne_u16_e32 vcc_lo, 0, v6
	s_and_b32 s6, vcc_lo, exec_lo
	s_branch .LBB135_2671
.LBB135_2670:
	s_mov_b32 s0, -1
                                        ; implicit-def: $sgpr6
.LBB135_2671:
	s_delay_alu instid0(SALU_CYCLE_1)
	s_and_not1_b32 vcc_lo, exec_lo, s0
	s_cbranch_vccnz .LBB135_2673
; %bb.2672:
	global_load_u8 v4, v[4:5], off
	s_and_not1_b32 s0, s6, exec_lo
	s_waitcnt vmcnt(0)
	v_cmp_ne_u16_e32 vcc_lo, 0, v4
	s_and_b32 s2, vcc_lo, exec_lo
	s_delay_alu instid0(SALU_CYCLE_1)
	s_or_b32 s6, s0, s2
.LBB135_2673:
	s_mov_b32 s3, -1
.LBB135_2674:
	s_delay_alu instid0(SALU_CYCLE_1)
	s_and_not1_b32 vcc_lo, exec_lo, s3
	s_cbranch_vccnz .LBB135_3064
; %bb.2675:
	s_load_b64 s[2:3], s[20:21], 0x1a0
	v_cndmask_b32_e64 v4, 0, 1.0, s10
	v_cvt_f32_f16_e32 v5, v13
	v_add_co_u32 v3, s7, s4, v3
	s_mov_b32 s10, 0
	s_delay_alu instid0(VALU_DEP_2) | instskip(SKIP_2) | instid1(VALU_DEP_1)
	v_mul_f32_e32 v4, v5, v4
	s_waitcnt lgkmcnt(0)
	s_and_b32 s3, s3, 0xff
	v_fma_mixlo_f16 v5, s2, v4, 0
	v_cmp_lt_i16_e64 s0, s3, 11
	v_add_co_ci_u32_e64 v4, null, s5, 0, s7
	s_delay_alu instid0(VALU_DEP_2)
	s_and_b32 vcc_lo, exec_lo, s0
	s_mov_b32 s0, -1
	s_cbranch_vccnz .LBB135_2758
; %bb.2676:
	v_cmp_gt_i16_e64 s0, s3, 25
	s_mov_b32 s13, -1
	s_mov_b32 s7, 0
	s_delay_alu instid0(VALU_DEP_1)
	s_and_b32 vcc_lo, exec_lo, s0
	s_mov_b32 s0, 0
	s_cbranch_vccz .LBB135_2714
; %bb.2677:
	v_cmp_gt_i16_e64 s0, s3, 28
	s_delay_alu instid0(VALU_DEP_1)
	s_and_b32 vcc_lo, exec_lo, s0
	s_cbranch_vccz .LBB135_2682
; %bb.2678:
	v_cmp_gt_i16_e64 s0, s3, 43
	s_delay_alu instid0(VALU_DEP_1)
	s_and_b32 vcc_lo, exec_lo, s0
	;; [unrolled: 5-line block ×3, first 2 shown]
	s_cbranch_vccz .LBB135_2686
; %bb.2680:
	v_cmp_eq_u16_e64 s10, s3, 46
	s_mov_b32 s0, -1
	s_mov_b32 s13, 0
	s_delay_alu instid0(VALU_DEP_1)
	s_and_b32 vcc_lo, exec_lo, s10
	s_mov_b32 s10, 0
	s_cbranch_vccz .LBB135_2687
; %bb.2681:
	v_cvt_f32_f16_e32 v6, v5
	v_cmp_o_f16_e32 vcc_lo, v5, v5
	s_mov_b32 s0, 0
	s_mov_b32 s10, -1
	s_delay_alu instid0(VALU_DEP_2) | instskip(NEXT) | instid1(VALU_DEP_1)
	v_bfe_u32 v8, v6, 16, 1
	v_add3_u32 v6, v6, v8, 0x7fff
	s_delay_alu instid0(VALU_DEP_1) | instskip(NEXT) | instid1(VALU_DEP_1)
	v_lshrrev_b32_e32 v6, 16, v6
	v_cndmask_b32_e32 v6, 0x7fc0, v6, vcc_lo
	global_store_b32 v[3:4], v6, off
	s_branch .LBB135_2687
.LBB135_2682:
	s_mov_b32 s0, 0
	s_branch .LBB135_2697
.LBB135_2683:
	s_mov_b32 s0, 0
	s_branch .LBB135_2693
.LBB135_2684:
	s_cbranch_execnz .LBB135_2809
; %bb.2685:
	s_mov_b32 s3, 0
	s_and_not1_b32 s6, s6, exec_lo
	s_or_b32 s1, s1, exec_lo
	s_cbranch_execz .LBB135_2623
	s_branch .LBB135_2624
.LBB135_2686:
	s_mov_b32 s0, 0
.LBB135_2687:
	s_and_b32 vcc_lo, exec_lo, s13
	s_cbranch_vccz .LBB135_2692
; %bb.2688:
	v_cmp_eq_u16_e64 s0, s3, 44
	s_delay_alu instid0(VALU_DEP_1)
	s_and_b32 vcc_lo, exec_lo, s0
	s_mov_b32 s0, -1
	s_cbranch_vccz .LBB135_2692
; %bb.2689:
	v_cvt_f32_f16_e32 v6, v5
	v_mov_b32_e32 v8, 0xff
	s_mov_b32 s10, exec_lo
	s_delay_alu instid0(VALU_DEP_2) | instskip(NEXT) | instid1(VALU_DEP_1)
	v_bfe_u32 v10, v6, 23, 8
	v_cmpx_ne_u32_e32 0xff, v10
; %bb.2690:
	v_and_b32_e32 v8, 0x400000, v6
	v_and_or_b32 v10, 0x3fffff, v6, v10
	v_lshrrev_b32_e32 v6, 23, v6
	s_delay_alu instid0(VALU_DEP_3) | instskip(NEXT) | instid1(VALU_DEP_3)
	v_cmp_ne_u32_e32 vcc_lo, 0, v8
	v_cmp_ne_u32_e64 s0, 0, v10
	s_delay_alu instid0(VALU_DEP_1) | instskip(NEXT) | instid1(SALU_CYCLE_1)
	s_and_b32 s0, vcc_lo, s0
	v_cndmask_b32_e64 v8, 0, 1, s0
	s_delay_alu instid0(VALU_DEP_1)
	v_add_nc_u32_e32 v8, v6, v8
; %bb.2691:
	s_or_b32 exec_lo, exec_lo, s10
	s_mov_b32 s0, 0
	s_mov_b32 s10, -1
	global_store_b8 v[3:4], v8, off
.LBB135_2692:
	s_mov_b32 s13, 0
.LBB135_2693:
	s_delay_alu instid0(SALU_CYCLE_1)
	s_and_b32 vcc_lo, exec_lo, s13
	s_cbranch_vccz .LBB135_2696
; %bb.2694:
	v_cmp_eq_u16_e64 s0, s3, 29
	s_delay_alu instid0(VALU_DEP_1)
	s_and_b32 vcc_lo, exec_lo, s0
	s_mov_b32 s0, -1
	s_cbranch_vccz .LBB135_2696
; %bb.2695:
	v_cvt_f32_f16_e32 v6, v5
	v_mov_b32_e32 v13, 0
	s_mov_b32 s0, 0
	s_mov_b32 s10, -1
	s_mov_b32 s13, 0
	v_cvt_u32_f32_e32 v12, v6
	global_store_b64 v[3:4], v[12:13], off
	s_branch .LBB135_2697
.LBB135_2696:
	s_mov_b32 s13, 0
.LBB135_2697:
	s_delay_alu instid0(SALU_CYCLE_1)
	s_and_b32 vcc_lo, exec_lo, s13
	s_cbranch_vccz .LBB135_2713
; %bb.2698:
	v_cmp_lt_i16_e64 s10, s3, 27
	s_delay_alu instid0(VALU_DEP_1)
	s_and_b32 vcc_lo, exec_lo, s10
	s_mov_b32 s10, -1
	s_cbranch_vccnz .LBB135_2704
; %bb.2699:
	v_cmp_gt_i16_e64 s10, s3, 27
	s_delay_alu instid0(VALU_DEP_1)
	s_and_b32 vcc_lo, exec_lo, s10
	s_mov_b32 s10, -1
	s_cbranch_vccz .LBB135_2701
; %bb.2700:
	v_cvt_f32_f16_e32 v6, v5
	s_mov_b32 s10, 0
	s_delay_alu instid0(VALU_DEP_1)
	v_cvt_u32_f32_e32 v6, v6
	global_store_b32 v[3:4], v6, off
.LBB135_2701:
	s_and_not1_b32 vcc_lo, exec_lo, s10
	s_cbranch_vccnz .LBB135_2703
; %bb.2702:
	v_cvt_u16_f16_e32 v6, v5
	global_store_b16 v[3:4], v6, off
.LBB135_2703:
	s_mov_b32 s10, 0
.LBB135_2704:
	s_delay_alu instid0(SALU_CYCLE_1)
	s_and_not1_b32 vcc_lo, exec_lo, s10
	s_cbranch_vccnz .LBB135_2712
; %bb.2705:
	v_cvt_f32_f16_e32 v6, v5
	v_mov_b32_e32 v10, 0x80
	s_mov_b32 s10, exec_lo
	s_delay_alu instid0(VALU_DEP_2) | instskip(NEXT) | instid1(VALU_DEP_1)
	v_and_b32_e32 v8, 0x7fffffff, v6
	v_cmpx_gt_u32_e32 0x43800000, v8
	s_cbranch_execz .LBB135_2711
; %bb.2706:
	v_cmp_lt_u32_e32 vcc_lo, 0x3bffffff, v8
	s_mov_b32 s13, 0
                                        ; implicit-def: $vgpr8
	s_and_saveexec_b32 s14, vcc_lo
	s_delay_alu instid0(SALU_CYCLE_1)
	s_xor_b32 s14, exec_lo, s14
	s_cbranch_execz .LBB135_2806
; %bb.2707:
	v_bfe_u32 v8, v6, 20, 1
	s_mov_b32 s13, exec_lo
	s_delay_alu instid0(VALU_DEP_1) | instskip(NEXT) | instid1(VALU_DEP_1)
	v_add3_u32 v8, v6, v8, 0x487ffff
	v_lshrrev_b32_e32 v8, 20, v8
	s_or_saveexec_b32 s14, s14
                                        ; implicit-def: $sgpr15
	s_delay_alu instid0(SALU_CYCLE_1)
	s_xor_b32 exec_lo, exec_lo, s14
	s_cbranch_execnz .LBB135_2807
.LBB135_2708:
	s_or_b32 exec_lo, exec_lo, s14
	v_mov_b32_e32 v10, s15
	s_and_saveexec_b32 s14, s13
.LBB135_2709:
	v_lshrrev_b32_e32 v6, 24, v6
	s_delay_alu instid0(VALU_DEP_1)
	v_and_or_b32 v10, 0x80, v6, v8
.LBB135_2710:
	s_or_b32 exec_lo, exec_lo, s14
.LBB135_2711:
	s_delay_alu instid0(SALU_CYCLE_1)
	s_or_b32 exec_lo, exec_lo, s10
	global_store_b8 v[3:4], v10, off
.LBB135_2712:
	s_mov_b32 s10, -1
.LBB135_2713:
	s_mov_b32 s13, 0
.LBB135_2714:
	s_delay_alu instid0(SALU_CYCLE_1)
	s_and_b32 vcc_lo, exec_lo, s13
	s_cbranch_vccz .LBB135_2754
; %bb.2715:
	v_cmp_gt_i16_e64 s7, s3, 22
	s_delay_alu instid0(VALU_DEP_1)
	s_and_b32 vcc_lo, exec_lo, s7
	s_mov_b32 s7, -1
	s_cbranch_vccz .LBB135_2747
; %bb.2716:
	v_cmp_lt_i16_e64 s7, s3, 24
	s_delay_alu instid0(VALU_DEP_1)
	s_and_b32 vcc_lo, exec_lo, s7
	s_mov_b32 s7, -1
	s_cbranch_vccnz .LBB135_2736
; %bb.2717:
	v_cmp_gt_i16_e64 s7, s3, 24
	s_delay_alu instid0(VALU_DEP_1)
	s_and_b32 vcc_lo, exec_lo, s7
	s_mov_b32 s7, -1
	s_cbranch_vccz .LBB135_2725
; %bb.2718:
	v_cvt_f32_f16_e32 v6, v5
	v_mov_b32_e32 v10, 0x80
	s_mov_b32 s7, exec_lo
	s_delay_alu instid0(VALU_DEP_2) | instskip(NEXT) | instid1(VALU_DEP_1)
	v_and_b32_e32 v8, 0x7fffffff, v6
	v_cmpx_gt_u32_e32 0x47800000, v8
	s_cbranch_execz .LBB135_2724
; %bb.2719:
	v_cmp_lt_u32_e32 vcc_lo, 0x37ffffff, v8
	s_mov_b32 s10, 0
                                        ; implicit-def: $vgpr8
	s_and_saveexec_b32 s13, vcc_lo
	s_delay_alu instid0(SALU_CYCLE_1)
	s_xor_b32 s13, exec_lo, s13
	s_cbranch_execz .LBB135_2813
; %bb.2720:
	v_bfe_u32 v8, v6, 21, 1
	s_mov_b32 s10, exec_lo
	s_delay_alu instid0(VALU_DEP_1) | instskip(NEXT) | instid1(VALU_DEP_1)
	v_add3_u32 v8, v6, v8, 0x88fffff
	v_lshrrev_b32_e32 v8, 21, v8
	s_or_saveexec_b32 s13, s13
                                        ; implicit-def: $sgpr14
	s_delay_alu instid0(SALU_CYCLE_1)
	s_xor_b32 exec_lo, exec_lo, s13
	s_cbranch_execnz .LBB135_2814
.LBB135_2721:
	s_or_b32 exec_lo, exec_lo, s13
	v_mov_b32_e32 v10, s14
	s_and_saveexec_b32 s13, s10
.LBB135_2722:
	v_lshrrev_b32_e32 v6, 24, v6
	s_delay_alu instid0(VALU_DEP_1)
	v_and_or_b32 v10, 0x80, v6, v8
.LBB135_2723:
	s_or_b32 exec_lo, exec_lo, s13
.LBB135_2724:
	s_delay_alu instid0(SALU_CYCLE_1)
	s_or_b32 exec_lo, exec_lo, s7
	s_mov_b32 s7, 0
	global_store_b8 v[3:4], v10, off
.LBB135_2725:
	s_and_b32 vcc_lo, exec_lo, s7
	s_cbranch_vccz .LBB135_2735
; %bb.2726:
	v_cvt_f32_f16_e32 v6, v5
	s_mov_b32 s7, exec_lo
                                        ; implicit-def: $vgpr8
	s_delay_alu instid0(VALU_DEP_1) | instskip(NEXT) | instid1(VALU_DEP_1)
	v_and_b32_e32 v10, 0x7fffffff, v6
	v_cmpx_gt_u32_e32 0x43f00000, v10
	s_xor_b32 s7, exec_lo, s7
	s_cbranch_execz .LBB135_2732
; %bb.2727:
	s_mov_b32 s10, exec_lo
                                        ; implicit-def: $vgpr8
	v_cmpx_lt_u32_e32 0x3c7fffff, v10
	s_xor_b32 s10, exec_lo, s10
; %bb.2728:
	v_bfe_u32 v8, v6, 20, 1
	s_delay_alu instid0(VALU_DEP_1) | instskip(NEXT) | instid1(VALU_DEP_1)
	v_add3_u32 v8, v6, v8, 0x407ffff
	v_and_b32_e32 v10, 0xff00000, v8
	v_lshrrev_b32_e32 v8, 20, v8
	s_delay_alu instid0(VALU_DEP_2) | instskip(NEXT) | instid1(VALU_DEP_2)
	v_cmp_ne_u32_e32 vcc_lo, 0x7f00000, v10
	v_cndmask_b32_e32 v8, 0x7e, v8, vcc_lo
; %bb.2729:
	s_and_not1_saveexec_b32 s10, s10
; %bb.2730:
	v_add_f32_e64 v8, 0x46800000, |v6|
; %bb.2731:
	s_or_b32 exec_lo, exec_lo, s10
                                        ; implicit-def: $vgpr10
.LBB135_2732:
	s_and_not1_saveexec_b32 s7, s7
; %bb.2733:
	v_mov_b32_e32 v8, 0x7f
	v_cmp_lt_u32_e32 vcc_lo, 0x7f800000, v10
	s_delay_alu instid0(VALU_DEP_2)
	v_cndmask_b32_e32 v8, 0x7e, v8, vcc_lo
; %bb.2734:
	s_or_b32 exec_lo, exec_lo, s7
	v_lshrrev_b32_e32 v6, 24, v6
	s_delay_alu instid0(VALU_DEP_1)
	v_and_or_b32 v6, 0x80, v6, v8
	global_store_b8 v[3:4], v6, off
.LBB135_2735:
	s_mov_b32 s7, 0
.LBB135_2736:
	s_delay_alu instid0(SALU_CYCLE_1)
	s_and_not1_b32 vcc_lo, exec_lo, s7
	s_cbranch_vccnz .LBB135_2746
; %bb.2737:
	v_cvt_f32_f16_e32 v6, v5
	s_mov_b32 s7, exec_lo
                                        ; implicit-def: $vgpr8
	s_delay_alu instid0(VALU_DEP_1) | instskip(NEXT) | instid1(VALU_DEP_1)
	v_and_b32_e32 v10, 0x7fffffff, v6
	v_cmpx_gt_u32_e32 0x47800000, v10
	s_xor_b32 s7, exec_lo, s7
	s_cbranch_execz .LBB135_2743
; %bb.2738:
	s_mov_b32 s10, exec_lo
                                        ; implicit-def: $vgpr8
	v_cmpx_lt_u32_e32 0x387fffff, v10
	s_xor_b32 s10, exec_lo, s10
; %bb.2739:
	v_bfe_u32 v8, v6, 21, 1
	s_delay_alu instid0(VALU_DEP_1) | instskip(NEXT) | instid1(VALU_DEP_1)
	v_add3_u32 v8, v6, v8, 0x80fffff
	v_lshrrev_b32_e32 v8, 21, v8
; %bb.2740:
	s_and_not1_saveexec_b32 s10, s10
; %bb.2741:
	v_add_f32_e64 v8, 0x43000000, |v6|
; %bb.2742:
	s_or_b32 exec_lo, exec_lo, s10
                                        ; implicit-def: $vgpr10
.LBB135_2743:
	s_and_not1_saveexec_b32 s7, s7
; %bb.2744:
	v_mov_b32_e32 v8, 0x7f
	v_cmp_lt_u32_e32 vcc_lo, 0x7f800000, v10
	s_delay_alu instid0(VALU_DEP_2)
	v_cndmask_b32_e32 v8, 0x7c, v8, vcc_lo
; %bb.2745:
	s_or_b32 exec_lo, exec_lo, s7
	v_lshrrev_b32_e32 v6, 24, v6
	s_delay_alu instid0(VALU_DEP_1)
	v_and_or_b32 v6, 0x80, v6, v8
	global_store_b8 v[3:4], v6, off
.LBB135_2746:
	s_mov_b32 s7, 0
	s_mov_b32 s10, -1
.LBB135_2747:
	s_and_not1_b32 vcc_lo, exec_lo, s7
	s_mov_b32 s7, 0
	s_cbranch_vccnz .LBB135_2754
; %bb.2748:
	v_cmp_gt_i16_e64 s7, s3, 14
	s_delay_alu instid0(VALU_DEP_1)
	s_and_b32 vcc_lo, exec_lo, s7
	s_mov_b32 s7, -1
	s_cbranch_vccz .LBB135_2752
; %bb.2749:
	v_cmp_eq_u16_e64 s0, s3, 15
	s_delay_alu instid0(VALU_DEP_1)
	s_and_b32 vcc_lo, exec_lo, s0
	s_mov_b32 s0, -1
	s_cbranch_vccz .LBB135_2751
; %bb.2750:
	v_cvt_f32_f16_e32 v6, v5
	v_cmp_o_f16_e32 vcc_lo, v5, v5
	s_mov_b32 s0, 0
	s_mov_b32 s10, -1
	s_delay_alu instid0(VALU_DEP_2) | instskip(NEXT) | instid1(VALU_DEP_1)
	v_bfe_u32 v8, v6, 16, 1
	v_add3_u32 v6, v6, v8, 0x7fff
	s_delay_alu instid0(VALU_DEP_1) | instskip(NEXT) | instid1(VALU_DEP_1)
	v_lshrrev_b32_e32 v6, 16, v6
	v_cndmask_b32_e32 v6, 0x7fc0, v6, vcc_lo
	global_store_b16 v[3:4], v6, off
.LBB135_2751:
	s_mov_b32 s7, 0
.LBB135_2752:
	s_delay_alu instid0(SALU_CYCLE_1)
	s_and_b32 vcc_lo, exec_lo, s7
	s_mov_b32 s7, 0
	s_cbranch_vccz .LBB135_2754
; %bb.2753:
	v_cmp_ne_u16_e64 s0, s3, 11
	s_mov_b32 s7, -1
.LBB135_2754:
	s_delay_alu instid0(VALU_DEP_1)
	s_and_b32 vcc_lo, exec_lo, s0
	s_cbranch_vccnz .LBB135_2811
; %bb.2755:
	s_and_not1_b32 vcc_lo, exec_lo, s7
	s_cbranch_vccnz .LBB135_2757
.LBB135_2756:
	v_cmp_neq_f16_e32 vcc_lo, 0, v5
	s_mov_b32 s10, -1
	v_cndmask_b32_e64 v6, 0, 1, vcc_lo
	global_store_b8 v[3:4], v6, off
.LBB135_2757:
	s_mov_b32 s0, 0
.LBB135_2758:
	s_delay_alu instid0(SALU_CYCLE_1)
	s_and_b32 vcc_lo, exec_lo, s0
	s_cbranch_vccz .LBB135_2797
; %bb.2759:
	v_cmp_lt_i16_e64 s0, s3, 5
	s_delay_alu instid0(VALU_DEP_1)
	s_and_b32 vcc_lo, exec_lo, s0
	s_mov_b32 s0, -1
	s_cbranch_vccnz .LBB135_2780
; %bb.2760:
	v_cmp_lt_i16_e64 s0, s3, 8
	s_delay_alu instid0(VALU_DEP_1)
	s_and_b32 vcc_lo, exec_lo, s0
	s_mov_b32 s0, -1
	s_cbranch_vccnz .LBB135_2770
	;; [unrolled: 6-line block ×3, first 2 shown]
; %bb.2762:
	v_cmp_gt_i16_e64 s0, s3, 9
	s_delay_alu instid0(VALU_DEP_1)
	s_and_b32 vcc_lo, exec_lo, s0
	s_mov_b32 s0, -1
	s_cbranch_vccz .LBB135_2764
; %bb.2763:
	v_cvt_f32_f16_e32 v6, v5
	v_mov_b32_e32 v14, 0
	s_mov_b32 s0, 0
	s_delay_alu instid0(VALU_DEP_2) | instskip(NEXT) | instid1(VALU_DEP_2)
	v_cvt_f64_f32_e32 v[12:13], v6
	v_mov_b32_e32 v15, v14
	global_store_b128 v[3:4], v[12:15], off
.LBB135_2764:
	s_and_not1_b32 vcc_lo, exec_lo, s0
	s_cbranch_vccnz .LBB135_2766
; %bb.2765:
	v_cvt_f32_f16_e32 v12, v5
	v_mov_b32_e32 v13, 0
	global_store_b64 v[3:4], v[12:13], off
.LBB135_2766:
	s_mov_b32 s0, 0
.LBB135_2767:
	s_delay_alu instid0(SALU_CYCLE_1)
	s_and_not1_b32 vcc_lo, exec_lo, s0
	s_cbranch_vccnz .LBB135_2769
; %bb.2768:
	v_and_b32_e32 v6, 0xffff, v5
	global_store_b32 v[3:4], v6, off
.LBB135_2769:
	s_mov_b32 s0, 0
.LBB135_2770:
	s_delay_alu instid0(SALU_CYCLE_1)
	s_and_not1_b32 vcc_lo, exec_lo, s0
	s_cbranch_vccnz .LBB135_2779
; %bb.2771:
	v_cmp_lt_i16_e64 s0, s3, 6
	s_delay_alu instid0(VALU_DEP_1)
	s_and_b32 vcc_lo, exec_lo, s0
	s_mov_b32 s0, -1
	s_cbranch_vccnz .LBB135_2777
; %bb.2772:
	v_cmp_gt_i16_e64 s0, s3, 6
	s_delay_alu instid0(VALU_DEP_1)
	s_and_b32 vcc_lo, exec_lo, s0
	s_mov_b32 s0, -1
	s_cbranch_vccz .LBB135_2774
; %bb.2773:
	v_cvt_f32_f16_e32 v6, v5
	s_mov_b32 s0, 0
	s_delay_alu instid0(VALU_DEP_1)
	v_cvt_f64_f32_e32 v[12:13], v6
	global_store_b64 v[3:4], v[12:13], off
.LBB135_2774:
	s_and_not1_b32 vcc_lo, exec_lo, s0
	s_cbranch_vccnz .LBB135_2776
; %bb.2775:
	v_cvt_f32_f16_e32 v6, v5
	global_store_b32 v[3:4], v6, off
.LBB135_2776:
	s_mov_b32 s0, 0
.LBB135_2777:
	s_delay_alu instid0(SALU_CYCLE_1)
	s_and_not1_b32 vcc_lo, exec_lo, s0
	s_cbranch_vccnz .LBB135_2779
; %bb.2778:
	global_store_b16 v[3:4], v5, off
.LBB135_2779:
	s_mov_b32 s0, 0
.LBB135_2780:
	s_delay_alu instid0(SALU_CYCLE_1)
	s_and_not1_b32 vcc_lo, exec_lo, s0
	s_cbranch_vccnz .LBB135_2796
; %bb.2781:
	v_cmp_lt_i16_e64 s0, s3, 2
	s_delay_alu instid0(VALU_DEP_1)
	s_and_b32 vcc_lo, exec_lo, s0
	s_mov_b32 s0, -1
	s_cbranch_vccnz .LBB135_2791
; %bb.2782:
	v_cmp_lt_i16_e64 s0, s3, 3
	s_delay_alu instid0(VALU_DEP_1)
	s_and_b32 vcc_lo, exec_lo, s0
	s_mov_b32 s0, -1
	s_cbranch_vccnz .LBB135_2788
; %bb.2783:
	v_cmp_gt_i16_e64 s0, s3, 3
	s_delay_alu instid0(VALU_DEP_1)
	s_and_b32 vcc_lo, exec_lo, s0
	s_mov_b32 s0, -1
	s_cbranch_vccz .LBB135_2785
; %bb.2784:
	v_cvt_f32_f16_e32 v6, v5
	s_mov_b32 s0, 0
	s_delay_alu instid0(VALU_DEP_1) | instskip(NEXT) | instid1(VALU_DEP_1)
	v_cvt_i32_f32_e32 v12, v6
	v_ashrrev_i32_e32 v13, 31, v12
	global_store_b64 v[3:4], v[12:13], off
.LBB135_2785:
	s_and_not1_b32 vcc_lo, exec_lo, s0
	s_cbranch_vccnz .LBB135_2787
; %bb.2786:
	v_cvt_f32_f16_e32 v6, v5
	s_delay_alu instid0(VALU_DEP_1)
	v_cvt_i32_f32_e32 v6, v6
	global_store_b32 v[3:4], v6, off
.LBB135_2787:
	s_mov_b32 s0, 0
.LBB135_2788:
	s_delay_alu instid0(SALU_CYCLE_1)
	s_and_not1_b32 vcc_lo, exec_lo, s0
	s_cbranch_vccnz .LBB135_2790
; %bb.2789:
	v_cvt_i16_f16_e32 v6, v5
	global_store_b16 v[3:4], v6, off
.LBB135_2790:
	s_mov_b32 s0, 0
.LBB135_2791:
	s_delay_alu instid0(SALU_CYCLE_1)
	s_and_not1_b32 vcc_lo, exec_lo, s0
	s_cbranch_vccnz .LBB135_2796
; %bb.2792:
	v_cmp_gt_i16_e64 s0, s3, 0
	s_delay_alu instid0(VALU_DEP_1)
	s_and_b32 vcc_lo, exec_lo, s0
	s_mov_b32 s0, -1
	s_cbranch_vccz .LBB135_2794
; %bb.2793:
	v_cvt_i16_f16_e32 v6, v5
	s_mov_b32 s0, 0
	global_store_b8 v[3:4], v6, off
.LBB135_2794:
	s_and_not1_b32 vcc_lo, exec_lo, s0
	s_cbranch_vccnz .LBB135_2796
; %bb.2795:
	v_cvt_f32_f16_e32 v5, v5
	s_delay_alu instid0(VALU_DEP_1)
	v_cvt_i32_f32_e32 v5, v5
	global_store_b8 v[3:4], v5, off
.LBB135_2796:
	s_mov_b32 s10, -1
.LBB135_2797:
	s_delay_alu instid0(SALU_CYCLE_1)
	s_and_not1_b32 vcc_lo, exec_lo, s10
	s_cbranch_vccnz .LBB135_3064
; %bb.2798:
	v_cndmask_b32_e64 v3, 0, 1.0, s11
	v_cvt_f32_f16_e32 v4, v11
	v_cmp_lt_i16_e64 s0, s3, 11
	v_add_co_u32 v2, s7, s4, v2
	s_mov_b32 s10, 0
	s_delay_alu instid0(VALU_DEP_3) | instskip(SKIP_3) | instid1(VALU_DEP_2)
	v_mul_f32_e32 v4, v4, v3
	v_add_co_ci_u32_e64 v3, null, s5, 0, s7
	s_and_b32 vcc_lo, exec_lo, s0
	s_mov_b32 s0, -1
	v_fma_mixlo_f16 v4, s2, v4, 0
	s_cbranch_vccnz .LBB135_2887
; %bb.2799:
	v_cmp_gt_i16_e64 s0, s3, 25
	s_mov_b32 s11, -1
	s_mov_b32 s7, 0
	s_delay_alu instid0(VALU_DEP_1)
	s_and_b32 vcc_lo, exec_lo, s0
	s_mov_b32 s0, 0
	s_cbranch_vccz .LBB135_2843
; %bb.2800:
	v_cmp_gt_i16_e64 s0, s3, 28
	s_delay_alu instid0(VALU_DEP_1)
	s_and_b32 vcc_lo, exec_lo, s0
	s_cbranch_vccz .LBB135_2805
; %bb.2801:
	v_cmp_gt_i16_e64 s0, s3, 43
	s_delay_alu instid0(VALU_DEP_1)
	s_and_b32 vcc_lo, exec_lo, s0
	;; [unrolled: 5-line block ×3, first 2 shown]
	s_cbranch_vccz .LBB135_2815
; %bb.2803:
	v_cmp_eq_u16_e64 s10, s3, 46
	s_mov_b32 s0, -1
	s_mov_b32 s11, 0
	s_delay_alu instid0(VALU_DEP_1)
	s_and_b32 vcc_lo, exec_lo, s10
	s_mov_b32 s10, 0
	s_cbranch_vccz .LBB135_2816
; %bb.2804:
	v_cvt_f32_f16_e32 v5, v4
	v_cmp_o_f16_e32 vcc_lo, v4, v4
	s_mov_b32 s0, 0
	s_mov_b32 s10, -1
	s_delay_alu instid0(VALU_DEP_2) | instskip(NEXT) | instid1(VALU_DEP_1)
	v_bfe_u32 v6, v5, 16, 1
	v_add3_u32 v5, v5, v6, 0x7fff
	s_delay_alu instid0(VALU_DEP_1) | instskip(NEXT) | instid1(VALU_DEP_1)
	v_lshrrev_b32_e32 v5, 16, v5
	v_cndmask_b32_e32 v5, 0x7fc0, v5, vcc_lo
	global_store_b32 v[2:3], v5, off
	s_branch .LBB135_2816
.LBB135_2805:
	s_mov_b32 s0, 0
	s_branch .LBB135_2826
.LBB135_2806:
	s_or_saveexec_b32 s14, s14
                                        ; implicit-def: $sgpr15
	s_delay_alu instid0(SALU_CYCLE_1)
	s_xor_b32 exec_lo, exec_lo, s14
	s_cbranch_execz .LBB135_2708
.LBB135_2807:
	v_add_f32_e64 v8, 0x46000000, |v6|
	s_and_not1_b32 s13, s13, exec_lo
	s_mov_b32 s15, 0
	s_delay_alu instid0(VALU_DEP_1) | instskip(NEXT) | instid1(VALU_DEP_1)
	v_and_b32_e32 v8, 0xff, v8
	v_cmp_ne_u32_e32 vcc_lo, 0, v8
	s_and_b32 s16, vcc_lo, exec_lo
	s_delay_alu instid0(SALU_CYCLE_1)
	s_or_b32 s13, s13, s16
	s_or_b32 exec_lo, exec_lo, s14
	v_mov_b32_e32 v10, s15
	s_and_saveexec_b32 s14, s13
	s_cbranch_execnz .LBB135_2709
	s_branch .LBB135_2710
.LBB135_2808:
	s_mov_b32 s0, 0
	s_branch .LBB135_2822
.LBB135_2809:
	s_trap 2
	s_sendmsg_rtn_b32 s0, sendmsg(MSG_RTN_GET_DOORBELL)
	s_mov_b32 ttmp2, m0
	s_waitcnt lgkmcnt(0)
	s_and_b32 s0, s0, 0x3ff
	s_delay_alu instid0(SALU_CYCLE_1) | instskip(NEXT) | instid1(SALU_CYCLE_1)
	s_bitset1_b32 s0, 10
	s_mov_b32 m0, s0
	s_sendmsg sendmsg(MSG_INTERRUPT)
	s_mov_b32 m0, ttmp2
.LBB135_2810:                           ; =>This Inner Loop Header: Depth=1
	s_sethalt 5
	s_branch .LBB135_2810
.LBB135_2811:
	s_cbranch_execnz .LBB135_2938
; %bb.2812:
	s_or_b32 s1, s1, exec_lo
	s_cbranch_execz .LBB135_2756
	s_branch .LBB135_2757
.LBB135_2813:
	s_or_saveexec_b32 s13, s13
                                        ; implicit-def: $sgpr14
	s_delay_alu instid0(SALU_CYCLE_1)
	s_xor_b32 exec_lo, exec_lo, s13
	s_cbranch_execz .LBB135_2721
.LBB135_2814:
	v_add_f32_e64 v8, 0x42800000, |v6|
	s_and_not1_b32 s10, s10, exec_lo
	s_mov_b32 s14, 0
	s_delay_alu instid0(VALU_DEP_1) | instskip(NEXT) | instid1(VALU_DEP_1)
	v_and_b32_e32 v8, 0xff, v8
	v_cmp_ne_u32_e32 vcc_lo, 0, v8
	s_and_b32 s15, vcc_lo, exec_lo
	s_delay_alu instid0(SALU_CYCLE_1)
	s_or_b32 s10, s10, s15
	s_or_b32 exec_lo, exec_lo, s13
	v_mov_b32_e32 v10, s14
	s_and_saveexec_b32 s13, s10
	s_cbranch_execnz .LBB135_2722
	s_branch .LBB135_2723
.LBB135_2815:
	s_mov_b32 s0, 0
.LBB135_2816:
	s_and_b32 vcc_lo, exec_lo, s11
	s_cbranch_vccz .LBB135_2821
; %bb.2817:
	v_cmp_eq_u16_e64 s0, s3, 44
	s_delay_alu instid0(VALU_DEP_1)
	s_and_b32 vcc_lo, exec_lo, s0
	s_mov_b32 s0, -1
	s_cbranch_vccz .LBB135_2821
; %bb.2818:
	v_cvt_f32_f16_e32 v5, v4
	v_mov_b32_e32 v6, 0xff
	s_mov_b32 s10, exec_lo
	s_delay_alu instid0(VALU_DEP_2) | instskip(NEXT) | instid1(VALU_DEP_1)
	v_bfe_u32 v8, v5, 23, 8
	v_cmpx_ne_u32_e32 0xff, v8
; %bb.2819:
	v_and_b32_e32 v6, 0x400000, v5
	v_and_or_b32 v8, 0x3fffff, v5, v8
	v_lshrrev_b32_e32 v5, 23, v5
	s_delay_alu instid0(VALU_DEP_3) | instskip(NEXT) | instid1(VALU_DEP_3)
	v_cmp_ne_u32_e32 vcc_lo, 0, v6
	v_cmp_ne_u32_e64 s0, 0, v8
	s_delay_alu instid0(VALU_DEP_1) | instskip(NEXT) | instid1(SALU_CYCLE_1)
	s_and_b32 s0, vcc_lo, s0
	v_cndmask_b32_e64 v6, 0, 1, s0
	s_delay_alu instid0(VALU_DEP_1)
	v_add_nc_u32_e32 v6, v5, v6
; %bb.2820:
	s_or_b32 exec_lo, exec_lo, s10
	s_mov_b32 s0, 0
	s_mov_b32 s10, -1
	global_store_b8 v[2:3], v6, off
.LBB135_2821:
	s_mov_b32 s11, 0
.LBB135_2822:
	s_delay_alu instid0(SALU_CYCLE_1)
	s_and_b32 vcc_lo, exec_lo, s11
	s_cbranch_vccz .LBB135_2825
; %bb.2823:
	v_cmp_eq_u16_e64 s0, s3, 29
	s_delay_alu instid0(VALU_DEP_1)
	s_and_b32 vcc_lo, exec_lo, s0
	s_mov_b32 s0, -1
	s_cbranch_vccz .LBB135_2825
; %bb.2824:
	v_cvt_f32_f16_e32 v5, v4
	v_mov_b32_e32 v6, 0
	s_mov_b32 s0, 0
	s_mov_b32 s10, -1
	s_mov_b32 s11, 0
	v_cvt_u32_f32_e32 v5, v5
	global_store_b64 v[2:3], v[5:6], off
	s_branch .LBB135_2826
.LBB135_2825:
	s_mov_b32 s11, 0
.LBB135_2826:
	s_delay_alu instid0(SALU_CYCLE_1)
	s_and_b32 vcc_lo, exec_lo, s11
	s_cbranch_vccz .LBB135_2842
; %bb.2827:
	v_cmp_lt_i16_e64 s10, s3, 27
	s_delay_alu instid0(VALU_DEP_1)
	s_and_b32 vcc_lo, exec_lo, s10
	s_mov_b32 s10, -1
	s_cbranch_vccnz .LBB135_2833
; %bb.2828:
	v_cmp_gt_i16_e64 s10, s3, 27
	s_delay_alu instid0(VALU_DEP_1)
	s_and_b32 vcc_lo, exec_lo, s10
	s_mov_b32 s10, -1
	s_cbranch_vccz .LBB135_2830
; %bb.2829:
	v_cvt_f32_f16_e32 v5, v4
	s_mov_b32 s10, 0
	s_delay_alu instid0(VALU_DEP_1)
	v_cvt_u32_f32_e32 v5, v5
	global_store_b32 v[2:3], v5, off
.LBB135_2830:
	s_and_not1_b32 vcc_lo, exec_lo, s10
	s_cbranch_vccnz .LBB135_2832
; %bb.2831:
	v_cvt_u16_f16_e32 v5, v4
	global_store_b16 v[2:3], v5, off
.LBB135_2832:
	s_mov_b32 s10, 0
.LBB135_2833:
	s_delay_alu instid0(SALU_CYCLE_1)
	s_and_not1_b32 vcc_lo, exec_lo, s10
	s_cbranch_vccnz .LBB135_2841
; %bb.2834:
	v_cvt_f32_f16_e32 v5, v4
	v_mov_b32_e32 v8, 0x80
	s_mov_b32 s10, exec_lo
	s_delay_alu instid0(VALU_DEP_2) | instskip(NEXT) | instid1(VALU_DEP_1)
	v_and_b32_e32 v6, 0x7fffffff, v5
	v_cmpx_gt_u32_e32 0x43800000, v6
	s_cbranch_execz .LBB135_2840
; %bb.2835:
	v_cmp_lt_u32_e32 vcc_lo, 0x3bffffff, v6
	s_mov_b32 s11, 0
                                        ; implicit-def: $vgpr6
	s_and_saveexec_b32 s13, vcc_lo
	s_delay_alu instid0(SALU_CYCLE_1)
	s_xor_b32 s13, exec_lo, s13
	s_cbranch_execz .LBB135_2935
; %bb.2836:
	v_bfe_u32 v6, v5, 20, 1
	s_mov_b32 s11, exec_lo
	s_delay_alu instid0(VALU_DEP_1) | instskip(NEXT) | instid1(VALU_DEP_1)
	v_add3_u32 v6, v5, v6, 0x487ffff
	v_lshrrev_b32_e32 v6, 20, v6
	s_or_saveexec_b32 s13, s13
                                        ; implicit-def: $sgpr14
	s_delay_alu instid0(SALU_CYCLE_1)
	s_xor_b32 exec_lo, exec_lo, s13
	s_cbranch_execnz .LBB135_2936
.LBB135_2837:
	s_or_b32 exec_lo, exec_lo, s13
	v_mov_b32_e32 v8, s14
	s_and_saveexec_b32 s13, s11
.LBB135_2838:
	v_lshrrev_b32_e32 v5, 24, v5
	s_delay_alu instid0(VALU_DEP_1)
	v_and_or_b32 v8, 0x80, v5, v6
.LBB135_2839:
	s_or_b32 exec_lo, exec_lo, s13
.LBB135_2840:
	s_delay_alu instid0(SALU_CYCLE_1)
	s_or_b32 exec_lo, exec_lo, s10
	global_store_b8 v[2:3], v8, off
.LBB135_2841:
	s_mov_b32 s10, -1
.LBB135_2842:
	s_mov_b32 s11, 0
.LBB135_2843:
	s_delay_alu instid0(SALU_CYCLE_1)
	s_and_b32 vcc_lo, exec_lo, s11
	s_cbranch_vccz .LBB135_2883
; %bb.2844:
	v_cmp_gt_i16_e64 s7, s3, 22
	s_delay_alu instid0(VALU_DEP_1)
	s_and_b32 vcc_lo, exec_lo, s7
	s_mov_b32 s7, -1
	s_cbranch_vccz .LBB135_2876
; %bb.2845:
	v_cmp_lt_i16_e64 s7, s3, 24
	s_delay_alu instid0(VALU_DEP_1)
	s_and_b32 vcc_lo, exec_lo, s7
	s_mov_b32 s7, -1
	s_cbranch_vccnz .LBB135_2865
; %bb.2846:
	v_cmp_gt_i16_e64 s7, s3, 24
	s_delay_alu instid0(VALU_DEP_1)
	s_and_b32 vcc_lo, exec_lo, s7
	s_mov_b32 s7, -1
	s_cbranch_vccz .LBB135_2854
; %bb.2847:
	v_cvt_f32_f16_e32 v5, v4
	v_mov_b32_e32 v8, 0x80
	s_mov_b32 s7, exec_lo
	s_delay_alu instid0(VALU_DEP_2) | instskip(NEXT) | instid1(VALU_DEP_1)
	v_and_b32_e32 v6, 0x7fffffff, v5
	v_cmpx_gt_u32_e32 0x47800000, v6
	s_cbranch_execz .LBB135_2853
; %bb.2848:
	v_cmp_lt_u32_e32 vcc_lo, 0x37ffffff, v6
	s_mov_b32 s10, 0
                                        ; implicit-def: $vgpr6
	s_and_saveexec_b32 s11, vcc_lo
	s_delay_alu instid0(SALU_CYCLE_1)
	s_xor_b32 s11, exec_lo, s11
	s_cbranch_execz .LBB135_2942
; %bb.2849:
	v_bfe_u32 v6, v5, 21, 1
	s_mov_b32 s10, exec_lo
	s_delay_alu instid0(VALU_DEP_1) | instskip(NEXT) | instid1(VALU_DEP_1)
	v_add3_u32 v6, v5, v6, 0x88fffff
	v_lshrrev_b32_e32 v6, 21, v6
	s_or_saveexec_b32 s11, s11
                                        ; implicit-def: $sgpr13
	s_delay_alu instid0(SALU_CYCLE_1)
	s_xor_b32 exec_lo, exec_lo, s11
	s_cbranch_execnz .LBB135_2943
.LBB135_2850:
	s_or_b32 exec_lo, exec_lo, s11
	v_mov_b32_e32 v8, s13
	s_and_saveexec_b32 s11, s10
.LBB135_2851:
	v_lshrrev_b32_e32 v5, 24, v5
	s_delay_alu instid0(VALU_DEP_1)
	v_and_or_b32 v8, 0x80, v5, v6
.LBB135_2852:
	s_or_b32 exec_lo, exec_lo, s11
.LBB135_2853:
	s_delay_alu instid0(SALU_CYCLE_1)
	s_or_b32 exec_lo, exec_lo, s7
	s_mov_b32 s7, 0
	global_store_b8 v[2:3], v8, off
.LBB135_2854:
	s_and_b32 vcc_lo, exec_lo, s7
	s_cbranch_vccz .LBB135_2864
; %bb.2855:
	v_cvt_f32_f16_e32 v5, v4
	s_mov_b32 s7, exec_lo
                                        ; implicit-def: $vgpr6
	s_delay_alu instid0(VALU_DEP_1) | instskip(NEXT) | instid1(VALU_DEP_1)
	v_and_b32_e32 v8, 0x7fffffff, v5
	v_cmpx_gt_u32_e32 0x43f00000, v8
	s_xor_b32 s7, exec_lo, s7
	s_cbranch_execz .LBB135_2861
; %bb.2856:
	s_mov_b32 s10, exec_lo
                                        ; implicit-def: $vgpr6
	v_cmpx_lt_u32_e32 0x3c7fffff, v8
	s_xor_b32 s10, exec_lo, s10
; %bb.2857:
	v_bfe_u32 v6, v5, 20, 1
	s_delay_alu instid0(VALU_DEP_1) | instskip(NEXT) | instid1(VALU_DEP_1)
	v_add3_u32 v6, v5, v6, 0x407ffff
	v_and_b32_e32 v8, 0xff00000, v6
	v_lshrrev_b32_e32 v6, 20, v6
	s_delay_alu instid0(VALU_DEP_2) | instskip(NEXT) | instid1(VALU_DEP_2)
	v_cmp_ne_u32_e32 vcc_lo, 0x7f00000, v8
	v_cndmask_b32_e32 v6, 0x7e, v6, vcc_lo
; %bb.2858:
	s_and_not1_saveexec_b32 s10, s10
; %bb.2859:
	v_add_f32_e64 v6, 0x46800000, |v5|
; %bb.2860:
	s_or_b32 exec_lo, exec_lo, s10
                                        ; implicit-def: $vgpr8
.LBB135_2861:
	s_and_not1_saveexec_b32 s7, s7
; %bb.2862:
	v_mov_b32_e32 v6, 0x7f
	v_cmp_lt_u32_e32 vcc_lo, 0x7f800000, v8
	s_delay_alu instid0(VALU_DEP_2)
	v_cndmask_b32_e32 v6, 0x7e, v6, vcc_lo
; %bb.2863:
	s_or_b32 exec_lo, exec_lo, s7
	v_lshrrev_b32_e32 v5, 24, v5
	s_delay_alu instid0(VALU_DEP_1)
	v_and_or_b32 v5, 0x80, v5, v6
	global_store_b8 v[2:3], v5, off
.LBB135_2864:
	s_mov_b32 s7, 0
.LBB135_2865:
	s_delay_alu instid0(SALU_CYCLE_1)
	s_and_not1_b32 vcc_lo, exec_lo, s7
	s_cbranch_vccnz .LBB135_2875
; %bb.2866:
	v_cvt_f32_f16_e32 v5, v4
	s_mov_b32 s7, exec_lo
                                        ; implicit-def: $vgpr6
	s_delay_alu instid0(VALU_DEP_1) | instskip(NEXT) | instid1(VALU_DEP_1)
	v_and_b32_e32 v8, 0x7fffffff, v5
	v_cmpx_gt_u32_e32 0x47800000, v8
	s_xor_b32 s7, exec_lo, s7
	s_cbranch_execz .LBB135_2872
; %bb.2867:
	s_mov_b32 s10, exec_lo
                                        ; implicit-def: $vgpr6
	v_cmpx_lt_u32_e32 0x387fffff, v8
	s_xor_b32 s10, exec_lo, s10
; %bb.2868:
	v_bfe_u32 v6, v5, 21, 1
	s_delay_alu instid0(VALU_DEP_1) | instskip(NEXT) | instid1(VALU_DEP_1)
	v_add3_u32 v6, v5, v6, 0x80fffff
	v_lshrrev_b32_e32 v6, 21, v6
; %bb.2869:
	s_and_not1_saveexec_b32 s10, s10
; %bb.2870:
	v_add_f32_e64 v6, 0x43000000, |v5|
; %bb.2871:
	s_or_b32 exec_lo, exec_lo, s10
                                        ; implicit-def: $vgpr8
.LBB135_2872:
	s_and_not1_saveexec_b32 s7, s7
; %bb.2873:
	v_mov_b32_e32 v6, 0x7f
	v_cmp_lt_u32_e32 vcc_lo, 0x7f800000, v8
	s_delay_alu instid0(VALU_DEP_2)
	v_cndmask_b32_e32 v6, 0x7c, v6, vcc_lo
; %bb.2874:
	s_or_b32 exec_lo, exec_lo, s7
	v_lshrrev_b32_e32 v5, 24, v5
	s_delay_alu instid0(VALU_DEP_1)
	v_and_or_b32 v5, 0x80, v5, v6
	global_store_b8 v[2:3], v5, off
.LBB135_2875:
	s_mov_b32 s7, 0
	s_mov_b32 s10, -1
.LBB135_2876:
	s_and_not1_b32 vcc_lo, exec_lo, s7
	s_mov_b32 s7, 0
	s_cbranch_vccnz .LBB135_2883
; %bb.2877:
	v_cmp_gt_i16_e64 s7, s3, 14
	s_delay_alu instid0(VALU_DEP_1)
	s_and_b32 vcc_lo, exec_lo, s7
	s_mov_b32 s7, -1
	s_cbranch_vccz .LBB135_2881
; %bb.2878:
	v_cmp_eq_u16_e64 s0, s3, 15
	s_delay_alu instid0(VALU_DEP_1)
	s_and_b32 vcc_lo, exec_lo, s0
	s_mov_b32 s0, -1
	s_cbranch_vccz .LBB135_2880
; %bb.2879:
	v_cvt_f32_f16_e32 v5, v4
	v_cmp_o_f16_e32 vcc_lo, v4, v4
	s_mov_b32 s0, 0
	s_mov_b32 s10, -1
	s_delay_alu instid0(VALU_DEP_2) | instskip(NEXT) | instid1(VALU_DEP_1)
	v_bfe_u32 v6, v5, 16, 1
	v_add3_u32 v5, v5, v6, 0x7fff
	s_delay_alu instid0(VALU_DEP_1) | instskip(NEXT) | instid1(VALU_DEP_1)
	v_lshrrev_b32_e32 v5, 16, v5
	v_cndmask_b32_e32 v5, 0x7fc0, v5, vcc_lo
	global_store_b16 v[2:3], v5, off
.LBB135_2880:
	s_mov_b32 s7, 0
.LBB135_2881:
	s_delay_alu instid0(SALU_CYCLE_1)
	s_and_b32 vcc_lo, exec_lo, s7
	s_mov_b32 s7, 0
	s_cbranch_vccz .LBB135_2883
; %bb.2882:
	v_cmp_ne_u16_e64 s0, s3, 11
	s_mov_b32 s7, -1
.LBB135_2883:
	s_delay_alu instid0(VALU_DEP_1)
	s_and_b32 vcc_lo, exec_lo, s0
	s_cbranch_vccnz .LBB135_2940
; %bb.2884:
	s_and_not1_b32 vcc_lo, exec_lo, s7
	s_cbranch_vccnz .LBB135_2886
.LBB135_2885:
	v_cmp_neq_f16_e32 vcc_lo, 0, v4
	s_mov_b32 s10, -1
	v_cndmask_b32_e64 v5, 0, 1, vcc_lo
	global_store_b8 v[2:3], v5, off
.LBB135_2886:
	s_mov_b32 s0, 0
.LBB135_2887:
	s_delay_alu instid0(SALU_CYCLE_1)
	s_and_b32 vcc_lo, exec_lo, s0
	s_cbranch_vccz .LBB135_2926
; %bb.2888:
	v_cmp_lt_i16_e64 s0, s3, 5
	s_delay_alu instid0(VALU_DEP_1)
	s_and_b32 vcc_lo, exec_lo, s0
	s_mov_b32 s0, -1
	s_cbranch_vccnz .LBB135_2909
; %bb.2889:
	v_cmp_lt_i16_e64 s0, s3, 8
	s_delay_alu instid0(VALU_DEP_1)
	s_and_b32 vcc_lo, exec_lo, s0
	s_mov_b32 s0, -1
	s_cbranch_vccnz .LBB135_2899
	;; [unrolled: 6-line block ×3, first 2 shown]
; %bb.2891:
	v_cmp_gt_i16_e64 s0, s3, 9
	s_delay_alu instid0(VALU_DEP_1)
	s_and_b32 vcc_lo, exec_lo, s0
	s_mov_b32 s0, -1
	s_cbranch_vccz .LBB135_2893
; %bb.2892:
	v_cvt_f32_f16_e32 v5, v4
	v_mov_b32_e32 v12, 0
	s_mov_b32 s0, 0
	s_delay_alu instid0(VALU_DEP_2) | instskip(NEXT) | instid1(VALU_DEP_2)
	v_cvt_f64_f32_e32 v[10:11], v5
	v_mov_b32_e32 v13, v12
	global_store_b128 v[2:3], v[10:13], off
.LBB135_2893:
	s_and_not1_b32 vcc_lo, exec_lo, s0
	s_cbranch_vccnz .LBB135_2895
; %bb.2894:
	v_cvt_f32_f16_e32 v5, v4
	v_mov_b32_e32 v6, 0
	global_store_b64 v[2:3], v[5:6], off
.LBB135_2895:
	s_mov_b32 s0, 0
.LBB135_2896:
	s_delay_alu instid0(SALU_CYCLE_1)
	s_and_not1_b32 vcc_lo, exec_lo, s0
	s_cbranch_vccnz .LBB135_2898
; %bb.2897:
	v_and_b32_e32 v5, 0xffff, v4
	global_store_b32 v[2:3], v5, off
.LBB135_2898:
	s_mov_b32 s0, 0
.LBB135_2899:
	s_delay_alu instid0(SALU_CYCLE_1)
	s_and_not1_b32 vcc_lo, exec_lo, s0
	s_cbranch_vccnz .LBB135_2908
; %bb.2900:
	v_cmp_lt_i16_e64 s0, s3, 6
	s_delay_alu instid0(VALU_DEP_1)
	s_and_b32 vcc_lo, exec_lo, s0
	s_mov_b32 s0, -1
	s_cbranch_vccnz .LBB135_2906
; %bb.2901:
	v_cmp_gt_i16_e64 s0, s3, 6
	s_delay_alu instid0(VALU_DEP_1)
	s_and_b32 vcc_lo, exec_lo, s0
	s_mov_b32 s0, -1
	s_cbranch_vccz .LBB135_2903
; %bb.2902:
	v_cvt_f32_f16_e32 v5, v4
	s_mov_b32 s0, 0
	s_delay_alu instid0(VALU_DEP_1)
	v_cvt_f64_f32_e32 v[5:6], v5
	global_store_b64 v[2:3], v[5:6], off
.LBB135_2903:
	s_and_not1_b32 vcc_lo, exec_lo, s0
	s_cbranch_vccnz .LBB135_2905
; %bb.2904:
	v_cvt_f32_f16_e32 v5, v4
	global_store_b32 v[2:3], v5, off
.LBB135_2905:
	s_mov_b32 s0, 0
.LBB135_2906:
	s_delay_alu instid0(SALU_CYCLE_1)
	s_and_not1_b32 vcc_lo, exec_lo, s0
	s_cbranch_vccnz .LBB135_2908
; %bb.2907:
	global_store_b16 v[2:3], v4, off
.LBB135_2908:
	s_mov_b32 s0, 0
.LBB135_2909:
	s_delay_alu instid0(SALU_CYCLE_1)
	s_and_not1_b32 vcc_lo, exec_lo, s0
	s_cbranch_vccnz .LBB135_2925
; %bb.2910:
	v_cmp_lt_i16_e64 s0, s3, 2
	s_delay_alu instid0(VALU_DEP_1)
	s_and_b32 vcc_lo, exec_lo, s0
	s_mov_b32 s0, -1
	s_cbranch_vccnz .LBB135_2920
; %bb.2911:
	v_cmp_lt_i16_e64 s0, s3, 3
	s_delay_alu instid0(VALU_DEP_1)
	s_and_b32 vcc_lo, exec_lo, s0
	s_mov_b32 s0, -1
	s_cbranch_vccnz .LBB135_2917
; %bb.2912:
	v_cmp_gt_i16_e64 s0, s3, 3
	s_delay_alu instid0(VALU_DEP_1)
	s_and_b32 vcc_lo, exec_lo, s0
	s_mov_b32 s0, -1
	s_cbranch_vccz .LBB135_2914
; %bb.2913:
	v_cvt_f32_f16_e32 v5, v4
	s_mov_b32 s0, 0
	s_delay_alu instid0(VALU_DEP_1) | instskip(NEXT) | instid1(VALU_DEP_1)
	v_cvt_i32_f32_e32 v5, v5
	v_ashrrev_i32_e32 v6, 31, v5
	global_store_b64 v[2:3], v[5:6], off
.LBB135_2914:
	s_and_not1_b32 vcc_lo, exec_lo, s0
	s_cbranch_vccnz .LBB135_2916
; %bb.2915:
	v_cvt_f32_f16_e32 v5, v4
	s_delay_alu instid0(VALU_DEP_1)
	v_cvt_i32_f32_e32 v5, v5
	global_store_b32 v[2:3], v5, off
.LBB135_2916:
	s_mov_b32 s0, 0
.LBB135_2917:
	s_delay_alu instid0(SALU_CYCLE_1)
	s_and_not1_b32 vcc_lo, exec_lo, s0
	s_cbranch_vccnz .LBB135_2919
; %bb.2918:
	v_cvt_i16_f16_e32 v5, v4
	global_store_b16 v[2:3], v5, off
.LBB135_2919:
	s_mov_b32 s0, 0
.LBB135_2920:
	s_delay_alu instid0(SALU_CYCLE_1)
	s_and_not1_b32 vcc_lo, exec_lo, s0
	s_cbranch_vccnz .LBB135_2925
; %bb.2921:
	v_cmp_gt_i16_e64 s0, s3, 0
	s_delay_alu instid0(VALU_DEP_1)
	s_and_b32 vcc_lo, exec_lo, s0
	s_mov_b32 s0, -1
	s_cbranch_vccz .LBB135_2923
; %bb.2922:
	v_cvt_i16_f16_e32 v5, v4
	s_mov_b32 s0, 0
	global_store_b8 v[2:3], v5, off
.LBB135_2923:
	s_and_not1_b32 vcc_lo, exec_lo, s0
	s_cbranch_vccnz .LBB135_2925
; %bb.2924:
	v_cvt_f32_f16_e32 v4, v4
	s_delay_alu instid0(VALU_DEP_1)
	v_cvt_i32_f32_e32 v4, v4
	global_store_b8 v[2:3], v4, off
.LBB135_2925:
	s_mov_b32 s10, -1
.LBB135_2926:
	s_delay_alu instid0(SALU_CYCLE_1)
	s_and_not1_b32 vcc_lo, exec_lo, s10
	s_cbranch_vccnz .LBB135_3064
; %bb.2927:
	v_cndmask_b32_e64 v2, 0, 1.0, s12
	v_cvt_f32_f16_e32 v3, v9
	v_cmp_lt_i16_e64 s0, s3, 11
	v_add_co_u32 v1, s7, s4, v1
	s_mov_b32 s10, 0
	s_delay_alu instid0(VALU_DEP_3) | instskip(SKIP_3) | instid1(VALU_DEP_2)
	v_mul_f32_e32 v3, v3, v2
	v_add_co_ci_u32_e64 v2, null, s5, 0, s7
	s_and_b32 vcc_lo, exec_lo, s0
	s_mov_b32 s0, -1
	v_fma_mixlo_f16 v3, s2, v3, 0
	s_cbranch_vccnz .LBB135_3016
; %bb.2928:
	v_cmp_gt_i16_e64 s0, s3, 25
	s_mov_b32 s11, -1
	s_mov_b32 s7, 0
	s_delay_alu instid0(VALU_DEP_1)
	s_and_b32 vcc_lo, exec_lo, s0
	s_mov_b32 s0, 0
	s_cbranch_vccz .LBB135_2972
; %bb.2929:
	v_cmp_gt_i16_e64 s0, s3, 28
	s_delay_alu instid0(VALU_DEP_1)
	s_and_b32 vcc_lo, exec_lo, s0
	s_cbranch_vccz .LBB135_2934
; %bb.2930:
	v_cmp_gt_i16_e64 s0, s3, 43
	s_delay_alu instid0(VALU_DEP_1)
	s_and_b32 vcc_lo, exec_lo, s0
	;; [unrolled: 5-line block ×3, first 2 shown]
	s_cbranch_vccz .LBB135_2944
; %bb.2932:
	v_cmp_eq_u16_e64 s10, s3, 46
	s_mov_b32 s0, -1
	s_mov_b32 s11, 0
	s_delay_alu instid0(VALU_DEP_1)
	s_and_b32 vcc_lo, exec_lo, s10
	s_mov_b32 s10, 0
	s_cbranch_vccz .LBB135_2945
; %bb.2933:
	v_cvt_f32_f16_e32 v4, v3
	v_cmp_o_f16_e32 vcc_lo, v3, v3
	s_mov_b32 s0, 0
	s_mov_b32 s10, -1
	s_delay_alu instid0(VALU_DEP_2) | instskip(NEXT) | instid1(VALU_DEP_1)
	v_bfe_u32 v5, v4, 16, 1
	v_add3_u32 v4, v4, v5, 0x7fff
	s_delay_alu instid0(VALU_DEP_1) | instskip(NEXT) | instid1(VALU_DEP_1)
	v_lshrrev_b32_e32 v4, 16, v4
	v_cndmask_b32_e32 v4, 0x7fc0, v4, vcc_lo
	global_store_b32 v[1:2], v4, off
	s_branch .LBB135_2945
.LBB135_2934:
	s_mov_b32 s0, 0
	s_branch .LBB135_2955
.LBB135_2935:
	s_or_saveexec_b32 s13, s13
                                        ; implicit-def: $sgpr14
	s_delay_alu instid0(SALU_CYCLE_1)
	s_xor_b32 exec_lo, exec_lo, s13
	s_cbranch_execz .LBB135_2837
.LBB135_2936:
	v_add_f32_e64 v6, 0x46000000, |v5|
	s_and_not1_b32 s11, s11, exec_lo
	s_mov_b32 s14, 0
	s_delay_alu instid0(VALU_DEP_1) | instskip(NEXT) | instid1(VALU_DEP_1)
	v_and_b32_e32 v6, 0xff, v6
	v_cmp_ne_u32_e32 vcc_lo, 0, v6
	s_and_b32 s15, vcc_lo, exec_lo
	s_delay_alu instid0(SALU_CYCLE_1)
	s_or_b32 s11, s11, s15
	s_or_b32 exec_lo, exec_lo, s13
	v_mov_b32_e32 v8, s14
	s_and_saveexec_b32 s13, s11
	s_cbranch_execnz .LBB135_2838
	s_branch .LBB135_2839
.LBB135_2937:
	s_mov_b32 s0, 0
	s_branch .LBB135_2951
.LBB135_2938:
	s_trap 2
	s_sendmsg_rtn_b32 s0, sendmsg(MSG_RTN_GET_DOORBELL)
	s_mov_b32 ttmp2, m0
	s_waitcnt lgkmcnt(0)
	s_and_b32 s0, s0, 0x3ff
	s_delay_alu instid0(SALU_CYCLE_1) | instskip(NEXT) | instid1(SALU_CYCLE_1)
	s_bitset1_b32 s0, 10
	s_mov_b32 m0, s0
	s_sendmsg sendmsg(MSG_INTERRUPT)
	s_mov_b32 m0, ttmp2
.LBB135_2939:                           ; =>This Inner Loop Header: Depth=1
	s_sethalt 5
	s_branch .LBB135_2939
.LBB135_2940:
	s_cbranch_execnz .LBB135_3113
; %bb.2941:
	s_or_b32 s1, s1, exec_lo
	s_cbranch_execz .LBB135_2885
	s_branch .LBB135_2886
.LBB135_2942:
	s_or_saveexec_b32 s11, s11
                                        ; implicit-def: $sgpr13
	s_delay_alu instid0(SALU_CYCLE_1)
	s_xor_b32 exec_lo, exec_lo, s11
	s_cbranch_execz .LBB135_2850
.LBB135_2943:
	v_add_f32_e64 v6, 0x42800000, |v5|
	s_and_not1_b32 s10, s10, exec_lo
	s_mov_b32 s13, 0
	s_delay_alu instid0(VALU_DEP_1) | instskip(NEXT) | instid1(VALU_DEP_1)
	v_and_b32_e32 v6, 0xff, v6
	v_cmp_ne_u32_e32 vcc_lo, 0, v6
	s_and_b32 s14, vcc_lo, exec_lo
	s_delay_alu instid0(SALU_CYCLE_1)
	s_or_b32 s10, s10, s14
	s_or_b32 exec_lo, exec_lo, s11
	v_mov_b32_e32 v8, s13
	s_and_saveexec_b32 s11, s10
	s_cbranch_execnz .LBB135_2851
	s_branch .LBB135_2852
.LBB135_2944:
	s_mov_b32 s0, 0
.LBB135_2945:
	s_and_b32 vcc_lo, exec_lo, s11
	s_cbranch_vccz .LBB135_2950
; %bb.2946:
	v_cmp_eq_u16_e64 s0, s3, 44
	s_delay_alu instid0(VALU_DEP_1)
	s_and_b32 vcc_lo, exec_lo, s0
	s_mov_b32 s0, -1
	s_cbranch_vccz .LBB135_2950
; %bb.2947:
	v_cvt_f32_f16_e32 v4, v3
	v_mov_b32_e32 v5, 0xff
	s_mov_b32 s10, exec_lo
	s_delay_alu instid0(VALU_DEP_2) | instskip(NEXT) | instid1(VALU_DEP_1)
	v_bfe_u32 v6, v4, 23, 8
	v_cmpx_ne_u32_e32 0xff, v6
; %bb.2948:
	v_and_b32_e32 v5, 0x400000, v4
	v_and_or_b32 v6, 0x3fffff, v4, v6
	v_lshrrev_b32_e32 v4, 23, v4
	s_delay_alu instid0(VALU_DEP_3) | instskip(NEXT) | instid1(VALU_DEP_3)
	v_cmp_ne_u32_e32 vcc_lo, 0, v5
	v_cmp_ne_u32_e64 s0, 0, v6
	s_delay_alu instid0(VALU_DEP_1) | instskip(NEXT) | instid1(SALU_CYCLE_1)
	s_and_b32 s0, vcc_lo, s0
	v_cndmask_b32_e64 v5, 0, 1, s0
	s_delay_alu instid0(VALU_DEP_1)
	v_add_nc_u32_e32 v5, v4, v5
; %bb.2949:
	s_or_b32 exec_lo, exec_lo, s10
	s_mov_b32 s0, 0
	s_mov_b32 s10, -1
	global_store_b8 v[1:2], v5, off
.LBB135_2950:
	s_mov_b32 s11, 0
.LBB135_2951:
	s_delay_alu instid0(SALU_CYCLE_1)
	s_and_b32 vcc_lo, exec_lo, s11
	s_cbranch_vccz .LBB135_2954
; %bb.2952:
	v_cmp_eq_u16_e64 s0, s3, 29
	s_delay_alu instid0(VALU_DEP_1)
	s_and_b32 vcc_lo, exec_lo, s0
	s_mov_b32 s0, -1
	s_cbranch_vccz .LBB135_2954
; %bb.2953:
	v_cvt_f32_f16_e32 v4, v3
	v_mov_b32_e32 v5, 0
	s_mov_b32 s0, 0
	s_mov_b32 s10, -1
	s_mov_b32 s11, 0
	v_cvt_u32_f32_e32 v4, v4
	global_store_b64 v[1:2], v[4:5], off
	s_branch .LBB135_2955
.LBB135_2954:
	s_mov_b32 s11, 0
.LBB135_2955:
	s_delay_alu instid0(SALU_CYCLE_1)
	s_and_b32 vcc_lo, exec_lo, s11
	s_cbranch_vccz .LBB135_2971
; %bb.2956:
	v_cmp_lt_i16_e64 s10, s3, 27
	s_delay_alu instid0(VALU_DEP_1)
	s_and_b32 vcc_lo, exec_lo, s10
	s_mov_b32 s10, -1
	s_cbranch_vccnz .LBB135_2962
; %bb.2957:
	v_cmp_gt_i16_e64 s10, s3, 27
	s_delay_alu instid0(VALU_DEP_1)
	s_and_b32 vcc_lo, exec_lo, s10
	s_mov_b32 s10, -1
	s_cbranch_vccz .LBB135_2959
; %bb.2958:
	v_cvt_f32_f16_e32 v4, v3
	s_mov_b32 s10, 0
	s_delay_alu instid0(VALU_DEP_1)
	v_cvt_u32_f32_e32 v4, v4
	global_store_b32 v[1:2], v4, off
.LBB135_2959:
	s_and_not1_b32 vcc_lo, exec_lo, s10
	s_cbranch_vccnz .LBB135_2961
; %bb.2960:
	v_cvt_u16_f16_e32 v4, v3
	global_store_b16 v[1:2], v4, off
.LBB135_2961:
	s_mov_b32 s10, 0
.LBB135_2962:
	s_delay_alu instid0(SALU_CYCLE_1)
	s_and_not1_b32 vcc_lo, exec_lo, s10
	s_cbranch_vccnz .LBB135_2970
; %bb.2963:
	v_cvt_f32_f16_e32 v4, v3
	v_mov_b32_e32 v6, 0x80
	s_mov_b32 s10, exec_lo
	s_delay_alu instid0(VALU_DEP_2) | instskip(NEXT) | instid1(VALU_DEP_1)
	v_and_b32_e32 v5, 0x7fffffff, v4
	v_cmpx_gt_u32_e32 0x43800000, v5
	s_cbranch_execz .LBB135_2969
; %bb.2964:
	v_cmp_lt_u32_e32 vcc_lo, 0x3bffffff, v5
	s_mov_b32 s11, 0
                                        ; implicit-def: $vgpr5
	s_and_saveexec_b32 s12, vcc_lo
	s_delay_alu instid0(SALU_CYCLE_1)
	s_xor_b32 s12, exec_lo, s12
	s_cbranch_execz .LBB135_3110
; %bb.2965:
	v_bfe_u32 v5, v4, 20, 1
	s_mov_b32 s11, exec_lo
	s_delay_alu instid0(VALU_DEP_1) | instskip(NEXT) | instid1(VALU_DEP_1)
	v_add3_u32 v5, v4, v5, 0x487ffff
	v_lshrrev_b32_e32 v5, 20, v5
	s_or_saveexec_b32 s12, s12
                                        ; implicit-def: $sgpr13
	s_delay_alu instid0(SALU_CYCLE_1)
	s_xor_b32 exec_lo, exec_lo, s12
	s_cbranch_execnz .LBB135_3111
.LBB135_2966:
	s_or_b32 exec_lo, exec_lo, s12
	v_mov_b32_e32 v6, s13
	s_and_saveexec_b32 s12, s11
.LBB135_2967:
	v_lshrrev_b32_e32 v4, 24, v4
	s_delay_alu instid0(VALU_DEP_1)
	v_and_or_b32 v6, 0x80, v4, v5
.LBB135_2968:
	s_or_b32 exec_lo, exec_lo, s12
.LBB135_2969:
	s_delay_alu instid0(SALU_CYCLE_1)
	s_or_b32 exec_lo, exec_lo, s10
	global_store_b8 v[1:2], v6, off
.LBB135_2970:
	s_mov_b32 s10, -1
.LBB135_2971:
	s_mov_b32 s11, 0
.LBB135_2972:
	s_delay_alu instid0(SALU_CYCLE_1)
	s_and_b32 vcc_lo, exec_lo, s11
	s_cbranch_vccz .LBB135_3012
; %bb.2973:
	v_cmp_gt_i16_e64 s7, s3, 22
	s_delay_alu instid0(VALU_DEP_1)
	s_and_b32 vcc_lo, exec_lo, s7
	s_mov_b32 s7, -1
	s_cbranch_vccz .LBB135_3005
; %bb.2974:
	v_cmp_lt_i16_e64 s7, s3, 24
	s_delay_alu instid0(VALU_DEP_1)
	s_and_b32 vcc_lo, exec_lo, s7
	s_mov_b32 s7, -1
	s_cbranch_vccnz .LBB135_2994
; %bb.2975:
	v_cmp_gt_i16_e64 s7, s3, 24
	s_delay_alu instid0(VALU_DEP_1)
	s_and_b32 vcc_lo, exec_lo, s7
	s_mov_b32 s7, -1
	s_cbranch_vccz .LBB135_2983
; %bb.2976:
	v_cvt_f32_f16_e32 v4, v3
	v_mov_b32_e32 v6, 0x80
	s_mov_b32 s7, exec_lo
	s_delay_alu instid0(VALU_DEP_2) | instskip(NEXT) | instid1(VALU_DEP_1)
	v_and_b32_e32 v5, 0x7fffffff, v4
	v_cmpx_gt_u32_e32 0x47800000, v5
	s_cbranch_execz .LBB135_2982
; %bb.2977:
	v_cmp_lt_u32_e32 vcc_lo, 0x37ffffff, v5
	s_mov_b32 s10, 0
                                        ; implicit-def: $vgpr5
	s_and_saveexec_b32 s11, vcc_lo
	s_delay_alu instid0(SALU_CYCLE_1)
	s_xor_b32 s11, exec_lo, s11
	s_cbranch_execz .LBB135_3117
; %bb.2978:
	v_bfe_u32 v5, v4, 21, 1
	s_mov_b32 s10, exec_lo
	s_delay_alu instid0(VALU_DEP_1) | instskip(NEXT) | instid1(VALU_DEP_1)
	v_add3_u32 v5, v4, v5, 0x88fffff
	v_lshrrev_b32_e32 v5, 21, v5
	s_or_saveexec_b32 s11, s11
                                        ; implicit-def: $sgpr12
	s_delay_alu instid0(SALU_CYCLE_1)
	s_xor_b32 exec_lo, exec_lo, s11
	s_cbranch_execnz .LBB135_3118
.LBB135_2979:
	s_or_b32 exec_lo, exec_lo, s11
	v_mov_b32_e32 v6, s12
	s_and_saveexec_b32 s11, s10
.LBB135_2980:
	v_lshrrev_b32_e32 v4, 24, v4
	s_delay_alu instid0(VALU_DEP_1)
	v_and_or_b32 v6, 0x80, v4, v5
.LBB135_2981:
	s_or_b32 exec_lo, exec_lo, s11
.LBB135_2982:
	s_delay_alu instid0(SALU_CYCLE_1)
	s_or_b32 exec_lo, exec_lo, s7
	s_mov_b32 s7, 0
	global_store_b8 v[1:2], v6, off
.LBB135_2983:
	s_and_b32 vcc_lo, exec_lo, s7
	s_cbranch_vccz .LBB135_2993
; %bb.2984:
	v_cvt_f32_f16_e32 v4, v3
	s_mov_b32 s7, exec_lo
                                        ; implicit-def: $vgpr5
	s_delay_alu instid0(VALU_DEP_1) | instskip(NEXT) | instid1(VALU_DEP_1)
	v_and_b32_e32 v6, 0x7fffffff, v4
	v_cmpx_gt_u32_e32 0x43f00000, v6
	s_xor_b32 s7, exec_lo, s7
	s_cbranch_execz .LBB135_2990
; %bb.2985:
	s_mov_b32 s10, exec_lo
                                        ; implicit-def: $vgpr5
	v_cmpx_lt_u32_e32 0x3c7fffff, v6
	s_xor_b32 s10, exec_lo, s10
; %bb.2986:
	v_bfe_u32 v5, v4, 20, 1
	s_delay_alu instid0(VALU_DEP_1) | instskip(NEXT) | instid1(VALU_DEP_1)
	v_add3_u32 v5, v4, v5, 0x407ffff
	v_and_b32_e32 v6, 0xff00000, v5
	v_lshrrev_b32_e32 v5, 20, v5
	s_delay_alu instid0(VALU_DEP_2) | instskip(NEXT) | instid1(VALU_DEP_2)
	v_cmp_ne_u32_e32 vcc_lo, 0x7f00000, v6
	v_cndmask_b32_e32 v5, 0x7e, v5, vcc_lo
; %bb.2987:
	s_and_not1_saveexec_b32 s10, s10
; %bb.2988:
	v_add_f32_e64 v5, 0x46800000, |v4|
; %bb.2989:
	s_or_b32 exec_lo, exec_lo, s10
                                        ; implicit-def: $vgpr6
.LBB135_2990:
	s_and_not1_saveexec_b32 s7, s7
; %bb.2991:
	v_mov_b32_e32 v5, 0x7f
	v_cmp_lt_u32_e32 vcc_lo, 0x7f800000, v6
	s_delay_alu instid0(VALU_DEP_2)
	v_cndmask_b32_e32 v5, 0x7e, v5, vcc_lo
; %bb.2992:
	s_or_b32 exec_lo, exec_lo, s7
	v_lshrrev_b32_e32 v4, 24, v4
	s_delay_alu instid0(VALU_DEP_1)
	v_and_or_b32 v4, 0x80, v4, v5
	global_store_b8 v[1:2], v4, off
.LBB135_2993:
	s_mov_b32 s7, 0
.LBB135_2994:
	s_delay_alu instid0(SALU_CYCLE_1)
	s_and_not1_b32 vcc_lo, exec_lo, s7
	s_cbranch_vccnz .LBB135_3004
; %bb.2995:
	v_cvt_f32_f16_e32 v4, v3
	s_mov_b32 s7, exec_lo
                                        ; implicit-def: $vgpr5
	s_delay_alu instid0(VALU_DEP_1) | instskip(NEXT) | instid1(VALU_DEP_1)
	v_and_b32_e32 v6, 0x7fffffff, v4
	v_cmpx_gt_u32_e32 0x47800000, v6
	s_xor_b32 s7, exec_lo, s7
	s_cbranch_execz .LBB135_3001
; %bb.2996:
	s_mov_b32 s10, exec_lo
                                        ; implicit-def: $vgpr5
	v_cmpx_lt_u32_e32 0x387fffff, v6
	s_xor_b32 s10, exec_lo, s10
; %bb.2997:
	v_bfe_u32 v5, v4, 21, 1
	s_delay_alu instid0(VALU_DEP_1) | instskip(NEXT) | instid1(VALU_DEP_1)
	v_add3_u32 v5, v4, v5, 0x80fffff
	v_lshrrev_b32_e32 v5, 21, v5
; %bb.2998:
	s_and_not1_saveexec_b32 s10, s10
; %bb.2999:
	v_add_f32_e64 v5, 0x43000000, |v4|
; %bb.3000:
	s_or_b32 exec_lo, exec_lo, s10
                                        ; implicit-def: $vgpr6
.LBB135_3001:
	s_and_not1_saveexec_b32 s7, s7
; %bb.3002:
	v_mov_b32_e32 v5, 0x7f
	v_cmp_lt_u32_e32 vcc_lo, 0x7f800000, v6
	s_delay_alu instid0(VALU_DEP_2)
	v_cndmask_b32_e32 v5, 0x7c, v5, vcc_lo
; %bb.3003:
	s_or_b32 exec_lo, exec_lo, s7
	v_lshrrev_b32_e32 v4, 24, v4
	s_delay_alu instid0(VALU_DEP_1)
	v_and_or_b32 v4, 0x80, v4, v5
	global_store_b8 v[1:2], v4, off
.LBB135_3004:
	s_mov_b32 s7, 0
	s_mov_b32 s10, -1
.LBB135_3005:
	s_and_not1_b32 vcc_lo, exec_lo, s7
	s_mov_b32 s7, 0
	s_cbranch_vccnz .LBB135_3012
; %bb.3006:
	v_cmp_gt_i16_e64 s7, s3, 14
	s_delay_alu instid0(VALU_DEP_1)
	s_and_b32 vcc_lo, exec_lo, s7
	s_mov_b32 s7, -1
	s_cbranch_vccz .LBB135_3010
; %bb.3007:
	v_cmp_eq_u16_e64 s0, s3, 15
	s_delay_alu instid0(VALU_DEP_1)
	s_and_b32 vcc_lo, exec_lo, s0
	s_mov_b32 s0, -1
	s_cbranch_vccz .LBB135_3009
; %bb.3008:
	v_cvt_f32_f16_e32 v4, v3
	v_cmp_o_f16_e32 vcc_lo, v3, v3
	s_mov_b32 s0, 0
	s_mov_b32 s10, -1
	s_delay_alu instid0(VALU_DEP_2) | instskip(NEXT) | instid1(VALU_DEP_1)
	v_bfe_u32 v5, v4, 16, 1
	v_add3_u32 v4, v4, v5, 0x7fff
	s_delay_alu instid0(VALU_DEP_1) | instskip(NEXT) | instid1(VALU_DEP_1)
	v_lshrrev_b32_e32 v4, 16, v4
	v_cndmask_b32_e32 v4, 0x7fc0, v4, vcc_lo
	global_store_b16 v[1:2], v4, off
.LBB135_3009:
	s_mov_b32 s7, 0
.LBB135_3010:
	s_delay_alu instid0(SALU_CYCLE_1)
	s_and_b32 vcc_lo, exec_lo, s7
	s_mov_b32 s7, 0
	s_cbranch_vccz .LBB135_3012
; %bb.3011:
	v_cmp_ne_u16_e64 s0, s3, 11
	s_mov_b32 s7, -1
.LBB135_3012:
	s_delay_alu instid0(VALU_DEP_1)
	s_and_b32 vcc_lo, exec_lo, s0
	s_cbranch_vccnz .LBB135_3115
; %bb.3013:
	s_and_not1_b32 vcc_lo, exec_lo, s7
	s_cbranch_vccnz .LBB135_3015
.LBB135_3014:
	v_cmp_neq_f16_e32 vcc_lo, 0, v3
	s_mov_b32 s10, -1
	v_cndmask_b32_e64 v4, 0, 1, vcc_lo
	global_store_b8 v[1:2], v4, off
.LBB135_3015:
	s_mov_b32 s0, 0
.LBB135_3016:
	s_delay_alu instid0(SALU_CYCLE_1)
	s_and_b32 vcc_lo, exec_lo, s0
	s_cbranch_vccz .LBB135_3055
; %bb.3017:
	v_cmp_lt_i16_e64 s0, s3, 5
	s_delay_alu instid0(VALU_DEP_1)
	s_and_b32 vcc_lo, exec_lo, s0
	s_mov_b32 s0, -1
	s_cbranch_vccnz .LBB135_3038
; %bb.3018:
	v_cmp_lt_i16_e64 s0, s3, 8
	s_delay_alu instid0(VALU_DEP_1)
	s_and_b32 vcc_lo, exec_lo, s0
	s_mov_b32 s0, -1
	s_cbranch_vccnz .LBB135_3028
	;; [unrolled: 6-line block ×3, first 2 shown]
; %bb.3020:
	v_cmp_gt_i16_e64 s0, s3, 9
	s_delay_alu instid0(VALU_DEP_1)
	s_and_b32 vcc_lo, exec_lo, s0
	s_mov_b32 s0, -1
	s_cbranch_vccz .LBB135_3022
; %bb.3021:
	v_cvt_f32_f16_e32 v4, v3
	v_mov_b32_e32 v10, 0
	s_mov_b32 s0, 0
	s_delay_alu instid0(VALU_DEP_2) | instskip(NEXT) | instid1(VALU_DEP_2)
	v_cvt_f64_f32_e32 v[8:9], v4
	v_mov_b32_e32 v11, v10
	global_store_b128 v[1:2], v[8:11], off
.LBB135_3022:
	s_and_not1_b32 vcc_lo, exec_lo, s0
	s_cbranch_vccnz .LBB135_3024
; %bb.3023:
	v_cvt_f32_f16_e32 v4, v3
	v_mov_b32_e32 v5, 0
	global_store_b64 v[1:2], v[4:5], off
.LBB135_3024:
	s_mov_b32 s0, 0
.LBB135_3025:
	s_delay_alu instid0(SALU_CYCLE_1)
	s_and_not1_b32 vcc_lo, exec_lo, s0
	s_cbranch_vccnz .LBB135_3027
; %bb.3026:
	v_and_b32_e32 v4, 0xffff, v3
	global_store_b32 v[1:2], v4, off
.LBB135_3027:
	s_mov_b32 s0, 0
.LBB135_3028:
	s_delay_alu instid0(SALU_CYCLE_1)
	s_and_not1_b32 vcc_lo, exec_lo, s0
	s_cbranch_vccnz .LBB135_3037
; %bb.3029:
	v_cmp_lt_i16_e64 s0, s3, 6
	s_delay_alu instid0(VALU_DEP_1)
	s_and_b32 vcc_lo, exec_lo, s0
	s_mov_b32 s0, -1
	s_cbranch_vccnz .LBB135_3035
; %bb.3030:
	v_cmp_gt_i16_e64 s0, s3, 6
	s_delay_alu instid0(VALU_DEP_1)
	s_and_b32 vcc_lo, exec_lo, s0
	s_mov_b32 s0, -1
	s_cbranch_vccz .LBB135_3032
; %bb.3031:
	v_cvt_f32_f16_e32 v4, v3
	s_mov_b32 s0, 0
	s_delay_alu instid0(VALU_DEP_1)
	v_cvt_f64_f32_e32 v[4:5], v4
	global_store_b64 v[1:2], v[4:5], off
.LBB135_3032:
	s_and_not1_b32 vcc_lo, exec_lo, s0
	s_cbranch_vccnz .LBB135_3034
; %bb.3033:
	v_cvt_f32_f16_e32 v4, v3
	global_store_b32 v[1:2], v4, off
.LBB135_3034:
	s_mov_b32 s0, 0
.LBB135_3035:
	s_delay_alu instid0(SALU_CYCLE_1)
	s_and_not1_b32 vcc_lo, exec_lo, s0
	s_cbranch_vccnz .LBB135_3037
; %bb.3036:
	global_store_b16 v[1:2], v3, off
.LBB135_3037:
	s_mov_b32 s0, 0
.LBB135_3038:
	s_delay_alu instid0(SALU_CYCLE_1)
	s_and_not1_b32 vcc_lo, exec_lo, s0
	s_cbranch_vccnz .LBB135_3054
; %bb.3039:
	v_cmp_lt_i16_e64 s0, s3, 2
	s_delay_alu instid0(VALU_DEP_1)
	s_and_b32 vcc_lo, exec_lo, s0
	s_mov_b32 s0, -1
	s_cbranch_vccnz .LBB135_3049
; %bb.3040:
	v_cmp_lt_i16_e64 s0, s3, 3
	s_delay_alu instid0(VALU_DEP_1)
	s_and_b32 vcc_lo, exec_lo, s0
	s_mov_b32 s0, -1
	s_cbranch_vccnz .LBB135_3046
; %bb.3041:
	v_cmp_gt_i16_e64 s0, s3, 3
	s_delay_alu instid0(VALU_DEP_1)
	s_and_b32 vcc_lo, exec_lo, s0
	s_mov_b32 s0, -1
	s_cbranch_vccz .LBB135_3043
; %bb.3042:
	v_cvt_f32_f16_e32 v4, v3
	s_mov_b32 s0, 0
	s_delay_alu instid0(VALU_DEP_1) | instskip(NEXT) | instid1(VALU_DEP_1)
	v_cvt_i32_f32_e32 v4, v4
	v_ashrrev_i32_e32 v5, 31, v4
	global_store_b64 v[1:2], v[4:5], off
.LBB135_3043:
	s_and_not1_b32 vcc_lo, exec_lo, s0
	s_cbranch_vccnz .LBB135_3045
; %bb.3044:
	v_cvt_f32_f16_e32 v4, v3
	s_delay_alu instid0(VALU_DEP_1)
	v_cvt_i32_f32_e32 v4, v4
	global_store_b32 v[1:2], v4, off
.LBB135_3045:
	s_mov_b32 s0, 0
.LBB135_3046:
	s_delay_alu instid0(SALU_CYCLE_1)
	s_and_not1_b32 vcc_lo, exec_lo, s0
	s_cbranch_vccnz .LBB135_3048
; %bb.3047:
	v_cvt_i16_f16_e32 v4, v3
	global_store_b16 v[1:2], v4, off
.LBB135_3048:
	s_mov_b32 s0, 0
.LBB135_3049:
	s_delay_alu instid0(SALU_CYCLE_1)
	s_and_not1_b32 vcc_lo, exec_lo, s0
	s_cbranch_vccnz .LBB135_3054
; %bb.3050:
	v_cmp_gt_i16_e64 s0, s3, 0
	s_delay_alu instid0(VALU_DEP_1)
	s_and_b32 vcc_lo, exec_lo, s0
	s_mov_b32 s0, -1
	s_cbranch_vccz .LBB135_3052
; %bb.3051:
	v_cvt_i16_f16_e32 v4, v3
	s_mov_b32 s0, 0
	global_store_b8 v[1:2], v4, off
.LBB135_3052:
	s_and_not1_b32 vcc_lo, exec_lo, s0
	s_cbranch_vccnz .LBB135_3054
; %bb.3053:
	v_cvt_f32_f16_e32 v3, v3
	s_delay_alu instid0(VALU_DEP_1)
	v_cvt_i32_f32_e32 v3, v3
	global_store_b8 v[1:2], v3, off
.LBB135_3054:
	s_mov_b32 s10, -1
.LBB135_3055:
	s_delay_alu instid0(SALU_CYCLE_1)
	s_and_not1_b32 vcc_lo, exec_lo, s10
	s_cbranch_vccnz .LBB135_3064
; %bb.3056:
	v_cndmask_b32_e64 v1, 0, 1.0, s6
	s_waitcnt vmcnt(0)
	v_cvt_f32_f16_e32 v2, v7
	v_cmp_lt_i16_e64 s0, s3, 11
	v_add_co_u32 v0, s4, s4, v0
	s_mov_b32 s6, 0
	s_delay_alu instid0(VALU_DEP_3) | instskip(SKIP_3) | instid1(VALU_DEP_2)
	v_mul_f32_e32 v2, v2, v1
	v_add_co_ci_u32_e64 v1, null, s5, 0, s4
	s_and_b32 vcc_lo, exec_lo, s0
	s_mov_b32 s0, -1
	v_fma_mixlo_f16 v2, s2, v2, 0
	s_cbranch_vccnz .LBB135_3065
; %bb.3057:
	v_cmp_gt_i16_e64 s0, s3, 25
	s_mov_b32 s2, -1
	s_delay_alu instid0(VALU_DEP_1)
	s_and_b32 vcc_lo, exec_lo, s0
	s_mov_b32 s0, 0
	s_cbranch_vccz .LBB135_3146
; %bb.3058:
	v_cmp_gt_i16_e64 s0, s3, 28
	s_delay_alu instid0(VALU_DEP_1)
	s_and_b32 vcc_lo, exec_lo, s0
	s_cbranch_vccz .LBB135_3109
; %bb.3059:
	v_cmp_gt_i16_e64 s0, s3, 43
	s_delay_alu instid0(VALU_DEP_1)
	s_and_b32 vcc_lo, exec_lo, s0
	s_cbranch_vccz .LBB135_3112
; %bb.3060:
	v_cmp_gt_i16_e64 s0, s3, 45
	s_delay_alu instid0(VALU_DEP_1)
	s_and_b32 vcc_lo, exec_lo, s0
	s_cbranch_vccz .LBB135_3119
; %bb.3061:
	v_cmp_eq_u16_e64 s0, s3, 46
	s_delay_alu instid0(VALU_DEP_1)
	s_and_b32 vcc_lo, exec_lo, s0
	s_mov_b32 s0, -1
	s_cbranch_vccz .LBB135_3063
; %bb.3062:
	v_cvt_f32_f16_e32 v3, v2
	v_cmp_o_f16_e32 vcc_lo, v2, v2
	s_mov_b32 s0, 0
	s_delay_alu instid0(VALU_DEP_2) | instskip(NEXT) | instid1(VALU_DEP_1)
	v_bfe_u32 v4, v3, 16, 1
	v_add3_u32 v3, v3, v4, 0x7fff
	s_delay_alu instid0(VALU_DEP_1) | instskip(NEXT) | instid1(VALU_DEP_1)
	v_lshrrev_b32_e32 v3, 16, v3
	v_cndmask_b32_e32 v3, 0x7fc0, v3, vcc_lo
	global_store_b32 v[0:1], v3, off
.LBB135_3063:
	s_mov_b32 s2, 0
	s_branch .LBB135_3120
.LBB135_3064:
	s_mov_b32 s0, 0
	s_mov_b32 s6, 0
                                        ; implicit-def: $vgpr0_vgpr1
                                        ; implicit-def: $sgpr3
                                        ; implicit-def: $vgpr2
.LBB135_3065:
	s_and_b32 s2, s0, exec_lo
	s_and_not1_b32 s0, s8, exec_lo
	s_and_b32 s1, s1, exec_lo
	s_and_b32 s28, s6, exec_lo
	s_or_b32 s8, s0, s1
.LBB135_3066:
	s_or_b32 exec_lo, exec_lo, s9
	s_and_saveexec_b32 s0, s8
	s_cbranch_execz .LBB135_3069
; %bb.3067:
	; divergent unreachable
	s_or_b32 exec_lo, exec_lo, s0
	s_and_saveexec_b32 s0, s28
	s_delay_alu instid0(SALU_CYCLE_1)
	s_xor_b32 s0, exec_lo, s0
	s_cbranch_execnz .LBB135_3070
.LBB135_3068:
	s_or_b32 exec_lo, exec_lo, s0
	s_and_saveexec_b32 s0, s2
	s_cbranch_execnz .LBB135_3071
	s_branch .LBB135_3108
.LBB135_3069:
	s_or_b32 exec_lo, exec_lo, s0
	s_and_saveexec_b32 s0, s28
	s_delay_alu instid0(SALU_CYCLE_1)
	s_xor_b32 s0, exec_lo, s0
	s_cbranch_execz .LBB135_3068
.LBB135_3070:
	v_cmp_neq_f16_e32 vcc_lo, 0, v2
	v_cndmask_b32_e64 v3, 0, 1, vcc_lo
	global_store_b8 v[0:1], v3, off
	s_or_b32 exec_lo, exec_lo, s0
	s_and_saveexec_b32 s0, s2
	s_cbranch_execz .LBB135_3108
.LBB135_3071:
	v_cmp_lt_i16_e64 s0, s3, 5
	s_delay_alu instid0(VALU_DEP_1)
	s_and_b32 vcc_lo, exec_lo, s0
	s_mov_b32 s0, -1
	s_cbranch_vccnz .LBB135_3092
; %bb.3072:
	v_cmp_lt_i16_e64 s0, s3, 8
	s_delay_alu instid0(VALU_DEP_1)
	s_and_b32 vcc_lo, exec_lo, s0
	s_mov_b32 s0, -1
	s_cbranch_vccnz .LBB135_3082
; %bb.3073:
	v_cmp_lt_i16_e64 s0, s3, 9
	s_delay_alu instid0(VALU_DEP_1)
	s_and_b32 vcc_lo, exec_lo, s0
	s_mov_b32 s0, -1
	s_cbranch_vccnz .LBB135_3079
; %bb.3074:
	v_cmp_gt_i16_e64 s0, s3, 9
	s_delay_alu instid0(VALU_DEP_1)
	s_and_b32 vcc_lo, exec_lo, s0
	s_mov_b32 s0, -1
	s_cbranch_vccz .LBB135_3076
; %bb.3075:
	v_cvt_f32_f16_e32 v3, v2
	s_waitcnt vmcnt(0)
	v_mov_b32_e32 v5, 0
	s_mov_b32 s0, 0
	s_delay_alu instid0(VALU_DEP_2) | instskip(NEXT) | instid1(VALU_DEP_2)
	v_cvt_f64_f32_e32 v[3:4], v3
	v_mov_b32_e32 v6, v5
	global_store_b128 v[0:1], v[3:6], off
.LBB135_3076:
	s_and_not1_b32 vcc_lo, exec_lo, s0
	s_cbranch_vccnz .LBB135_3078
; %bb.3077:
	v_cvt_f32_f16_e32 v3, v2
	v_mov_b32_e32 v4, 0
	global_store_b64 v[0:1], v[3:4], off
.LBB135_3078:
	s_mov_b32 s0, 0
.LBB135_3079:
	s_delay_alu instid0(SALU_CYCLE_1)
	s_and_not1_b32 vcc_lo, exec_lo, s0
	s_cbranch_vccnz .LBB135_3081
; %bb.3080:
	v_and_b32_e32 v3, 0xffff, v2
	global_store_b32 v[0:1], v3, off
.LBB135_3081:
	s_mov_b32 s0, 0
.LBB135_3082:
	s_delay_alu instid0(SALU_CYCLE_1)
	s_and_not1_b32 vcc_lo, exec_lo, s0
	s_cbranch_vccnz .LBB135_3091
; %bb.3083:
	v_cmp_lt_i16_e64 s0, s3, 6
	s_delay_alu instid0(VALU_DEP_1)
	s_and_b32 vcc_lo, exec_lo, s0
	s_mov_b32 s0, -1
	s_cbranch_vccnz .LBB135_3089
; %bb.3084:
	v_cmp_gt_i16_e64 s0, s3, 6
	s_delay_alu instid0(VALU_DEP_1)
	s_and_b32 vcc_lo, exec_lo, s0
	s_mov_b32 s0, -1
	s_cbranch_vccz .LBB135_3086
; %bb.3085:
	v_cvt_f32_f16_e32 v3, v2
	s_mov_b32 s0, 0
	s_delay_alu instid0(VALU_DEP_1)
	v_cvt_f64_f32_e32 v[3:4], v3
	global_store_b64 v[0:1], v[3:4], off
.LBB135_3086:
	s_and_not1_b32 vcc_lo, exec_lo, s0
	s_cbranch_vccnz .LBB135_3088
; %bb.3087:
	v_cvt_f32_f16_e32 v3, v2
	global_store_b32 v[0:1], v3, off
.LBB135_3088:
	s_mov_b32 s0, 0
.LBB135_3089:
	s_delay_alu instid0(SALU_CYCLE_1)
	s_and_not1_b32 vcc_lo, exec_lo, s0
	s_cbranch_vccnz .LBB135_3091
; %bb.3090:
	global_store_b16 v[0:1], v2, off
.LBB135_3091:
	s_mov_b32 s0, 0
.LBB135_3092:
	s_delay_alu instid0(SALU_CYCLE_1)
	s_and_not1_b32 vcc_lo, exec_lo, s0
	s_cbranch_vccnz .LBB135_3108
; %bb.3093:
	v_cmp_lt_i16_e64 s0, s3, 2
	s_delay_alu instid0(VALU_DEP_1)
	s_and_b32 vcc_lo, exec_lo, s0
	s_mov_b32 s0, -1
	s_cbranch_vccnz .LBB135_3103
; %bb.3094:
	v_cmp_lt_i16_e64 s0, s3, 3
	s_delay_alu instid0(VALU_DEP_1)
	s_and_b32 vcc_lo, exec_lo, s0
	s_mov_b32 s0, -1
	s_cbranch_vccnz .LBB135_3100
; %bb.3095:
	v_cmp_gt_i16_e64 s0, s3, 3
	s_delay_alu instid0(VALU_DEP_1)
	s_and_b32 vcc_lo, exec_lo, s0
	s_mov_b32 s0, -1
	s_cbranch_vccz .LBB135_3097
; %bb.3096:
	v_cvt_f32_f16_e32 v3, v2
	s_mov_b32 s0, 0
	s_delay_alu instid0(VALU_DEP_1) | instskip(NEXT) | instid1(VALU_DEP_1)
	v_cvt_i32_f32_e32 v3, v3
	v_ashrrev_i32_e32 v4, 31, v3
	global_store_b64 v[0:1], v[3:4], off
.LBB135_3097:
	s_and_not1_b32 vcc_lo, exec_lo, s0
	s_cbranch_vccnz .LBB135_3099
; %bb.3098:
	v_cvt_f32_f16_e32 v3, v2
	s_delay_alu instid0(VALU_DEP_1)
	v_cvt_i32_f32_e32 v3, v3
	global_store_b32 v[0:1], v3, off
.LBB135_3099:
	s_mov_b32 s0, 0
.LBB135_3100:
	s_delay_alu instid0(SALU_CYCLE_1)
	s_and_not1_b32 vcc_lo, exec_lo, s0
	s_cbranch_vccnz .LBB135_3102
; %bb.3101:
	v_cvt_i16_f16_e32 v3, v2
	global_store_b16 v[0:1], v3, off
.LBB135_3102:
	s_mov_b32 s0, 0
.LBB135_3103:
	s_delay_alu instid0(SALU_CYCLE_1)
	s_and_not1_b32 vcc_lo, exec_lo, s0
	s_cbranch_vccnz .LBB135_3108
; %bb.3104:
	v_cmp_gt_i16_e64 s0, s3, 0
	s_delay_alu instid0(VALU_DEP_1)
	s_and_b32 vcc_lo, exec_lo, s0
	s_mov_b32 s0, -1
	s_cbranch_vccz .LBB135_3106
; %bb.3105:
	v_cvt_i16_f16_e32 v3, v2
	s_mov_b32 s0, 0
	global_store_b8 v[0:1], v3, off
.LBB135_3106:
	s_and_not1_b32 vcc_lo, exec_lo, s0
	s_cbranch_vccnz .LBB135_3108
; %bb.3107:
	v_cvt_f32_f16_e32 v2, v2
	s_delay_alu instid0(VALU_DEP_1)
	v_cvt_i32_f32_e32 v2, v2
	global_store_b8 v[0:1], v2, off
	s_nop 0
	s_sendmsg sendmsg(MSG_DEALLOC_VGPRS)
	s_endpgm
.LBB135_3108:
	s_nop 0
	s_sendmsg sendmsg(MSG_DEALLOC_VGPRS)
	s_endpgm
.LBB135_3109:
	s_mov_b32 s0, 0
	s_branch .LBB135_3130
.LBB135_3110:
	s_or_saveexec_b32 s12, s12
                                        ; implicit-def: $sgpr13
	s_delay_alu instid0(SALU_CYCLE_1)
	s_xor_b32 exec_lo, exec_lo, s12
	s_cbranch_execz .LBB135_2966
.LBB135_3111:
	v_add_f32_e64 v5, 0x46000000, |v4|
	s_and_not1_b32 s11, s11, exec_lo
	s_mov_b32 s13, 0
	s_delay_alu instid0(VALU_DEP_1) | instskip(NEXT) | instid1(VALU_DEP_1)
	v_and_b32_e32 v5, 0xff, v5
	v_cmp_ne_u32_e32 vcc_lo, 0, v5
	s_and_b32 s14, vcc_lo, exec_lo
	s_delay_alu instid0(SALU_CYCLE_1)
	s_or_b32 s11, s11, s14
	s_or_b32 exec_lo, exec_lo, s12
	v_mov_b32_e32 v6, s13
	s_and_saveexec_b32 s12, s11
	s_cbranch_execnz .LBB135_2967
	s_branch .LBB135_2968
.LBB135_3112:
	s_mov_b32 s0, 0
	s_branch .LBB135_3126
.LBB135_3113:
	s_trap 2
	s_sendmsg_rtn_b32 s0, sendmsg(MSG_RTN_GET_DOORBELL)
	s_mov_b32 ttmp2, m0
	s_waitcnt lgkmcnt(0)
	s_and_b32 s0, s0, 0x3ff
	s_delay_alu instid0(SALU_CYCLE_1) | instskip(NEXT) | instid1(SALU_CYCLE_1)
	s_bitset1_b32 s0, 10
	s_mov_b32 m0, s0
	s_sendmsg sendmsg(MSG_INTERRUPT)
	s_mov_b32 m0, ttmp2
.LBB135_3114:                           ; =>This Inner Loop Header: Depth=1
	s_sethalt 5
	s_branch .LBB135_3114
.LBB135_3115:
	s_cbranch_execnz .LBB135_3190
; %bb.3116:
	s_or_b32 s1, s1, exec_lo
	s_cbranch_execz .LBB135_3014
	s_branch .LBB135_3015
.LBB135_3117:
	s_or_saveexec_b32 s11, s11
                                        ; implicit-def: $sgpr12
	s_delay_alu instid0(SALU_CYCLE_1)
	s_xor_b32 exec_lo, exec_lo, s11
	s_cbranch_execz .LBB135_2979
.LBB135_3118:
	v_add_f32_e64 v5, 0x42800000, |v4|
	s_and_not1_b32 s10, s10, exec_lo
	s_mov_b32 s12, 0
	s_delay_alu instid0(VALU_DEP_1) | instskip(NEXT) | instid1(VALU_DEP_1)
	v_and_b32_e32 v5, 0xff, v5
	v_cmp_ne_u32_e32 vcc_lo, 0, v5
	s_and_b32 s13, vcc_lo, exec_lo
	s_delay_alu instid0(SALU_CYCLE_1)
	s_or_b32 s10, s10, s13
	s_or_b32 exec_lo, exec_lo, s11
	v_mov_b32_e32 v6, s12
	s_and_saveexec_b32 s11, s10
	s_cbranch_execnz .LBB135_2980
	s_branch .LBB135_2981
.LBB135_3119:
	s_mov_b32 s0, 0
.LBB135_3120:
	s_and_b32 vcc_lo, exec_lo, s2
	s_cbranch_vccz .LBB135_3125
; %bb.3121:
	v_cmp_eq_u16_e64 s0, s3, 44
	s_delay_alu instid0(VALU_DEP_1)
	s_and_b32 vcc_lo, exec_lo, s0
	s_mov_b32 s0, -1
	s_cbranch_vccz .LBB135_3125
; %bb.3122:
	v_cvt_f32_f16_e32 v3, v2
	v_mov_b32_e32 v4, 0xff
	s_mov_b32 s2, exec_lo
	s_delay_alu instid0(VALU_DEP_2) | instskip(NEXT) | instid1(VALU_DEP_1)
	v_bfe_u32 v5, v3, 23, 8
	v_cmpx_ne_u32_e32 0xff, v5
; %bb.3123:
	v_and_b32_e32 v4, 0x400000, v3
	v_and_or_b32 v5, 0x3fffff, v3, v5
	v_lshrrev_b32_e32 v3, 23, v3
	s_delay_alu instid0(VALU_DEP_3) | instskip(NEXT) | instid1(VALU_DEP_3)
	v_cmp_ne_u32_e32 vcc_lo, 0, v4
	v_cmp_ne_u32_e64 s0, 0, v5
	s_delay_alu instid0(VALU_DEP_1) | instskip(NEXT) | instid1(SALU_CYCLE_1)
	s_and_b32 s0, vcc_lo, s0
	v_cndmask_b32_e64 v4, 0, 1, s0
	s_delay_alu instid0(VALU_DEP_1)
	v_add_nc_u32_e32 v4, v3, v4
; %bb.3124:
	s_or_b32 exec_lo, exec_lo, s2
	s_mov_b32 s0, 0
	global_store_b8 v[0:1], v4, off
.LBB135_3125:
	s_mov_b32 s2, 0
.LBB135_3126:
	s_delay_alu instid0(SALU_CYCLE_1)
	s_and_b32 vcc_lo, exec_lo, s2
	s_cbranch_vccz .LBB135_3129
; %bb.3127:
	v_cmp_eq_u16_e64 s0, s3, 29
	s_delay_alu instid0(VALU_DEP_1)
	s_and_b32 vcc_lo, exec_lo, s0
	s_mov_b32 s0, -1
	s_cbranch_vccz .LBB135_3129
; %bb.3128:
	v_cvt_f32_f16_e32 v3, v2
	v_mov_b32_e32 v4, 0
	s_mov_b32 s0, 0
	s_delay_alu instid0(VALU_DEP_2)
	v_cvt_u32_f32_e32 v3, v3
	global_store_b64 v[0:1], v[3:4], off
.LBB135_3129:
	s_mov_b32 s2, 0
.LBB135_3130:
	s_delay_alu instid0(SALU_CYCLE_1)
	s_and_b32 vcc_lo, exec_lo, s2
	s_cbranch_vccz .LBB135_3145
; %bb.3131:
	v_cmp_lt_i16_e64 s2, s3, 27
	s_delay_alu instid0(VALU_DEP_1)
	s_and_b32 vcc_lo, exec_lo, s2
	s_mov_b32 s2, -1
	s_cbranch_vccnz .LBB135_3137
; %bb.3132:
	v_cmp_gt_i16_e64 s2, s3, 27
	s_delay_alu instid0(VALU_DEP_1)
	s_and_b32 vcc_lo, exec_lo, s2
	s_mov_b32 s2, -1
	s_cbranch_vccz .LBB135_3134
; %bb.3133:
	v_cvt_f32_f16_e32 v3, v2
	s_mov_b32 s2, 0
	s_delay_alu instid0(VALU_DEP_1)
	v_cvt_u32_f32_e32 v3, v3
	global_store_b32 v[0:1], v3, off
.LBB135_3134:
	s_and_not1_b32 vcc_lo, exec_lo, s2
	s_cbranch_vccnz .LBB135_3136
; %bb.3135:
	v_cvt_u16_f16_e32 v3, v2
	global_store_b16 v[0:1], v3, off
.LBB135_3136:
	s_mov_b32 s2, 0
.LBB135_3137:
	s_delay_alu instid0(SALU_CYCLE_1)
	s_and_not1_b32 vcc_lo, exec_lo, s2
	s_cbranch_vccnz .LBB135_3145
; %bb.3138:
	v_cvt_f32_f16_e32 v3, v2
	v_mov_b32_e32 v5, 0x80
	s_mov_b32 s2, exec_lo
	s_delay_alu instid0(VALU_DEP_2) | instskip(NEXT) | instid1(VALU_DEP_1)
	v_and_b32_e32 v4, 0x7fffffff, v3
	v_cmpx_gt_u32_e32 0x43800000, v4
	s_cbranch_execz .LBB135_3144
; %bb.3139:
	v_cmp_lt_u32_e32 vcc_lo, 0x3bffffff, v4
	s_mov_b32 s4, 0
                                        ; implicit-def: $vgpr4
	s_and_saveexec_b32 s5, vcc_lo
	s_delay_alu instid0(SALU_CYCLE_1)
	s_xor_b32 s5, exec_lo, s5
	s_cbranch_execz .LBB135_3188
; %bb.3140:
	v_bfe_u32 v4, v3, 20, 1
	s_mov_b32 s4, exec_lo
	s_delay_alu instid0(VALU_DEP_1) | instskip(NEXT) | instid1(VALU_DEP_1)
	v_add3_u32 v4, v3, v4, 0x487ffff
	v_lshrrev_b32_e32 v4, 20, v4
	s_or_saveexec_b32 s5, s5
                                        ; implicit-def: $sgpr7
	s_delay_alu instid0(SALU_CYCLE_1)
	s_xor_b32 exec_lo, exec_lo, s5
	s_cbranch_execnz .LBB135_3189
.LBB135_3141:
	s_or_b32 exec_lo, exec_lo, s5
	v_mov_b32_e32 v5, s7
	s_and_saveexec_b32 s5, s4
.LBB135_3142:
	v_lshrrev_b32_e32 v3, 24, v3
	s_delay_alu instid0(VALU_DEP_1)
	v_and_or_b32 v5, 0x80, v3, v4
.LBB135_3143:
	s_or_b32 exec_lo, exec_lo, s5
.LBB135_3144:
	s_delay_alu instid0(SALU_CYCLE_1)
	s_or_b32 exec_lo, exec_lo, s2
	global_store_b8 v[0:1], v5, off
.LBB135_3145:
	s_mov_b32 s2, 0
.LBB135_3146:
	s_delay_alu instid0(SALU_CYCLE_1)
	s_and_b32 vcc_lo, exec_lo, s2
	s_cbranch_vccz .LBB135_3186
; %bb.3147:
	v_cmp_gt_i16_e64 s2, s3, 22
	s_delay_alu instid0(VALU_DEP_1)
	s_and_b32 vcc_lo, exec_lo, s2
	s_mov_b32 s2, -1
	s_cbranch_vccz .LBB135_3179
; %bb.3148:
	v_cmp_lt_i16_e64 s2, s3, 24
	s_delay_alu instid0(VALU_DEP_1)
	s_and_b32 vcc_lo, exec_lo, s2
	s_mov_b32 s2, -1
	s_cbranch_vccnz .LBB135_3168
; %bb.3149:
	v_cmp_gt_i16_e64 s2, s3, 24
	s_delay_alu instid0(VALU_DEP_1)
	s_and_b32 vcc_lo, exec_lo, s2
	s_mov_b32 s2, -1
	s_cbranch_vccz .LBB135_3157
; %bb.3150:
	v_cvt_f32_f16_e32 v3, v2
	v_mov_b32_e32 v5, 0x80
	s_mov_b32 s2, exec_lo
	s_delay_alu instid0(VALU_DEP_2) | instskip(NEXT) | instid1(VALU_DEP_1)
	v_and_b32_e32 v4, 0x7fffffff, v3
	v_cmpx_gt_u32_e32 0x47800000, v4
	s_cbranch_execz .LBB135_3156
; %bb.3151:
	v_cmp_lt_u32_e32 vcc_lo, 0x37ffffff, v4
	s_mov_b32 s4, 0
                                        ; implicit-def: $vgpr4
	s_and_saveexec_b32 s5, vcc_lo
	s_delay_alu instid0(SALU_CYCLE_1)
	s_xor_b32 s5, exec_lo, s5
	s_cbranch_execz .LBB135_3194
; %bb.3152:
	v_bfe_u32 v4, v3, 21, 1
	s_mov_b32 s4, exec_lo
	s_delay_alu instid0(VALU_DEP_1) | instskip(NEXT) | instid1(VALU_DEP_1)
	v_add3_u32 v4, v3, v4, 0x88fffff
	v_lshrrev_b32_e32 v4, 21, v4
	s_or_saveexec_b32 s5, s5
                                        ; implicit-def: $sgpr6
	s_delay_alu instid0(SALU_CYCLE_1)
	s_xor_b32 exec_lo, exec_lo, s5
	s_cbranch_execnz .LBB135_3195
.LBB135_3153:
	s_or_b32 exec_lo, exec_lo, s5
	v_mov_b32_e32 v5, s6
	s_and_saveexec_b32 s5, s4
.LBB135_3154:
	v_lshrrev_b32_e32 v3, 24, v3
	s_delay_alu instid0(VALU_DEP_1)
	v_and_or_b32 v5, 0x80, v3, v4
.LBB135_3155:
	s_or_b32 exec_lo, exec_lo, s5
.LBB135_3156:
	s_delay_alu instid0(SALU_CYCLE_1)
	s_or_b32 exec_lo, exec_lo, s2
	s_mov_b32 s2, 0
	global_store_b8 v[0:1], v5, off
.LBB135_3157:
	s_and_b32 vcc_lo, exec_lo, s2
	s_cbranch_vccz .LBB135_3167
; %bb.3158:
	v_cvt_f32_f16_e32 v3, v2
	s_mov_b32 s2, exec_lo
                                        ; implicit-def: $vgpr4
	s_delay_alu instid0(VALU_DEP_1) | instskip(NEXT) | instid1(VALU_DEP_1)
	v_and_b32_e32 v5, 0x7fffffff, v3
	v_cmpx_gt_u32_e32 0x43f00000, v5
	s_xor_b32 s2, exec_lo, s2
	s_cbranch_execz .LBB135_3164
; %bb.3159:
	s_mov_b32 s4, exec_lo
                                        ; implicit-def: $vgpr4
	v_cmpx_lt_u32_e32 0x3c7fffff, v5
	s_xor_b32 s4, exec_lo, s4
; %bb.3160:
	v_bfe_u32 v4, v3, 20, 1
	s_delay_alu instid0(VALU_DEP_1) | instskip(NEXT) | instid1(VALU_DEP_1)
	v_add3_u32 v4, v3, v4, 0x407ffff
	v_and_b32_e32 v5, 0xff00000, v4
	v_lshrrev_b32_e32 v4, 20, v4
	s_delay_alu instid0(VALU_DEP_2) | instskip(NEXT) | instid1(VALU_DEP_2)
	v_cmp_ne_u32_e32 vcc_lo, 0x7f00000, v5
	v_cndmask_b32_e32 v4, 0x7e, v4, vcc_lo
; %bb.3161:
	s_and_not1_saveexec_b32 s4, s4
; %bb.3162:
	v_add_f32_e64 v4, 0x46800000, |v3|
; %bb.3163:
	s_or_b32 exec_lo, exec_lo, s4
                                        ; implicit-def: $vgpr5
.LBB135_3164:
	s_and_not1_saveexec_b32 s2, s2
; %bb.3165:
	v_mov_b32_e32 v4, 0x7f
	v_cmp_lt_u32_e32 vcc_lo, 0x7f800000, v5
	s_delay_alu instid0(VALU_DEP_2)
	v_cndmask_b32_e32 v4, 0x7e, v4, vcc_lo
; %bb.3166:
	s_or_b32 exec_lo, exec_lo, s2
	v_lshrrev_b32_e32 v3, 24, v3
	s_delay_alu instid0(VALU_DEP_1)
	v_and_or_b32 v3, 0x80, v3, v4
	global_store_b8 v[0:1], v3, off
.LBB135_3167:
	s_mov_b32 s2, 0
.LBB135_3168:
	s_delay_alu instid0(SALU_CYCLE_1)
	s_and_not1_b32 vcc_lo, exec_lo, s2
	s_cbranch_vccnz .LBB135_3178
; %bb.3169:
	v_cvt_f32_f16_e32 v3, v2
	s_mov_b32 s2, exec_lo
                                        ; implicit-def: $vgpr4
	s_delay_alu instid0(VALU_DEP_1) | instskip(NEXT) | instid1(VALU_DEP_1)
	v_and_b32_e32 v5, 0x7fffffff, v3
	v_cmpx_gt_u32_e32 0x47800000, v5
	s_xor_b32 s2, exec_lo, s2
	s_cbranch_execz .LBB135_3175
; %bb.3170:
	s_mov_b32 s4, exec_lo
                                        ; implicit-def: $vgpr4
	v_cmpx_lt_u32_e32 0x387fffff, v5
	s_xor_b32 s4, exec_lo, s4
; %bb.3171:
	v_bfe_u32 v4, v3, 21, 1
	s_delay_alu instid0(VALU_DEP_1) | instskip(NEXT) | instid1(VALU_DEP_1)
	v_add3_u32 v4, v3, v4, 0x80fffff
	v_lshrrev_b32_e32 v4, 21, v4
; %bb.3172:
	s_and_not1_saveexec_b32 s4, s4
; %bb.3173:
	v_add_f32_e64 v4, 0x43000000, |v3|
; %bb.3174:
	s_or_b32 exec_lo, exec_lo, s4
                                        ; implicit-def: $vgpr5
.LBB135_3175:
	s_and_not1_saveexec_b32 s2, s2
; %bb.3176:
	v_mov_b32_e32 v4, 0x7f
	v_cmp_lt_u32_e32 vcc_lo, 0x7f800000, v5
	s_delay_alu instid0(VALU_DEP_2)
	v_cndmask_b32_e32 v4, 0x7c, v4, vcc_lo
; %bb.3177:
	s_or_b32 exec_lo, exec_lo, s2
	v_lshrrev_b32_e32 v3, 24, v3
	s_delay_alu instid0(VALU_DEP_1)
	v_and_or_b32 v3, 0x80, v3, v4
	global_store_b8 v[0:1], v3, off
.LBB135_3178:
	s_mov_b32 s2, 0
.LBB135_3179:
	s_delay_alu instid0(SALU_CYCLE_1)
	s_and_not1_b32 vcc_lo, exec_lo, s2
	s_mov_b32 s6, 0
	s_cbranch_vccnz .LBB135_3186
; %bb.3180:
	v_cmp_gt_i16_e64 s2, s3, 14
	s_delay_alu instid0(VALU_DEP_1)
	s_and_b32 vcc_lo, exec_lo, s2
	s_mov_b32 s2, -1
	s_cbranch_vccz .LBB135_3184
; %bb.3181:
	v_cmp_eq_u16_e64 s0, s3, 15
	s_delay_alu instid0(VALU_DEP_1)
	s_and_b32 vcc_lo, exec_lo, s0
	s_mov_b32 s0, -1
	s_cbranch_vccz .LBB135_3183
; %bb.3182:
	v_cvt_f32_f16_e32 v3, v2
	v_cmp_o_f16_e32 vcc_lo, v2, v2
	s_mov_b32 s0, 0
	s_delay_alu instid0(VALU_DEP_2) | instskip(NEXT) | instid1(VALU_DEP_1)
	v_bfe_u32 v4, v3, 16, 1
	v_add3_u32 v3, v3, v4, 0x7fff
	s_delay_alu instid0(VALU_DEP_1) | instskip(NEXT) | instid1(VALU_DEP_1)
	v_lshrrev_b32_e32 v3, 16, v3
	v_cndmask_b32_e32 v3, 0x7fc0, v3, vcc_lo
	global_store_b16 v[0:1], v3, off
.LBB135_3183:
	s_mov_b32 s2, 0
.LBB135_3184:
	s_delay_alu instid0(SALU_CYCLE_1)
	s_and_b32 vcc_lo, exec_lo, s2
	s_cbranch_vccz .LBB135_3186
; %bb.3185:
	v_cmp_ne_u16_e64 s0, s3, 11
	s_mov_b32 s6, -1
.LBB135_3186:
	s_delay_alu instid0(VALU_DEP_1)
	s_and_b32 vcc_lo, exec_lo, s0
	s_cbranch_vccnz .LBB135_3192
.LBB135_3187:
	s_mov_b32 s0, 0
	s_branch .LBB135_3065
.LBB135_3188:
	s_or_saveexec_b32 s5, s5
                                        ; implicit-def: $sgpr7
	s_delay_alu instid0(SALU_CYCLE_1)
	s_xor_b32 exec_lo, exec_lo, s5
	s_cbranch_execz .LBB135_3141
.LBB135_3189:
	v_add_f32_e64 v4, 0x46000000, |v3|
	s_and_not1_b32 s4, s4, exec_lo
	s_mov_b32 s7, 0
	s_delay_alu instid0(VALU_DEP_1) | instskip(NEXT) | instid1(VALU_DEP_1)
	v_and_b32_e32 v4, 0xff, v4
	v_cmp_ne_u32_e32 vcc_lo, 0, v4
	s_and_b32 s10, vcc_lo, exec_lo
	s_delay_alu instid0(SALU_CYCLE_1)
	s_or_b32 s4, s4, s10
	s_or_b32 exec_lo, exec_lo, s5
	v_mov_b32_e32 v5, s7
	s_and_saveexec_b32 s5, s4
	s_cbranch_execnz .LBB135_3142
	s_branch .LBB135_3143
.LBB135_3190:
	s_trap 2
	s_sendmsg_rtn_b32 s0, sendmsg(MSG_RTN_GET_DOORBELL)
	s_mov_b32 ttmp2, m0
	s_waitcnt lgkmcnt(0)
	s_and_b32 s0, s0, 0x3ff
	s_delay_alu instid0(SALU_CYCLE_1) | instskip(NEXT) | instid1(SALU_CYCLE_1)
	s_bitset1_b32 s0, 10
	s_mov_b32 m0, s0
	s_sendmsg sendmsg(MSG_INTERRUPT)
	s_mov_b32 m0, ttmp2
.LBB135_3191:                           ; =>This Inner Loop Header: Depth=1
	s_sethalt 5
	s_branch .LBB135_3191
.LBB135_3192:
	s_cbranch_execnz .LBB135_3196
; %bb.3193:
	s_mov_b32 s6, 0
	s_or_b32 s1, s1, exec_lo
	s_branch .LBB135_3187
.LBB135_3194:
	s_or_saveexec_b32 s5, s5
                                        ; implicit-def: $sgpr6
	s_delay_alu instid0(SALU_CYCLE_1)
	s_xor_b32 exec_lo, exec_lo, s5
	s_cbranch_execz .LBB135_3153
.LBB135_3195:
	v_add_f32_e64 v4, 0x42800000, |v3|
	s_and_not1_b32 s4, s4, exec_lo
	s_mov_b32 s6, 0
	s_delay_alu instid0(VALU_DEP_1) | instskip(NEXT) | instid1(VALU_DEP_1)
	v_and_b32_e32 v4, 0xff, v4
	v_cmp_ne_u32_e32 vcc_lo, 0, v4
	s_and_b32 s7, vcc_lo, exec_lo
	s_delay_alu instid0(SALU_CYCLE_1)
	s_or_b32 s4, s4, s7
	s_or_b32 exec_lo, exec_lo, s5
	v_mov_b32_e32 v5, s6
	s_and_saveexec_b32 s5, s4
	s_cbranch_execnz .LBB135_3154
	s_branch .LBB135_3155
.LBB135_3196:
	s_trap 2
	s_sendmsg_rtn_b32 s0, sendmsg(MSG_RTN_GET_DOORBELL)
	s_mov_b32 ttmp2, m0
	s_waitcnt lgkmcnt(0)
	s_and_b32 s0, s0, 0x3ff
	s_delay_alu instid0(SALU_CYCLE_1) | instskip(NEXT) | instid1(SALU_CYCLE_1)
	s_bitset1_b32 s0, 10
	s_mov_b32 m0, s0
	s_sendmsg sendmsg(MSG_INTERRUPT)
	s_mov_b32 m0, ttmp2
.LBB135_3197:                           ; =>This Inner Loop Header: Depth=1
	s_sethalt 5
	s_branch .LBB135_3197
	.section	.rodata,"a",@progbits
	.p2align	6, 0x0
	.amdhsa_kernel _ZN2at6native32elementwise_kernel_manual_unrollILi128ELi4EZNS0_15gpu_kernel_implIZNS0_12_GLOBAL__N_119masked_scale_kernelIbN3c104HalfEfEEvRNS_6TensorERKS7_SA_T1_EUlS6_bE_EEvRNS_18TensorIteratorBaseERKT_EUlibE0_EEviSB_
		.amdhsa_group_segment_fixed_size 0
		.amdhsa_private_segment_fixed_size 0
		.amdhsa_kernarg_size 432
		.amdhsa_user_sgpr_count 15
		.amdhsa_user_sgpr_dispatch_ptr 0
		.amdhsa_user_sgpr_queue_ptr 0
		.amdhsa_user_sgpr_kernarg_segment_ptr 1
		.amdhsa_user_sgpr_dispatch_id 0
		.amdhsa_user_sgpr_private_segment_size 0
		.amdhsa_wavefront_size32 1
		.amdhsa_uses_dynamic_stack 0
		.amdhsa_enable_private_segment 0
		.amdhsa_system_sgpr_workgroup_id_x 1
		.amdhsa_system_sgpr_workgroup_id_y 0
		.amdhsa_system_sgpr_workgroup_id_z 0
		.amdhsa_system_sgpr_workgroup_info 0
		.amdhsa_system_vgpr_workitem_id 0
		.amdhsa_next_free_vgpr 20
		.amdhsa_next_free_sgpr 62
		.amdhsa_reserve_vcc 1
		.amdhsa_float_round_mode_32 0
		.amdhsa_float_round_mode_16_64 0
		.amdhsa_float_denorm_mode_32 3
		.amdhsa_float_denorm_mode_16_64 3
		.amdhsa_dx10_clamp 1
		.amdhsa_ieee_mode 1
		.amdhsa_fp16_overflow 0
		.amdhsa_workgroup_processor_mode 1
		.amdhsa_memory_ordered 1
		.amdhsa_forward_progress 0
		.amdhsa_shared_vgpr_count 0
		.amdhsa_exception_fp_ieee_invalid_op 0
		.amdhsa_exception_fp_denorm_src 0
		.amdhsa_exception_fp_ieee_div_zero 0
		.amdhsa_exception_fp_ieee_overflow 0
		.amdhsa_exception_fp_ieee_underflow 0
		.amdhsa_exception_fp_ieee_inexact 0
		.amdhsa_exception_int_div_zero 0
	.end_amdhsa_kernel
	.section	.text._ZN2at6native32elementwise_kernel_manual_unrollILi128ELi4EZNS0_15gpu_kernel_implIZNS0_12_GLOBAL__N_119masked_scale_kernelIbN3c104HalfEfEEvRNS_6TensorERKS7_SA_T1_EUlS6_bE_EEvRNS_18TensorIteratorBaseERKT_EUlibE0_EEviSB_,"axG",@progbits,_ZN2at6native32elementwise_kernel_manual_unrollILi128ELi4EZNS0_15gpu_kernel_implIZNS0_12_GLOBAL__N_119masked_scale_kernelIbN3c104HalfEfEEvRNS_6TensorERKS7_SA_T1_EUlS6_bE_EEvRNS_18TensorIteratorBaseERKT_EUlibE0_EEviSB_,comdat
.Lfunc_end135:
	.size	_ZN2at6native32elementwise_kernel_manual_unrollILi128ELi4EZNS0_15gpu_kernel_implIZNS0_12_GLOBAL__N_119masked_scale_kernelIbN3c104HalfEfEEvRNS_6TensorERKS7_SA_T1_EUlS6_bE_EEvRNS_18TensorIteratorBaseERKT_EUlibE0_EEviSB_, .Lfunc_end135-_ZN2at6native32elementwise_kernel_manual_unrollILi128ELi4EZNS0_15gpu_kernel_implIZNS0_12_GLOBAL__N_119masked_scale_kernelIbN3c104HalfEfEEvRNS_6TensorERKS7_SA_T1_EUlS6_bE_EEvRNS_18TensorIteratorBaseERKT_EUlibE0_EEviSB_
                                        ; -- End function
	.section	.AMDGPU.csdata,"",@progbits
; Kernel info:
; codeLenInByte = 59884
; NumSgprs: 64
; NumVgprs: 20
; ScratchSize: 0
; MemoryBound: 1
; FloatMode: 240
; IeeeMode: 1
; LDSByteSize: 0 bytes/workgroup (compile time only)
; SGPRBlocks: 7
; VGPRBlocks: 2
; NumSGPRsForWavesPerEU: 64
; NumVGPRsForWavesPerEU: 20
; Occupancy: 16
; WaveLimiterHint : 1
; COMPUTE_PGM_RSRC2:SCRATCH_EN: 0
; COMPUTE_PGM_RSRC2:USER_SGPR: 15
; COMPUTE_PGM_RSRC2:TRAP_HANDLER: 0
; COMPUTE_PGM_RSRC2:TGID_X_EN: 1
; COMPUTE_PGM_RSRC2:TGID_Y_EN: 0
; COMPUTE_PGM_RSRC2:TGID_Z_EN: 0
; COMPUTE_PGM_RSRC2:TIDIG_COMP_CNT: 0
	.section	.text._ZN2at6native29vectorized_elementwise_kernelILi16EZNS0_12_GLOBAL__N_119masked_scale_kernelIbN3c108BFloat16EfEEvRNS_6TensorERKS6_S9_T1_EUlS5_bE_St5arrayIPcLm3EEEEviT0_SA_,"axG",@progbits,_ZN2at6native29vectorized_elementwise_kernelILi16EZNS0_12_GLOBAL__N_119masked_scale_kernelIbN3c108BFloat16EfEEvRNS_6TensorERKS6_S9_T1_EUlS5_bE_St5arrayIPcLm3EEEEviT0_SA_,comdat
	.globl	_ZN2at6native29vectorized_elementwise_kernelILi16EZNS0_12_GLOBAL__N_119masked_scale_kernelIbN3c108BFloat16EfEEvRNS_6TensorERKS6_S9_T1_EUlS5_bE_St5arrayIPcLm3EEEEviT0_SA_ ; -- Begin function _ZN2at6native29vectorized_elementwise_kernelILi16EZNS0_12_GLOBAL__N_119masked_scale_kernelIbN3c108BFloat16EfEEvRNS_6TensorERKS6_S9_T1_EUlS5_bE_St5arrayIPcLm3EEEEviT0_SA_
	.p2align	8
	.type	_ZN2at6native29vectorized_elementwise_kernelILi16EZNS0_12_GLOBAL__N_119masked_scale_kernelIbN3c108BFloat16EfEEvRNS_6TensorERKS6_S9_T1_EUlS5_bE_St5arrayIPcLm3EEEEviT0_SA_,@function
_ZN2at6native29vectorized_elementwise_kernelILi16EZNS0_12_GLOBAL__N_119masked_scale_kernelIbN3c108BFloat16EfEEvRNS_6TensorERKS6_S9_T1_EUlS5_bE_St5arrayIPcLm3EEEEviT0_SA_: ; @_ZN2at6native29vectorized_elementwise_kernelILi16EZNS0_12_GLOBAL__N_119masked_scale_kernelIbN3c108BFloat16EfEEvRNS_6TensorERKS6_S9_T1_EUlS5_bE_St5arrayIPcLm3EEEEviT0_SA_
; %bb.0:
	s_clause 0x2
	s_load_b64 s[8:9], s[0:1], 0x0
	s_load_b128 s[4:7], s[0:1], 0x8
	s_load_b64 s[10:11], s[0:1], 0x18
	s_lshl_b32 s2, s15, 11
	s_mov_b32 s0, -1
	s_waitcnt lgkmcnt(0)
	s_sub_i32 s8, s8, s2
	s_delay_alu instid0(SALU_CYCLE_1)
	s_cmpk_gt_i32 s8, 0x7ff
	s_cbranch_scc0 .LBB136_2
; %bb.1:
	s_ashr_i32 s3, s2, 31
	v_lshlrev_b32_e32 v7, 4, v0
	s_lshl_b64 s[0:1], s[2:3], 1
	s_delay_alu instid0(SALU_CYCLE_1)
	s_add_u32 s12, s6, s0
	s_addc_u32 s13, s7, s1
	global_load_b128 v[1:4], v7, s[12:13]
	s_add_u32 s12, s10, s2
	s_addc_u32 s13, s11, s3
	s_waitcnt vmcnt(0)
	v_lshlrev_b32_e32 v11, 16, v4
	v_and_b32_e32 v10, 0xffff0000, v3
	v_and_b32_e32 v4, 0xffff0000, v4
	v_lshlrev_b32_e32 v5, 3, v0
	global_load_b64 v[5:6], v5, s[12:13]
	s_add_u32 s12, s4, s0
	s_addc_u32 s13, s5, s1
	s_mov_b32 s0, 0
	s_waitcnt vmcnt(0)
	v_cmp_lt_u32_e32 vcc_lo, 0xffffff, v5
	v_and_b32_e32 v12, 0xff0000, v5
	v_and_b32_e32 v14, 0xff00, v5
	;; [unrolled: 1-line block ×4, first 2 shown]
	v_cndmask_b32_e64 v5, 0, 1.0, vcc_lo
	v_cmp_lt_u32_e32 vcc_lo, 0xffffff, v6
	v_and_b32_e32 v16, 0xff00, v6
	v_and_b32_e32 v17, 0xff, v6
	v_cndmask_b32_e64 v6, 0, 1.0, vcc_lo
	v_cmp_ne_u32_e32 vcc_lo, 0, v14
	s_delay_alu instid0(VALU_DEP_2) | instskip(SKIP_2) | instid1(VALU_DEP_3)
	v_mul_f32_e32 v4, v4, v6
	v_cndmask_b32_e64 v14, 0, 1.0, vcc_lo
	v_cmp_ne_u32_e32 vcc_lo, 0, v15
	v_dual_mul_f32 v4, s9, v4 :: v_dual_lshlrev_b32 v9, 16, v2
	v_cndmask_b32_e64 v15, 0, 1.0, vcc_lo
	v_and_b32_e32 v8, 0xffff0000, v1
	v_lshlrev_b32_e32 v1, 16, v1
	v_cmp_ne_u32_e32 vcc_lo, 0, v12
	s_delay_alu instid0(VALU_DEP_2) | instskip(SKIP_2) | instid1(VALU_DEP_3)
	v_dual_mul_f32 v1, v1, v15 :: v_dual_mul_f32 v6, v8, v14
	v_cndmask_b32_e64 v12, 0, 1.0, vcc_lo
	v_lshlrev_b32_e32 v3, 16, v3
	v_mul_f32_e32 v1, s9, v1
	v_cmp_ne_u32_e32 vcc_lo, 0, v16
	s_delay_alu instid0(VALU_DEP_4) | instskip(SKIP_3) | instid1(VALU_DEP_4)
	v_mul_f32_e32 v8, v9, v12
	v_and_b32_e32 v2, 0xffff0000, v2
	v_mul_f32_e32 v6, s9, v6
	v_bfe_u32 v12, v1, 16, 1
	v_mul_f32_e32 v8, s9, v8
	s_delay_alu instid0(VALU_DEP_4)
	v_mul_f32_e32 v2, v2, v5
	v_cndmask_b32_e64 v5, 0, 1.0, vcc_lo
	v_cmp_ne_u32_e32 vcc_lo, 0, v17
	v_add3_u32 v12, v1, v12, 0x7fff
	v_bfe_u32 v14, v8, 16, 1
	v_mul_f32_e32 v2, s9, v2
	v_cndmask_b32_e64 v16, 0, 1.0, vcc_lo
	v_cmp_ne_u32_e32 vcc_lo, 0, v13
	s_delay_alu instid0(VALU_DEP_4) | instskip(SKIP_1) | instid1(VALU_DEP_4)
	v_add3_u32 v14, v8, v14, 0x7fff
	v_lshrrev_b32_e32 v12, 16, v12
	v_mul_f32_e32 v3, v3, v16
	v_cndmask_b32_e64 v13, 0, 1.0, vcc_lo
	v_cmp_o_f32_e32 vcc_lo, v2, v2
	v_lshrrev_b32_e32 v14, 16, v14
	s_delay_alu instid0(VALU_DEP_4) | instskip(NEXT) | instid1(VALU_DEP_4)
	v_mul_f32_e32 v3, s9, v3
	v_mul_f32_e32 v9, v11, v13
	;; [unrolled: 1-line block ×3, first 2 shown]
	v_bfe_u32 v10, v2, 16, 1
	v_bfe_u32 v11, v4, 16, 1
	;; [unrolled: 1-line block ×3, first 2 shown]
	v_mul_f32_e32 v9, s9, v9
	v_mul_f32_e32 v5, s9, v5
	v_add3_u32 v10, v2, v10, 0x7fff
	v_add3_u32 v11, v4, v11, 0x7fff
	;; [unrolled: 1-line block ×3, first 2 shown]
	v_bfe_u32 v17, v9, 16, 1
	v_bfe_u32 v16, v5, 16, 1
	v_lshrrev_b32_e32 v10, 16, v10
	v_lshrrev_b32_e32 v11, 16, v11
	v_bfe_u32 v13, v6, 16, 1
	v_add3_u32 v17, v9, v17, 0x7fff
	v_add3_u32 v16, v5, v16, 0x7fff
	v_cndmask_b32_e32 v2, 0x7fc0, v10, vcc_lo
	v_cmp_o_f32_e32 vcc_lo, v4, v4
	v_lshrrev_b32_e32 v10, 16, v15
	v_add3_u32 v13, v6, v13, 0x7fff
	v_lshrrev_b32_e32 v15, 16, v16
	v_lshrrev_b32_e32 v16, 16, v17
	v_cndmask_b32_e32 v4, 0x7fc0, v11, vcc_lo
	v_cmp_o_f32_e32 vcc_lo, v1, v1
	v_lshrrev_b32_e32 v13, 16, v13
	v_cndmask_b32_e32 v1, 0x7fc0, v12, vcc_lo
	v_cmp_o_f32_e32 vcc_lo, v8, v8
	v_cndmask_b32_e32 v8, 0x7fc0, v14, vcc_lo
	v_cmp_o_f32_e32 vcc_lo, v3, v3
	s_delay_alu instid0(VALU_DEP_2) | instskip(SKIP_4) | instid1(VALU_DEP_2)
	v_perm_b32 v2, v2, v8, 0x5040100
	v_cndmask_b32_e32 v3, 0x7fc0, v10, vcc_lo
	v_cmp_o_f32_e32 vcc_lo, v9, v9
	v_cndmask_b32_e32 v9, 0x7fc0, v16, vcc_lo
	v_cmp_o_f32_e32 vcc_lo, v5, v5
	v_perm_b32 v4, v4, v9, 0x5040100
	v_cndmask_b32_e32 v5, 0x7fc0, v15, vcc_lo
	v_cmp_o_f32_e32 vcc_lo, v6, v6
	s_delay_alu instid0(VALU_DEP_2) | instskip(SKIP_1) | instid1(VALU_DEP_1)
	v_perm_b32 v3, v5, v3, 0x5040100
	v_cndmask_b32_e32 v6, 0x7fc0, v13, vcc_lo
	v_perm_b32 v1, v6, v1, 0x5040100
	global_store_b128 v7, v[1:4], s[12:13]
.LBB136_2:
	s_and_not1_b32 vcc_lo, exec_lo, s0
	s_cbranch_vccnz .LBB136_41
; %bb.3:
	v_cmp_gt_i32_e32 vcc_lo, s8, v0
	v_mov_b32_e32 v4, 0
	v_or_b32_e32 v1, s2, v0
	v_or_b32_e32 v3, 0x100, v0
	v_mov_b32_e32 v2, 0
	v_mov_b32_e32 v6, v0
	s_mov_b32 s1, 0
	s_mov_b32 s3, 0
	s_and_saveexec_b32 s12, vcc_lo
	s_cbranch_execz .LBB136_5
; %bb.4:
	v_mov_b32_e32 v2, 0
	global_load_u8 v7, v1, s[10:11]
	v_lshlrev_b64 v[5:6], 1, v[1:2]
	s_delay_alu instid0(VALU_DEP_1) | instskip(NEXT) | instid1(VALU_DEP_1)
	v_add_co_u32 v5, s0, s6, v5
	v_add_co_ci_u32_e64 v6, s0, s7, v6, s0
	global_load_u16 v2, v[5:6], off
	v_or_b32_e32 v6, 0x100, v0
	s_waitcnt vmcnt(1)
	v_cmp_ne_u16_e64 s0, 0, v7
	s_delay_alu instid0(VALU_DEP_1)
	s_and_b32 s3, s0, exec_lo
.LBB136_5:
	s_or_b32 exec_lo, exec_lo, s12
	s_delay_alu instid0(SALU_CYCLE_1)
	s_mov_b32 s12, exec_lo
	v_cmpx_gt_i32_e64 s8, v6
	s_cbranch_execz .LBB136_7
; %bb.6:
	v_dual_mov_b32 v5, 0 :: v_dual_add_nc_u32 v4, s2, v6
	v_add_nc_u32_e32 v6, 0x100, v6
	global_load_u8 v9, v4, s[10:11]
	v_lshlrev_b64 v[7:8], 1, v[4:5]
	s_delay_alu instid0(VALU_DEP_1) | instskip(NEXT) | instid1(VALU_DEP_1)
	v_add_co_u32 v4, s0, s6, v7
	v_add_co_ci_u32_e64 v5, s0, s7, v8, s0
	global_load_u16 v4, v[4:5], off
	s_waitcnt vmcnt(1)
	v_cmp_ne_u16_e64 s0, 0, v9
	s_delay_alu instid0(VALU_DEP_1)
	s_and_b32 s1, s0, exec_lo
.LBB136_7:
	s_or_b32 exec_lo, exec_lo, s12
	v_mov_b32_e32 v5, 0
	v_mov_b32_e32 v7, 0
	s_mov_b32 s12, 0
	s_mov_b32 s13, 0
	s_mov_b32 s14, exec_lo
	v_cmpx_gt_i32_e64 s8, v6
	s_cbranch_execz .LBB136_9
; %bb.8:
	v_dual_mov_b32 v8, 0 :: v_dual_add_nc_u32 v7, s2, v6
	v_add_nc_u32_e32 v6, 0x100, v6
	global_load_u8 v10, v7, s[10:11]
	v_lshlrev_b64 v[8:9], 1, v[7:8]
	s_delay_alu instid0(VALU_DEP_1) | instskip(NEXT) | instid1(VALU_DEP_1)
	v_add_co_u32 v7, s0, s6, v8
	v_add_co_ci_u32_e64 v8, s0, s7, v9, s0
	global_load_u16 v7, v[7:8], off
	s_waitcnt vmcnt(1)
	v_cmp_ne_u16_e64 s0, 0, v10
	s_delay_alu instid0(VALU_DEP_1)
	s_and_b32 s13, s0, exec_lo
.LBB136_9:
	s_or_b32 exec_lo, exec_lo, s14
	s_delay_alu instid0(SALU_CYCLE_1)
	s_mov_b32 s14, exec_lo
	v_cmpx_gt_i32_e64 s8, v6
	s_cbranch_execz .LBB136_11
; %bb.10:
	v_dual_mov_b32 v9, 0 :: v_dual_add_nc_u32 v8, s2, v6
	v_add_nc_u32_e32 v6, 0x100, v6
	global_load_u8 v11, v8, s[10:11]
	v_lshlrev_b64 v[9:10], 1, v[8:9]
	s_delay_alu instid0(VALU_DEP_1) | instskip(NEXT) | instid1(VALU_DEP_1)
	v_add_co_u32 v8, s0, s6, v9
	v_add_co_ci_u32_e64 v9, s0, s7, v10, s0
	global_load_u16 v5, v[8:9], off
	s_waitcnt vmcnt(1)
	v_cmp_ne_u16_e64 s0, 0, v11
	s_delay_alu instid0(VALU_DEP_1)
	s_and_b32 s12, s0, exec_lo
.LBB136_11:
	s_or_b32 exec_lo, exec_lo, s14
	v_dual_mov_b32 v8, 0 :: v_dual_mov_b32 v9, 0
	s_mov_b32 s14, 0
	s_mov_b32 s15, 0
	s_mov_b32 s16, exec_lo
	v_cmpx_gt_i32_e64 s8, v6
	s_cbranch_execz .LBB136_13
; %bb.12:
	v_dual_mov_b32 v10, 0 :: v_dual_add_nc_u32 v9, s2, v6
	v_add_nc_u32_e32 v6, 0x100, v6
	global_load_u8 v12, v9, s[10:11]
	v_lshlrev_b64 v[10:11], 1, v[9:10]
	s_delay_alu instid0(VALU_DEP_1) | instskip(NEXT) | instid1(VALU_DEP_1)
	v_add_co_u32 v9, s0, s6, v10
	v_add_co_ci_u32_e64 v10, s0, s7, v11, s0
	global_load_u16 v9, v[9:10], off
	s_waitcnt vmcnt(1)
	v_cmp_ne_u16_e64 s0, 0, v12
	s_delay_alu instid0(VALU_DEP_1)
	s_and_b32 s15, s0, exec_lo
.LBB136_13:
	s_or_b32 exec_lo, exec_lo, s16
	s_delay_alu instid0(SALU_CYCLE_1)
	s_mov_b32 s16, exec_lo
	v_cmpx_gt_i32_e64 s8, v6
	s_cbranch_execz .LBB136_15
; %bb.14:
	v_dual_mov_b32 v11, 0 :: v_dual_add_nc_u32 v10, s2, v6
	v_add_nc_u32_e32 v6, 0x100, v6
	global_load_u8 v13, v10, s[10:11]
	v_lshlrev_b64 v[11:12], 1, v[10:11]
	s_delay_alu instid0(VALU_DEP_1) | instskip(NEXT) | instid1(VALU_DEP_1)
	v_add_co_u32 v10, s0, s6, v11
	v_add_co_ci_u32_e64 v11, s0, s7, v12, s0
	global_load_u16 v8, v[10:11], off
	s_waitcnt vmcnt(1)
	v_cmp_ne_u16_e64 s0, 0, v13
	s_delay_alu instid0(VALU_DEP_1)
	s_and_b32 s14, s0, exec_lo
.LBB136_15:
	s_or_b32 exec_lo, exec_lo, s16
	v_dual_mov_b32 v10, 0 :: v_dual_mov_b32 v11, 0
	s_mov_b32 s16, 0
	s_mov_b32 s17, 0
	s_mov_b32 s18, exec_lo
	v_cmpx_gt_i32_e64 s8, v6
	s_cbranch_execz .LBB136_42
; %bb.16:
	v_dual_mov_b32 v12, 0 :: v_dual_add_nc_u32 v11, s2, v6
	v_add_nc_u32_e32 v6, 0x100, v6
	global_load_u8 v14, v11, s[10:11]
	v_lshlrev_b64 v[12:13], 1, v[11:12]
	s_delay_alu instid0(VALU_DEP_1) | instskip(NEXT) | instid1(VALU_DEP_1)
	v_add_co_u32 v11, s0, s6, v12
	v_add_co_ci_u32_e64 v12, s0, s7, v13, s0
	global_load_u16 v11, v[11:12], off
	s_waitcnt vmcnt(1)
	v_cmp_ne_u16_e64 s0, 0, v14
	s_delay_alu instid0(VALU_DEP_1) | instskip(SKIP_1) | instid1(SALU_CYCLE_1)
	s_and_b32 s17, s0, exec_lo
	s_or_b32 exec_lo, exec_lo, s18
	s_mov_b32 s18, exec_lo
	v_cmpx_gt_i32_e64 s8, v6
	s_cbranch_execnz .LBB136_43
.LBB136_17:
	s_or_b32 exec_lo, exec_lo, s18
                                        ; implicit-def: $vgpr15
	s_and_saveexec_b32 s6, vcc_lo
	s_cbranch_execz .LBB136_19
.LBB136_18:
	v_cndmask_b32_e64 v6, 0, 1.0, s3
	s_waitcnt vmcnt(0)
	v_lshlrev_b32_e32 v2, 16, v2
	s_delay_alu instid0(VALU_DEP_1) | instskip(NEXT) | instid1(VALU_DEP_1)
	v_mul_f32_e32 v2, v6, v2
	v_mul_f32_e32 v2, s9, v2
	s_delay_alu instid0(VALU_DEP_1) | instskip(SKIP_1) | instid1(VALU_DEP_2)
	v_bfe_u32 v6, v2, 16, 1
	v_cmp_o_f32_e64 s0, v2, v2
	v_add3_u32 v6, v2, v6, 0x7fff
	s_delay_alu instid0(VALU_DEP_1) | instskip(NEXT) | instid1(VALU_DEP_1)
	v_lshrrev_b32_e32 v6, 16, v6
	v_cndmask_b32_e64 v15, 0x7fc0, v6, s0
.LBB136_19:
	s_or_b32 exec_lo, exec_lo, s6
	s_delay_alu instid0(SALU_CYCLE_1)
	s_mov_b32 s3, exec_lo
                                        ; implicit-def: $vgpr14
	v_cmpx_gt_i32_e64 s8, v3
	s_cbranch_execz .LBB136_21
; %bb.20:
	s_waitcnt vmcnt(0)
	v_cndmask_b32_e64 v2, 0, 1.0, s1
	v_lshlrev_b32_e32 v4, 16, v4
	s_delay_alu instid0(VALU_DEP_1) | instskip(NEXT) | instid1(VALU_DEP_1)
	v_mul_f32_e32 v2, v2, v4
	v_mul_f32_e32 v2, s9, v2
	s_delay_alu instid0(VALU_DEP_1) | instskip(SKIP_1) | instid1(VALU_DEP_2)
	v_bfe_u32 v4, v2, 16, 1
	v_cmp_o_f32_e64 s0, v2, v2
	v_add3_u32 v4, v2, v4, 0x7fff
	s_delay_alu instid0(VALU_DEP_1) | instskip(NEXT) | instid1(VALU_DEP_1)
	v_lshrrev_b32_e32 v4, 16, v4
	v_cndmask_b32_e64 v14, 0x7fc0, v4, s0
.LBB136_21:
	s_or_b32 exec_lo, exec_lo, s3
	s_waitcnt vmcnt(0)
	v_or_b32_e32 v2, 0x200, v0
	s_mov_b32 s1, exec_lo
                                        ; implicit-def: $vgpr13
	s_delay_alu instid0(VALU_DEP_1)
	v_cmpx_gt_i32_e64 s8, v2
; %bb.22:
	v_cndmask_b32_e64 v2, 0, 1.0, s13
	v_lshlrev_b32_e32 v4, 16, v7
	s_delay_alu instid0(VALU_DEP_1) | instskip(NEXT) | instid1(VALU_DEP_1)
	v_mul_f32_e32 v2, v2, v4
	v_mul_f32_e32 v2, s9, v2
	s_delay_alu instid0(VALU_DEP_1) | instskip(SKIP_1) | instid1(VALU_DEP_2)
	v_bfe_u32 v4, v2, 16, 1
	v_cmp_o_f32_e64 s0, v2, v2
	v_add3_u32 v4, v2, v4, 0x7fff
	s_delay_alu instid0(VALU_DEP_1) | instskip(NEXT) | instid1(VALU_DEP_1)
	v_lshrrev_b32_e32 v4, 16, v4
	v_cndmask_b32_e64 v13, 0x7fc0, v4, s0
; %bb.23:
	s_or_b32 exec_lo, exec_lo, s1
	v_or_b32_e32 v2, 0x300, v0
	s_mov_b32 s1, exec_lo
                                        ; implicit-def: $vgpr12
	s_delay_alu instid0(VALU_DEP_1)
	v_cmpx_gt_i32_e64 s8, v2
; %bb.24:
	v_cndmask_b32_e64 v2, 0, 1.0, s12
	v_lshlrev_b32_e32 v4, 16, v5
	s_delay_alu instid0(VALU_DEP_1) | instskip(NEXT) | instid1(VALU_DEP_1)
	v_mul_f32_e32 v2, v2, v4
	v_mul_f32_e32 v2, s9, v2
	s_delay_alu instid0(VALU_DEP_1) | instskip(SKIP_1) | instid1(VALU_DEP_2)
	v_bfe_u32 v4, v2, 16, 1
	v_cmp_o_f32_e64 s0, v2, v2
	v_add3_u32 v4, v2, v4, 0x7fff
	s_delay_alu instid0(VALU_DEP_1) | instskip(NEXT) | instid1(VALU_DEP_1)
	v_lshrrev_b32_e32 v4, 16, v4
	v_cndmask_b32_e64 v12, 0x7fc0, v4, s0
; %bb.25:
	s_or_b32 exec_lo, exec_lo, s1
	v_or_b32_e32 v2, 0x400, v0
	s_mov_b32 s1, exec_lo
                                        ; implicit-def: $vgpr7
	s_delay_alu instid0(VALU_DEP_1)
	v_cmpx_gt_i32_e64 s8, v2
; %bb.26:
	v_cndmask_b32_e64 v2, 0, 1.0, s15
	v_lshlrev_b32_e32 v4, 16, v9
	s_delay_alu instid0(VALU_DEP_1) | instskip(NEXT) | instid1(VALU_DEP_1)
	v_mul_f32_e32 v2, v2, v4
	v_mul_f32_e32 v2, s9, v2
	s_delay_alu instid0(VALU_DEP_1) | instskip(SKIP_1) | instid1(VALU_DEP_2)
	v_bfe_u32 v4, v2, 16, 1
	v_cmp_o_f32_e64 s0, v2, v2
	v_add3_u32 v4, v2, v4, 0x7fff
	s_delay_alu instid0(VALU_DEP_1) | instskip(NEXT) | instid1(VALU_DEP_1)
	v_lshrrev_b32_e32 v4, 16, v4
	v_cndmask_b32_e64 v7, 0x7fc0, v4, s0
; %bb.27:
	s_or_b32 exec_lo, exec_lo, s1
	v_or_b32_e32 v2, 0x500, v0
	s_mov_b32 s1, exec_lo
                                        ; implicit-def: $vgpr5
	s_delay_alu instid0(VALU_DEP_1)
	v_cmpx_gt_i32_e64 s8, v2
; %bb.28:
	v_cndmask_b32_e64 v2, 0, 1.0, s14
	v_lshlrev_b32_e32 v4, 16, v8
	s_delay_alu instid0(VALU_DEP_1) | instskip(NEXT) | instid1(VALU_DEP_1)
	v_mul_f32_e32 v2, v2, v4
	v_mul_f32_e32 v2, s9, v2
	s_delay_alu instid0(VALU_DEP_1) | instskip(SKIP_1) | instid1(VALU_DEP_2)
	v_bfe_u32 v4, v2, 16, 1
	v_cmp_o_f32_e64 s0, v2, v2
	v_add3_u32 v4, v2, v4, 0x7fff
	s_delay_alu instid0(VALU_DEP_1) | instskip(NEXT) | instid1(VALU_DEP_1)
	v_lshrrev_b32_e32 v4, 16, v4
	v_cndmask_b32_e64 v5, 0x7fc0, v4, s0
; %bb.29:
	s_or_b32 exec_lo, exec_lo, s1
	v_or_b32_e32 v2, 0x600, v0
	s_mov_b32 s1, exec_lo
                                        ; implicit-def: $vgpr4
	s_delay_alu instid0(VALU_DEP_1)
	v_cmpx_gt_i32_e64 s8, v2
; %bb.30:
	v_cndmask_b32_e64 v2, 0, 1.0, s17
	v_lshlrev_b32_e32 v4, 16, v11
	s_delay_alu instid0(VALU_DEP_1) | instskip(NEXT) | instid1(VALU_DEP_1)
	v_mul_f32_e32 v2, v2, v4
	v_mul_f32_e32 v2, s9, v2
	s_delay_alu instid0(VALU_DEP_1) | instskip(SKIP_1) | instid1(VALU_DEP_2)
	v_bfe_u32 v4, v2, 16, 1
	v_cmp_o_f32_e64 s0, v2, v2
	v_add3_u32 v4, v2, v4, 0x7fff
	s_delay_alu instid0(VALU_DEP_1) | instskip(NEXT) | instid1(VALU_DEP_1)
	v_lshrrev_b32_e32 v4, 16, v4
	v_cndmask_b32_e64 v4, 0x7fc0, v4, s0
; %bb.31:
	s_or_b32 exec_lo, exec_lo, s1
	v_or_b32_e32 v2, 0x700, v0
	s_mov_b32 s1, exec_lo
                                        ; implicit-def: $vgpr6
	s_delay_alu instid0(VALU_DEP_1)
	v_cmpx_gt_i32_e64 s8, v2
	s_cbranch_execz .LBB136_44
; %bb.32:
	v_cndmask_b32_e64 v2, 0, 1.0, s16
	v_lshlrev_b32_e32 v6, 16, v10
	s_delay_alu instid0(VALU_DEP_1) | instskip(NEXT) | instid1(VALU_DEP_1)
	v_mul_f32_e32 v2, v2, v6
	v_mul_f32_e32 v2, s9, v2
	s_delay_alu instid0(VALU_DEP_1) | instskip(SKIP_1) | instid1(VALU_DEP_2)
	v_bfe_u32 v6, v2, 16, 1
	v_cmp_o_f32_e64 s0, v2, v2
	v_add3_u32 v6, v2, v6, 0x7fff
	s_delay_alu instid0(VALU_DEP_1) | instskip(NEXT) | instid1(VALU_DEP_1)
	v_lshrrev_b32_e32 v6, 16, v6
	v_cndmask_b32_e64 v6, 0x7fc0, v6, s0
	s_or_b32 exec_lo, exec_lo, s1
	s_and_saveexec_b32 s0, vcc_lo
	s_delay_alu instid0(SALU_CYCLE_1)
	s_xor_b32 s0, exec_lo, s0
	s_cbranch_execnz .LBB136_45
.LBB136_33:
	s_or_b32 exec_lo, exec_lo, s0
	s_delay_alu instid0(SALU_CYCLE_1)
	s_mov_b32 s0, exec_lo
	v_cmpx_gt_i32_e64 s8, v0
	s_cbranch_execz .LBB136_46
.LBB136_34:
	v_dual_mov_b32 v2, 0 :: v_dual_add_nc_u32 v1, s2, v0
	v_add_nc_u32_e32 v0, 0x100, v0
	s_delay_alu instid0(VALU_DEP_2) | instskip(NEXT) | instid1(VALU_DEP_1)
	v_lshlrev_b64 v[1:2], 1, v[1:2]
	v_add_co_u32 v1, vcc_lo, s4, v1
	s_delay_alu instid0(VALU_DEP_2) | instskip(SKIP_2) | instid1(SALU_CYCLE_1)
	v_add_co_ci_u32_e32 v2, vcc_lo, s5, v2, vcc_lo
	global_store_b16 v[1:2], v14, off
	s_or_b32 exec_lo, exec_lo, s0
	s_mov_b32 s0, exec_lo
	v_cmpx_gt_i32_e64 s8, v0
	s_cbranch_execnz .LBB136_47
.LBB136_35:
	s_or_b32 exec_lo, exec_lo, s0
	s_delay_alu instid0(SALU_CYCLE_1)
	s_mov_b32 s0, exec_lo
	v_cmpx_gt_i32_e64 s8, v0
	s_cbranch_execz .LBB136_48
.LBB136_36:
	v_dual_mov_b32 v2, 0 :: v_dual_add_nc_u32 v1, s2, v0
	v_add_nc_u32_e32 v0, 0x100, v0
	s_delay_alu instid0(VALU_DEP_2) | instskip(NEXT) | instid1(VALU_DEP_1)
	v_lshlrev_b64 v[1:2], 1, v[1:2]
	v_add_co_u32 v1, vcc_lo, s4, v1
	s_delay_alu instid0(VALU_DEP_2) | instskip(SKIP_2) | instid1(SALU_CYCLE_1)
	v_add_co_ci_u32_e32 v2, vcc_lo, s5, v2, vcc_lo
	global_store_b16 v[1:2], v12, off
	s_or_b32 exec_lo, exec_lo, s0
	s_mov_b32 s0, exec_lo
	v_cmpx_gt_i32_e64 s8, v0
	s_cbranch_execnz .LBB136_49
.LBB136_37:
	s_or_b32 exec_lo, exec_lo, s0
	s_delay_alu instid0(SALU_CYCLE_1)
	s_mov_b32 s0, exec_lo
	v_cmpx_gt_i32_e64 s8, v0
	s_cbranch_execz .LBB136_50
.LBB136_38:
	v_dual_mov_b32 v2, 0 :: v_dual_add_nc_u32 v1, s2, v0
	v_add_nc_u32_e32 v0, 0x100, v0
	s_delay_alu instid0(VALU_DEP_2) | instskip(NEXT) | instid1(VALU_DEP_1)
	v_lshlrev_b64 v[1:2], 1, v[1:2]
	v_add_co_u32 v1, vcc_lo, s4, v1
	s_delay_alu instid0(VALU_DEP_2) | instskip(SKIP_2) | instid1(SALU_CYCLE_1)
	v_add_co_ci_u32_e32 v2, vcc_lo, s5, v2, vcc_lo
	global_store_b16 v[1:2], v5, off
	s_or_b32 exec_lo, exec_lo, s0
	s_mov_b32 s0, exec_lo
	v_cmpx_gt_i32_e64 s8, v0
	s_cbranch_execnz .LBB136_51
.LBB136_39:
	s_or_b32 exec_lo, exec_lo, s0
	s_delay_alu instid0(SALU_CYCLE_1)
	s_mov_b32 s0, exec_lo
	v_cmpx_gt_i32_e64 s8, v0
	s_cbranch_execz .LBB136_41
.LBB136_40:
	v_dual_mov_b32 v1, 0 :: v_dual_add_nc_u32 v0, s2, v0
	s_delay_alu instid0(VALU_DEP_1) | instskip(NEXT) | instid1(VALU_DEP_1)
	v_lshlrev_b64 v[0:1], 1, v[0:1]
	v_add_co_u32 v0, vcc_lo, s4, v0
	s_delay_alu instid0(VALU_DEP_2)
	v_add_co_ci_u32_e32 v1, vcc_lo, s5, v1, vcc_lo
	global_store_b16 v[0:1], v6, off
.LBB136_41:
	s_nop 0
	s_sendmsg sendmsg(MSG_DEALLOC_VGPRS)
	s_endpgm
.LBB136_42:
	s_or_b32 exec_lo, exec_lo, s18
	s_delay_alu instid0(SALU_CYCLE_1)
	s_mov_b32 s18, exec_lo
	v_cmpx_gt_i32_e64 s8, v6
	s_cbranch_execz .LBB136_17
.LBB136_43:
	v_dual_mov_b32 v13, 0 :: v_dual_add_nc_u32 v12, s2, v6
	global_load_u8 v6, v12, s[10:11]
	v_lshlrev_b64 v[13:14], 1, v[12:13]
	s_delay_alu instid0(VALU_DEP_1) | instskip(NEXT) | instid1(VALU_DEP_1)
	v_add_co_u32 v12, s0, s6, v13
	v_add_co_ci_u32_e64 v13, s0, s7, v14, s0
	global_load_u16 v10, v[12:13], off
	s_waitcnt vmcnt(1)
	v_cmp_ne_u16_e64 s0, 0, v6
	s_delay_alu instid0(VALU_DEP_1)
	s_and_b32 s16, s0, exec_lo
	s_or_b32 exec_lo, exec_lo, s18
                                        ; implicit-def: $vgpr15
	s_and_saveexec_b32 s6, vcc_lo
	s_cbranch_execz .LBB136_19
	s_branch .LBB136_18
.LBB136_44:
	s_or_b32 exec_lo, exec_lo, s1
	s_and_saveexec_b32 s0, vcc_lo
	s_delay_alu instid0(SALU_CYCLE_1)
	s_xor_b32 s0, exec_lo, s0
	s_cbranch_execz .LBB136_33
.LBB136_45:
	v_mov_b32_e32 v2, 0
	s_delay_alu instid0(VALU_DEP_1) | instskip(NEXT) | instid1(VALU_DEP_1)
	v_lshlrev_b64 v[0:1], 1, v[1:2]
	v_add_co_u32 v8, vcc_lo, s4, v0
	s_delay_alu instid0(VALU_DEP_2) | instskip(SKIP_3) | instid1(SALU_CYCLE_1)
	v_add_co_ci_u32_e32 v9, vcc_lo, s5, v1, vcc_lo
	v_mov_b32_e32 v0, v3
	global_store_b16 v[8:9], v15, off
	s_or_b32 exec_lo, exec_lo, s0
	s_mov_b32 s0, exec_lo
	v_cmpx_gt_i32_e64 s8, v0
	s_cbranch_execnz .LBB136_34
.LBB136_46:
	s_or_b32 exec_lo, exec_lo, s0
	s_delay_alu instid0(SALU_CYCLE_1)
	s_mov_b32 s0, exec_lo
	v_cmpx_gt_i32_e64 s8, v0
	s_cbranch_execz .LBB136_35
.LBB136_47:
	v_dual_mov_b32 v2, 0 :: v_dual_add_nc_u32 v1, s2, v0
	v_add_nc_u32_e32 v0, 0x100, v0
	s_delay_alu instid0(VALU_DEP_2) | instskip(NEXT) | instid1(VALU_DEP_1)
	v_lshlrev_b64 v[1:2], 1, v[1:2]
	v_add_co_u32 v1, vcc_lo, s4, v1
	s_delay_alu instid0(VALU_DEP_2) | instskip(SKIP_2) | instid1(SALU_CYCLE_1)
	v_add_co_ci_u32_e32 v2, vcc_lo, s5, v2, vcc_lo
	global_store_b16 v[1:2], v13, off
	s_or_b32 exec_lo, exec_lo, s0
	s_mov_b32 s0, exec_lo
	v_cmpx_gt_i32_e64 s8, v0
	s_cbranch_execnz .LBB136_36
.LBB136_48:
	s_or_b32 exec_lo, exec_lo, s0
	s_delay_alu instid0(SALU_CYCLE_1)
	s_mov_b32 s0, exec_lo
	v_cmpx_gt_i32_e64 s8, v0
	s_cbranch_execz .LBB136_37
.LBB136_49:
	v_dual_mov_b32 v2, 0 :: v_dual_add_nc_u32 v1, s2, v0
	v_add_nc_u32_e32 v0, 0x100, v0
	s_delay_alu instid0(VALU_DEP_2) | instskip(NEXT) | instid1(VALU_DEP_1)
	v_lshlrev_b64 v[1:2], 1, v[1:2]
	v_add_co_u32 v1, vcc_lo, s4, v1
	s_delay_alu instid0(VALU_DEP_2) | instskip(SKIP_2) | instid1(SALU_CYCLE_1)
	v_add_co_ci_u32_e32 v2, vcc_lo, s5, v2, vcc_lo
	global_store_b16 v[1:2], v7, off
	s_or_b32 exec_lo, exec_lo, s0
	s_mov_b32 s0, exec_lo
	v_cmpx_gt_i32_e64 s8, v0
	s_cbranch_execnz .LBB136_38
.LBB136_50:
	s_or_b32 exec_lo, exec_lo, s0
	s_delay_alu instid0(SALU_CYCLE_1)
	s_mov_b32 s0, exec_lo
	v_cmpx_gt_i32_e64 s8, v0
	s_cbranch_execz .LBB136_39
.LBB136_51:
	v_dual_mov_b32 v2, 0 :: v_dual_add_nc_u32 v1, s2, v0
	v_add_nc_u32_e32 v0, 0x100, v0
	s_delay_alu instid0(VALU_DEP_2) | instskip(NEXT) | instid1(VALU_DEP_1)
	v_lshlrev_b64 v[1:2], 1, v[1:2]
	v_add_co_u32 v1, vcc_lo, s4, v1
	s_delay_alu instid0(VALU_DEP_2) | instskip(SKIP_2) | instid1(SALU_CYCLE_1)
	v_add_co_ci_u32_e32 v2, vcc_lo, s5, v2, vcc_lo
	global_store_b16 v[1:2], v4, off
	s_or_b32 exec_lo, exec_lo, s0
	s_mov_b32 s0, exec_lo
	v_cmpx_gt_i32_e64 s8, v0
	s_cbranch_execnz .LBB136_40
	s_branch .LBB136_41
	.section	.rodata,"a",@progbits
	.p2align	6, 0x0
	.amdhsa_kernel _ZN2at6native29vectorized_elementwise_kernelILi16EZNS0_12_GLOBAL__N_119masked_scale_kernelIbN3c108BFloat16EfEEvRNS_6TensorERKS6_S9_T1_EUlS5_bE_St5arrayIPcLm3EEEEviT0_SA_
		.amdhsa_group_segment_fixed_size 0
		.amdhsa_private_segment_fixed_size 0
		.amdhsa_kernarg_size 32
		.amdhsa_user_sgpr_count 15
		.amdhsa_user_sgpr_dispatch_ptr 0
		.amdhsa_user_sgpr_queue_ptr 0
		.amdhsa_user_sgpr_kernarg_segment_ptr 1
		.amdhsa_user_sgpr_dispatch_id 0
		.amdhsa_user_sgpr_private_segment_size 0
		.amdhsa_wavefront_size32 1
		.amdhsa_uses_dynamic_stack 0
		.amdhsa_enable_private_segment 0
		.amdhsa_system_sgpr_workgroup_id_x 1
		.amdhsa_system_sgpr_workgroup_id_y 0
		.amdhsa_system_sgpr_workgroup_id_z 0
		.amdhsa_system_sgpr_workgroup_info 0
		.amdhsa_system_vgpr_workitem_id 0
		.amdhsa_next_free_vgpr 18
		.amdhsa_next_free_sgpr 19
		.amdhsa_reserve_vcc 1
		.amdhsa_float_round_mode_32 0
		.amdhsa_float_round_mode_16_64 0
		.amdhsa_float_denorm_mode_32 3
		.amdhsa_float_denorm_mode_16_64 3
		.amdhsa_dx10_clamp 1
		.amdhsa_ieee_mode 1
		.amdhsa_fp16_overflow 0
		.amdhsa_workgroup_processor_mode 1
		.amdhsa_memory_ordered 1
		.amdhsa_forward_progress 0
		.amdhsa_shared_vgpr_count 0
		.amdhsa_exception_fp_ieee_invalid_op 0
		.amdhsa_exception_fp_denorm_src 0
		.amdhsa_exception_fp_ieee_div_zero 0
		.amdhsa_exception_fp_ieee_overflow 0
		.amdhsa_exception_fp_ieee_underflow 0
		.amdhsa_exception_fp_ieee_inexact 0
		.amdhsa_exception_int_div_zero 0
	.end_amdhsa_kernel
	.section	.text._ZN2at6native29vectorized_elementwise_kernelILi16EZNS0_12_GLOBAL__N_119masked_scale_kernelIbN3c108BFloat16EfEEvRNS_6TensorERKS6_S9_T1_EUlS5_bE_St5arrayIPcLm3EEEEviT0_SA_,"axG",@progbits,_ZN2at6native29vectorized_elementwise_kernelILi16EZNS0_12_GLOBAL__N_119masked_scale_kernelIbN3c108BFloat16EfEEvRNS_6TensorERKS6_S9_T1_EUlS5_bE_St5arrayIPcLm3EEEEviT0_SA_,comdat
.Lfunc_end136:
	.size	_ZN2at6native29vectorized_elementwise_kernelILi16EZNS0_12_GLOBAL__N_119masked_scale_kernelIbN3c108BFloat16EfEEvRNS_6TensorERKS6_S9_T1_EUlS5_bE_St5arrayIPcLm3EEEEviT0_SA_, .Lfunc_end136-_ZN2at6native29vectorized_elementwise_kernelILi16EZNS0_12_GLOBAL__N_119masked_scale_kernelIbN3c108BFloat16EfEEvRNS_6TensorERKS6_S9_T1_EUlS5_bE_St5arrayIPcLm3EEEEviT0_SA_
                                        ; -- End function
	.section	.AMDGPU.csdata,"",@progbits
; Kernel info:
; codeLenInByte = 3280
; NumSgprs: 21
; NumVgprs: 18
; ScratchSize: 0
; MemoryBound: 0
; FloatMode: 240
; IeeeMode: 1
; LDSByteSize: 0 bytes/workgroup (compile time only)
; SGPRBlocks: 2
; VGPRBlocks: 2
; NumSGPRsForWavesPerEU: 21
; NumVGPRsForWavesPerEU: 18
; Occupancy: 16
; WaveLimiterHint : 0
; COMPUTE_PGM_RSRC2:SCRATCH_EN: 0
; COMPUTE_PGM_RSRC2:USER_SGPR: 15
; COMPUTE_PGM_RSRC2:TRAP_HANDLER: 0
; COMPUTE_PGM_RSRC2:TGID_X_EN: 1
; COMPUTE_PGM_RSRC2:TGID_Y_EN: 0
; COMPUTE_PGM_RSRC2:TGID_Z_EN: 0
; COMPUTE_PGM_RSRC2:TIDIG_COMP_CNT: 0
	.section	.text._ZN2at6native29vectorized_elementwise_kernelILi8EZNS0_12_GLOBAL__N_119masked_scale_kernelIbN3c108BFloat16EfEEvRNS_6TensorERKS6_S9_T1_EUlS5_bE_St5arrayIPcLm3EEEEviT0_SA_,"axG",@progbits,_ZN2at6native29vectorized_elementwise_kernelILi8EZNS0_12_GLOBAL__N_119masked_scale_kernelIbN3c108BFloat16EfEEvRNS_6TensorERKS6_S9_T1_EUlS5_bE_St5arrayIPcLm3EEEEviT0_SA_,comdat
	.globl	_ZN2at6native29vectorized_elementwise_kernelILi8EZNS0_12_GLOBAL__N_119masked_scale_kernelIbN3c108BFloat16EfEEvRNS_6TensorERKS6_S9_T1_EUlS5_bE_St5arrayIPcLm3EEEEviT0_SA_ ; -- Begin function _ZN2at6native29vectorized_elementwise_kernelILi8EZNS0_12_GLOBAL__N_119masked_scale_kernelIbN3c108BFloat16EfEEvRNS_6TensorERKS6_S9_T1_EUlS5_bE_St5arrayIPcLm3EEEEviT0_SA_
	.p2align	8
	.type	_ZN2at6native29vectorized_elementwise_kernelILi8EZNS0_12_GLOBAL__N_119masked_scale_kernelIbN3c108BFloat16EfEEvRNS_6TensorERKS6_S9_T1_EUlS5_bE_St5arrayIPcLm3EEEEviT0_SA_,@function
_ZN2at6native29vectorized_elementwise_kernelILi8EZNS0_12_GLOBAL__N_119masked_scale_kernelIbN3c108BFloat16EfEEvRNS_6TensorERKS6_S9_T1_EUlS5_bE_St5arrayIPcLm3EEEEviT0_SA_: ; @_ZN2at6native29vectorized_elementwise_kernelILi8EZNS0_12_GLOBAL__N_119masked_scale_kernelIbN3c108BFloat16EfEEvRNS_6TensorERKS6_S9_T1_EUlS5_bE_St5arrayIPcLm3EEEEviT0_SA_
; %bb.0:
	s_clause 0x2
	s_load_b64 s[8:9], s[0:1], 0x0
	s_load_b128 s[4:7], s[0:1], 0x8
	s_load_b64 s[10:11], s[0:1], 0x18
	s_lshl_b32 s2, s15, 11
	s_mov_b32 s0, -1
	s_waitcnt lgkmcnt(0)
	s_sub_i32 s8, s8, s2
	s_delay_alu instid0(SALU_CYCLE_1)
	s_cmpk_gt_i32 s8, 0x7ff
	s_cbranch_scc0 .LBB137_2
; %bb.1:
	s_ashr_i32 s3, s2, 31
	v_lshlrev_b32_e32 v7, 4, v0
	s_lshl_b64 s[0:1], s[2:3], 1
	s_delay_alu instid0(SALU_CYCLE_1)
	s_add_u32 s12, s6, s0
	s_addc_u32 s13, s7, s1
	global_load_b128 v[1:4], v7, s[12:13]
	s_add_u32 s12, s10, s2
	s_addc_u32 s13, s11, s3
	s_waitcnt vmcnt(0)
	v_lshlrev_b32_e32 v11, 16, v4
	v_and_b32_e32 v10, 0xffff0000, v3
	v_and_b32_e32 v4, 0xffff0000, v4
	v_lshlrev_b32_e32 v5, 3, v0
	global_load_b64 v[5:6], v5, s[12:13]
	s_add_u32 s12, s4, s0
	s_addc_u32 s13, s5, s1
	s_mov_b32 s0, 0
	s_waitcnt vmcnt(0)
	v_cmp_lt_u32_e32 vcc_lo, 0xffffff, v5
	v_and_b32_e32 v12, 0xff0000, v5
	v_and_b32_e32 v14, 0xff00, v5
	;; [unrolled: 1-line block ×4, first 2 shown]
	v_cndmask_b32_e64 v5, 0, 1.0, vcc_lo
	v_cmp_lt_u32_e32 vcc_lo, 0xffffff, v6
	v_and_b32_e32 v16, 0xff00, v6
	v_and_b32_e32 v17, 0xff, v6
	v_cndmask_b32_e64 v6, 0, 1.0, vcc_lo
	v_cmp_ne_u32_e32 vcc_lo, 0, v14
	s_delay_alu instid0(VALU_DEP_2) | instskip(SKIP_2) | instid1(VALU_DEP_3)
	v_mul_f32_e32 v4, v4, v6
	v_cndmask_b32_e64 v14, 0, 1.0, vcc_lo
	v_cmp_ne_u32_e32 vcc_lo, 0, v15
	v_dual_mul_f32 v4, s9, v4 :: v_dual_lshlrev_b32 v9, 16, v2
	v_cndmask_b32_e64 v15, 0, 1.0, vcc_lo
	v_and_b32_e32 v8, 0xffff0000, v1
	v_lshlrev_b32_e32 v1, 16, v1
	v_cmp_ne_u32_e32 vcc_lo, 0, v12
	s_delay_alu instid0(VALU_DEP_2) | instskip(SKIP_2) | instid1(VALU_DEP_3)
	v_dual_mul_f32 v1, v1, v15 :: v_dual_mul_f32 v6, v8, v14
	v_cndmask_b32_e64 v12, 0, 1.0, vcc_lo
	v_lshlrev_b32_e32 v3, 16, v3
	v_mul_f32_e32 v1, s9, v1
	v_cmp_ne_u32_e32 vcc_lo, 0, v16
	s_delay_alu instid0(VALU_DEP_4) | instskip(SKIP_3) | instid1(VALU_DEP_4)
	v_mul_f32_e32 v8, v9, v12
	v_and_b32_e32 v2, 0xffff0000, v2
	v_mul_f32_e32 v6, s9, v6
	v_bfe_u32 v12, v1, 16, 1
	v_mul_f32_e32 v8, s9, v8
	s_delay_alu instid0(VALU_DEP_4)
	v_mul_f32_e32 v2, v2, v5
	v_cndmask_b32_e64 v5, 0, 1.0, vcc_lo
	v_cmp_ne_u32_e32 vcc_lo, 0, v17
	v_add3_u32 v12, v1, v12, 0x7fff
	v_bfe_u32 v14, v8, 16, 1
	v_mul_f32_e32 v2, s9, v2
	v_cndmask_b32_e64 v16, 0, 1.0, vcc_lo
	v_cmp_ne_u32_e32 vcc_lo, 0, v13
	s_delay_alu instid0(VALU_DEP_4) | instskip(SKIP_1) | instid1(VALU_DEP_4)
	v_add3_u32 v14, v8, v14, 0x7fff
	v_lshrrev_b32_e32 v12, 16, v12
	v_mul_f32_e32 v3, v3, v16
	v_cndmask_b32_e64 v13, 0, 1.0, vcc_lo
	v_cmp_o_f32_e32 vcc_lo, v2, v2
	v_lshrrev_b32_e32 v14, 16, v14
	s_delay_alu instid0(VALU_DEP_4) | instskip(NEXT) | instid1(VALU_DEP_4)
	v_mul_f32_e32 v3, s9, v3
	v_mul_f32_e32 v9, v11, v13
	;; [unrolled: 1-line block ×3, first 2 shown]
	v_bfe_u32 v10, v2, 16, 1
	v_bfe_u32 v11, v4, 16, 1
	v_bfe_u32 v15, v3, 16, 1
	v_mul_f32_e32 v9, s9, v9
	v_mul_f32_e32 v5, s9, v5
	v_add3_u32 v10, v2, v10, 0x7fff
	v_add3_u32 v11, v4, v11, 0x7fff
	;; [unrolled: 1-line block ×3, first 2 shown]
	v_bfe_u32 v17, v9, 16, 1
	v_bfe_u32 v16, v5, 16, 1
	v_lshrrev_b32_e32 v10, 16, v10
	v_lshrrev_b32_e32 v11, 16, v11
	v_bfe_u32 v13, v6, 16, 1
	v_add3_u32 v17, v9, v17, 0x7fff
	v_add3_u32 v16, v5, v16, 0x7fff
	v_cndmask_b32_e32 v2, 0x7fc0, v10, vcc_lo
	v_cmp_o_f32_e32 vcc_lo, v4, v4
	v_lshrrev_b32_e32 v10, 16, v15
	v_add3_u32 v13, v6, v13, 0x7fff
	v_lshrrev_b32_e32 v15, 16, v16
	v_lshrrev_b32_e32 v16, 16, v17
	v_cndmask_b32_e32 v4, 0x7fc0, v11, vcc_lo
	v_cmp_o_f32_e32 vcc_lo, v1, v1
	v_lshrrev_b32_e32 v13, 16, v13
	v_cndmask_b32_e32 v1, 0x7fc0, v12, vcc_lo
	v_cmp_o_f32_e32 vcc_lo, v8, v8
	v_cndmask_b32_e32 v8, 0x7fc0, v14, vcc_lo
	v_cmp_o_f32_e32 vcc_lo, v3, v3
	s_delay_alu instid0(VALU_DEP_2) | instskip(SKIP_4) | instid1(VALU_DEP_2)
	v_perm_b32 v2, v2, v8, 0x5040100
	v_cndmask_b32_e32 v3, 0x7fc0, v10, vcc_lo
	v_cmp_o_f32_e32 vcc_lo, v9, v9
	v_cndmask_b32_e32 v9, 0x7fc0, v16, vcc_lo
	v_cmp_o_f32_e32 vcc_lo, v5, v5
	v_perm_b32 v4, v4, v9, 0x5040100
	v_cndmask_b32_e32 v5, 0x7fc0, v15, vcc_lo
	v_cmp_o_f32_e32 vcc_lo, v6, v6
	s_delay_alu instid0(VALU_DEP_2) | instskip(SKIP_1) | instid1(VALU_DEP_1)
	v_perm_b32 v3, v5, v3, 0x5040100
	v_cndmask_b32_e32 v6, 0x7fc0, v13, vcc_lo
	v_perm_b32 v1, v6, v1, 0x5040100
	global_store_b128 v7, v[1:4], s[12:13]
.LBB137_2:
	s_and_not1_b32 vcc_lo, exec_lo, s0
	s_cbranch_vccnz .LBB137_41
; %bb.3:
	v_cmp_gt_i32_e32 vcc_lo, s8, v0
	v_mov_b32_e32 v4, 0
	v_or_b32_e32 v1, s2, v0
	v_or_b32_e32 v3, 0x100, v0
	v_mov_b32_e32 v2, 0
	v_mov_b32_e32 v6, v0
	s_mov_b32 s1, 0
	s_mov_b32 s3, 0
	s_and_saveexec_b32 s12, vcc_lo
	s_cbranch_execz .LBB137_5
; %bb.4:
	v_mov_b32_e32 v2, 0
	global_load_u8 v7, v1, s[10:11]
	v_lshlrev_b64 v[5:6], 1, v[1:2]
	s_delay_alu instid0(VALU_DEP_1) | instskip(NEXT) | instid1(VALU_DEP_1)
	v_add_co_u32 v5, s0, s6, v5
	v_add_co_ci_u32_e64 v6, s0, s7, v6, s0
	global_load_u16 v2, v[5:6], off
	v_or_b32_e32 v6, 0x100, v0
	s_waitcnt vmcnt(1)
	v_cmp_ne_u16_e64 s0, 0, v7
	s_delay_alu instid0(VALU_DEP_1)
	s_and_b32 s3, s0, exec_lo
.LBB137_5:
	s_or_b32 exec_lo, exec_lo, s12
	s_delay_alu instid0(SALU_CYCLE_1)
	s_mov_b32 s12, exec_lo
	v_cmpx_gt_i32_e64 s8, v6
	s_cbranch_execz .LBB137_7
; %bb.6:
	v_dual_mov_b32 v5, 0 :: v_dual_add_nc_u32 v4, s2, v6
	v_add_nc_u32_e32 v6, 0x100, v6
	global_load_u8 v9, v4, s[10:11]
	v_lshlrev_b64 v[7:8], 1, v[4:5]
	s_delay_alu instid0(VALU_DEP_1) | instskip(NEXT) | instid1(VALU_DEP_1)
	v_add_co_u32 v4, s0, s6, v7
	v_add_co_ci_u32_e64 v5, s0, s7, v8, s0
	global_load_u16 v4, v[4:5], off
	s_waitcnt vmcnt(1)
	v_cmp_ne_u16_e64 s0, 0, v9
	s_delay_alu instid0(VALU_DEP_1)
	s_and_b32 s1, s0, exec_lo
.LBB137_7:
	s_or_b32 exec_lo, exec_lo, s12
	v_mov_b32_e32 v5, 0
	v_mov_b32_e32 v7, 0
	s_mov_b32 s12, 0
	s_mov_b32 s13, 0
	s_mov_b32 s14, exec_lo
	v_cmpx_gt_i32_e64 s8, v6
	s_cbranch_execz .LBB137_9
; %bb.8:
	v_dual_mov_b32 v8, 0 :: v_dual_add_nc_u32 v7, s2, v6
	v_add_nc_u32_e32 v6, 0x100, v6
	global_load_u8 v10, v7, s[10:11]
	v_lshlrev_b64 v[8:9], 1, v[7:8]
	s_delay_alu instid0(VALU_DEP_1) | instskip(NEXT) | instid1(VALU_DEP_1)
	v_add_co_u32 v7, s0, s6, v8
	v_add_co_ci_u32_e64 v8, s0, s7, v9, s0
	global_load_u16 v7, v[7:8], off
	s_waitcnt vmcnt(1)
	v_cmp_ne_u16_e64 s0, 0, v10
	s_delay_alu instid0(VALU_DEP_1)
	s_and_b32 s13, s0, exec_lo
.LBB137_9:
	s_or_b32 exec_lo, exec_lo, s14
	s_delay_alu instid0(SALU_CYCLE_1)
	s_mov_b32 s14, exec_lo
	v_cmpx_gt_i32_e64 s8, v6
	s_cbranch_execz .LBB137_11
; %bb.10:
	v_dual_mov_b32 v9, 0 :: v_dual_add_nc_u32 v8, s2, v6
	v_add_nc_u32_e32 v6, 0x100, v6
	global_load_u8 v11, v8, s[10:11]
	v_lshlrev_b64 v[9:10], 1, v[8:9]
	s_delay_alu instid0(VALU_DEP_1) | instskip(NEXT) | instid1(VALU_DEP_1)
	v_add_co_u32 v8, s0, s6, v9
	v_add_co_ci_u32_e64 v9, s0, s7, v10, s0
	global_load_u16 v5, v[8:9], off
	s_waitcnt vmcnt(1)
	v_cmp_ne_u16_e64 s0, 0, v11
	s_delay_alu instid0(VALU_DEP_1)
	s_and_b32 s12, s0, exec_lo
.LBB137_11:
	s_or_b32 exec_lo, exec_lo, s14
	v_dual_mov_b32 v8, 0 :: v_dual_mov_b32 v9, 0
	s_mov_b32 s14, 0
	s_mov_b32 s15, 0
	s_mov_b32 s16, exec_lo
	v_cmpx_gt_i32_e64 s8, v6
	s_cbranch_execz .LBB137_13
; %bb.12:
	v_dual_mov_b32 v10, 0 :: v_dual_add_nc_u32 v9, s2, v6
	v_add_nc_u32_e32 v6, 0x100, v6
	global_load_u8 v12, v9, s[10:11]
	v_lshlrev_b64 v[10:11], 1, v[9:10]
	s_delay_alu instid0(VALU_DEP_1) | instskip(NEXT) | instid1(VALU_DEP_1)
	v_add_co_u32 v9, s0, s6, v10
	v_add_co_ci_u32_e64 v10, s0, s7, v11, s0
	global_load_u16 v9, v[9:10], off
	s_waitcnt vmcnt(1)
	v_cmp_ne_u16_e64 s0, 0, v12
	s_delay_alu instid0(VALU_DEP_1)
	s_and_b32 s15, s0, exec_lo
.LBB137_13:
	s_or_b32 exec_lo, exec_lo, s16
	s_delay_alu instid0(SALU_CYCLE_1)
	s_mov_b32 s16, exec_lo
	v_cmpx_gt_i32_e64 s8, v6
	s_cbranch_execz .LBB137_15
; %bb.14:
	v_dual_mov_b32 v11, 0 :: v_dual_add_nc_u32 v10, s2, v6
	v_add_nc_u32_e32 v6, 0x100, v6
	global_load_u8 v13, v10, s[10:11]
	v_lshlrev_b64 v[11:12], 1, v[10:11]
	s_delay_alu instid0(VALU_DEP_1) | instskip(NEXT) | instid1(VALU_DEP_1)
	v_add_co_u32 v10, s0, s6, v11
	v_add_co_ci_u32_e64 v11, s0, s7, v12, s0
	global_load_u16 v8, v[10:11], off
	s_waitcnt vmcnt(1)
	v_cmp_ne_u16_e64 s0, 0, v13
	s_delay_alu instid0(VALU_DEP_1)
	s_and_b32 s14, s0, exec_lo
.LBB137_15:
	s_or_b32 exec_lo, exec_lo, s16
	v_dual_mov_b32 v10, 0 :: v_dual_mov_b32 v11, 0
	s_mov_b32 s16, 0
	s_mov_b32 s17, 0
	s_mov_b32 s18, exec_lo
	v_cmpx_gt_i32_e64 s8, v6
	s_cbranch_execz .LBB137_42
; %bb.16:
	v_dual_mov_b32 v12, 0 :: v_dual_add_nc_u32 v11, s2, v6
	v_add_nc_u32_e32 v6, 0x100, v6
	global_load_u8 v14, v11, s[10:11]
	v_lshlrev_b64 v[12:13], 1, v[11:12]
	s_delay_alu instid0(VALU_DEP_1) | instskip(NEXT) | instid1(VALU_DEP_1)
	v_add_co_u32 v11, s0, s6, v12
	v_add_co_ci_u32_e64 v12, s0, s7, v13, s0
	global_load_u16 v11, v[11:12], off
	s_waitcnt vmcnt(1)
	v_cmp_ne_u16_e64 s0, 0, v14
	s_delay_alu instid0(VALU_DEP_1) | instskip(SKIP_1) | instid1(SALU_CYCLE_1)
	s_and_b32 s17, s0, exec_lo
	s_or_b32 exec_lo, exec_lo, s18
	s_mov_b32 s18, exec_lo
	v_cmpx_gt_i32_e64 s8, v6
	s_cbranch_execnz .LBB137_43
.LBB137_17:
	s_or_b32 exec_lo, exec_lo, s18
                                        ; implicit-def: $vgpr15
	s_and_saveexec_b32 s6, vcc_lo
	s_cbranch_execz .LBB137_19
.LBB137_18:
	v_cndmask_b32_e64 v6, 0, 1.0, s3
	s_waitcnt vmcnt(0)
	v_lshlrev_b32_e32 v2, 16, v2
	s_delay_alu instid0(VALU_DEP_1) | instskip(NEXT) | instid1(VALU_DEP_1)
	v_mul_f32_e32 v2, v6, v2
	v_mul_f32_e32 v2, s9, v2
	s_delay_alu instid0(VALU_DEP_1) | instskip(SKIP_1) | instid1(VALU_DEP_2)
	v_bfe_u32 v6, v2, 16, 1
	v_cmp_o_f32_e64 s0, v2, v2
	v_add3_u32 v6, v2, v6, 0x7fff
	s_delay_alu instid0(VALU_DEP_1) | instskip(NEXT) | instid1(VALU_DEP_1)
	v_lshrrev_b32_e32 v6, 16, v6
	v_cndmask_b32_e64 v15, 0x7fc0, v6, s0
.LBB137_19:
	s_or_b32 exec_lo, exec_lo, s6
	s_delay_alu instid0(SALU_CYCLE_1)
	s_mov_b32 s3, exec_lo
                                        ; implicit-def: $vgpr14
	v_cmpx_gt_i32_e64 s8, v3
	s_cbranch_execz .LBB137_21
; %bb.20:
	s_waitcnt vmcnt(0)
	v_cndmask_b32_e64 v2, 0, 1.0, s1
	v_lshlrev_b32_e32 v4, 16, v4
	s_delay_alu instid0(VALU_DEP_1) | instskip(NEXT) | instid1(VALU_DEP_1)
	v_mul_f32_e32 v2, v2, v4
	v_mul_f32_e32 v2, s9, v2
	s_delay_alu instid0(VALU_DEP_1) | instskip(SKIP_1) | instid1(VALU_DEP_2)
	v_bfe_u32 v4, v2, 16, 1
	v_cmp_o_f32_e64 s0, v2, v2
	v_add3_u32 v4, v2, v4, 0x7fff
	s_delay_alu instid0(VALU_DEP_1) | instskip(NEXT) | instid1(VALU_DEP_1)
	v_lshrrev_b32_e32 v4, 16, v4
	v_cndmask_b32_e64 v14, 0x7fc0, v4, s0
.LBB137_21:
	s_or_b32 exec_lo, exec_lo, s3
	s_waitcnt vmcnt(0)
	v_or_b32_e32 v2, 0x200, v0
	s_mov_b32 s1, exec_lo
                                        ; implicit-def: $vgpr13
	s_delay_alu instid0(VALU_DEP_1)
	v_cmpx_gt_i32_e64 s8, v2
; %bb.22:
	v_cndmask_b32_e64 v2, 0, 1.0, s13
	v_lshlrev_b32_e32 v4, 16, v7
	s_delay_alu instid0(VALU_DEP_1) | instskip(NEXT) | instid1(VALU_DEP_1)
	v_mul_f32_e32 v2, v2, v4
	v_mul_f32_e32 v2, s9, v2
	s_delay_alu instid0(VALU_DEP_1) | instskip(SKIP_1) | instid1(VALU_DEP_2)
	v_bfe_u32 v4, v2, 16, 1
	v_cmp_o_f32_e64 s0, v2, v2
	v_add3_u32 v4, v2, v4, 0x7fff
	s_delay_alu instid0(VALU_DEP_1) | instskip(NEXT) | instid1(VALU_DEP_1)
	v_lshrrev_b32_e32 v4, 16, v4
	v_cndmask_b32_e64 v13, 0x7fc0, v4, s0
; %bb.23:
	s_or_b32 exec_lo, exec_lo, s1
	v_or_b32_e32 v2, 0x300, v0
	s_mov_b32 s1, exec_lo
                                        ; implicit-def: $vgpr12
	s_delay_alu instid0(VALU_DEP_1)
	v_cmpx_gt_i32_e64 s8, v2
; %bb.24:
	v_cndmask_b32_e64 v2, 0, 1.0, s12
	v_lshlrev_b32_e32 v4, 16, v5
	s_delay_alu instid0(VALU_DEP_1) | instskip(NEXT) | instid1(VALU_DEP_1)
	v_mul_f32_e32 v2, v2, v4
	v_mul_f32_e32 v2, s9, v2
	s_delay_alu instid0(VALU_DEP_1) | instskip(SKIP_1) | instid1(VALU_DEP_2)
	v_bfe_u32 v4, v2, 16, 1
	v_cmp_o_f32_e64 s0, v2, v2
	v_add3_u32 v4, v2, v4, 0x7fff
	s_delay_alu instid0(VALU_DEP_1) | instskip(NEXT) | instid1(VALU_DEP_1)
	v_lshrrev_b32_e32 v4, 16, v4
	v_cndmask_b32_e64 v12, 0x7fc0, v4, s0
; %bb.25:
	s_or_b32 exec_lo, exec_lo, s1
	v_or_b32_e32 v2, 0x400, v0
	s_mov_b32 s1, exec_lo
                                        ; implicit-def: $vgpr7
	s_delay_alu instid0(VALU_DEP_1)
	v_cmpx_gt_i32_e64 s8, v2
; %bb.26:
	v_cndmask_b32_e64 v2, 0, 1.0, s15
	v_lshlrev_b32_e32 v4, 16, v9
	s_delay_alu instid0(VALU_DEP_1) | instskip(NEXT) | instid1(VALU_DEP_1)
	v_mul_f32_e32 v2, v2, v4
	v_mul_f32_e32 v2, s9, v2
	s_delay_alu instid0(VALU_DEP_1) | instskip(SKIP_1) | instid1(VALU_DEP_2)
	v_bfe_u32 v4, v2, 16, 1
	v_cmp_o_f32_e64 s0, v2, v2
	v_add3_u32 v4, v2, v4, 0x7fff
	s_delay_alu instid0(VALU_DEP_1) | instskip(NEXT) | instid1(VALU_DEP_1)
	v_lshrrev_b32_e32 v4, 16, v4
	v_cndmask_b32_e64 v7, 0x7fc0, v4, s0
; %bb.27:
	s_or_b32 exec_lo, exec_lo, s1
	v_or_b32_e32 v2, 0x500, v0
	s_mov_b32 s1, exec_lo
                                        ; implicit-def: $vgpr5
	s_delay_alu instid0(VALU_DEP_1)
	v_cmpx_gt_i32_e64 s8, v2
; %bb.28:
	v_cndmask_b32_e64 v2, 0, 1.0, s14
	v_lshlrev_b32_e32 v4, 16, v8
	s_delay_alu instid0(VALU_DEP_1) | instskip(NEXT) | instid1(VALU_DEP_1)
	v_mul_f32_e32 v2, v2, v4
	v_mul_f32_e32 v2, s9, v2
	s_delay_alu instid0(VALU_DEP_1) | instskip(SKIP_1) | instid1(VALU_DEP_2)
	v_bfe_u32 v4, v2, 16, 1
	v_cmp_o_f32_e64 s0, v2, v2
	v_add3_u32 v4, v2, v4, 0x7fff
	s_delay_alu instid0(VALU_DEP_1) | instskip(NEXT) | instid1(VALU_DEP_1)
	v_lshrrev_b32_e32 v4, 16, v4
	v_cndmask_b32_e64 v5, 0x7fc0, v4, s0
; %bb.29:
	s_or_b32 exec_lo, exec_lo, s1
	v_or_b32_e32 v2, 0x600, v0
	s_mov_b32 s1, exec_lo
                                        ; implicit-def: $vgpr4
	s_delay_alu instid0(VALU_DEP_1)
	v_cmpx_gt_i32_e64 s8, v2
; %bb.30:
	v_cndmask_b32_e64 v2, 0, 1.0, s17
	v_lshlrev_b32_e32 v4, 16, v11
	s_delay_alu instid0(VALU_DEP_1) | instskip(NEXT) | instid1(VALU_DEP_1)
	v_mul_f32_e32 v2, v2, v4
	v_mul_f32_e32 v2, s9, v2
	s_delay_alu instid0(VALU_DEP_1) | instskip(SKIP_1) | instid1(VALU_DEP_2)
	v_bfe_u32 v4, v2, 16, 1
	v_cmp_o_f32_e64 s0, v2, v2
	v_add3_u32 v4, v2, v4, 0x7fff
	s_delay_alu instid0(VALU_DEP_1) | instskip(NEXT) | instid1(VALU_DEP_1)
	v_lshrrev_b32_e32 v4, 16, v4
	v_cndmask_b32_e64 v4, 0x7fc0, v4, s0
; %bb.31:
	s_or_b32 exec_lo, exec_lo, s1
	v_or_b32_e32 v2, 0x700, v0
	s_mov_b32 s1, exec_lo
                                        ; implicit-def: $vgpr6
	s_delay_alu instid0(VALU_DEP_1)
	v_cmpx_gt_i32_e64 s8, v2
	s_cbranch_execz .LBB137_44
; %bb.32:
	v_cndmask_b32_e64 v2, 0, 1.0, s16
	v_lshlrev_b32_e32 v6, 16, v10
	s_delay_alu instid0(VALU_DEP_1) | instskip(NEXT) | instid1(VALU_DEP_1)
	v_mul_f32_e32 v2, v2, v6
	v_mul_f32_e32 v2, s9, v2
	s_delay_alu instid0(VALU_DEP_1) | instskip(SKIP_1) | instid1(VALU_DEP_2)
	v_bfe_u32 v6, v2, 16, 1
	v_cmp_o_f32_e64 s0, v2, v2
	v_add3_u32 v6, v2, v6, 0x7fff
	s_delay_alu instid0(VALU_DEP_1) | instskip(NEXT) | instid1(VALU_DEP_1)
	v_lshrrev_b32_e32 v6, 16, v6
	v_cndmask_b32_e64 v6, 0x7fc0, v6, s0
	s_or_b32 exec_lo, exec_lo, s1
	s_and_saveexec_b32 s0, vcc_lo
	s_delay_alu instid0(SALU_CYCLE_1)
	s_xor_b32 s0, exec_lo, s0
	s_cbranch_execnz .LBB137_45
.LBB137_33:
	s_or_b32 exec_lo, exec_lo, s0
	s_delay_alu instid0(SALU_CYCLE_1)
	s_mov_b32 s0, exec_lo
	v_cmpx_gt_i32_e64 s8, v0
	s_cbranch_execz .LBB137_46
.LBB137_34:
	v_dual_mov_b32 v2, 0 :: v_dual_add_nc_u32 v1, s2, v0
	v_add_nc_u32_e32 v0, 0x100, v0
	s_delay_alu instid0(VALU_DEP_2) | instskip(NEXT) | instid1(VALU_DEP_1)
	v_lshlrev_b64 v[1:2], 1, v[1:2]
	v_add_co_u32 v1, vcc_lo, s4, v1
	s_delay_alu instid0(VALU_DEP_2) | instskip(SKIP_2) | instid1(SALU_CYCLE_1)
	v_add_co_ci_u32_e32 v2, vcc_lo, s5, v2, vcc_lo
	global_store_b16 v[1:2], v14, off
	s_or_b32 exec_lo, exec_lo, s0
	s_mov_b32 s0, exec_lo
	v_cmpx_gt_i32_e64 s8, v0
	s_cbranch_execnz .LBB137_47
.LBB137_35:
	s_or_b32 exec_lo, exec_lo, s0
	s_delay_alu instid0(SALU_CYCLE_1)
	s_mov_b32 s0, exec_lo
	v_cmpx_gt_i32_e64 s8, v0
	s_cbranch_execz .LBB137_48
.LBB137_36:
	v_dual_mov_b32 v2, 0 :: v_dual_add_nc_u32 v1, s2, v0
	v_add_nc_u32_e32 v0, 0x100, v0
	s_delay_alu instid0(VALU_DEP_2) | instskip(NEXT) | instid1(VALU_DEP_1)
	v_lshlrev_b64 v[1:2], 1, v[1:2]
	v_add_co_u32 v1, vcc_lo, s4, v1
	s_delay_alu instid0(VALU_DEP_2) | instskip(SKIP_2) | instid1(SALU_CYCLE_1)
	v_add_co_ci_u32_e32 v2, vcc_lo, s5, v2, vcc_lo
	global_store_b16 v[1:2], v12, off
	s_or_b32 exec_lo, exec_lo, s0
	s_mov_b32 s0, exec_lo
	v_cmpx_gt_i32_e64 s8, v0
	s_cbranch_execnz .LBB137_49
.LBB137_37:
	s_or_b32 exec_lo, exec_lo, s0
	s_delay_alu instid0(SALU_CYCLE_1)
	s_mov_b32 s0, exec_lo
	v_cmpx_gt_i32_e64 s8, v0
	s_cbranch_execz .LBB137_50
.LBB137_38:
	v_dual_mov_b32 v2, 0 :: v_dual_add_nc_u32 v1, s2, v0
	v_add_nc_u32_e32 v0, 0x100, v0
	s_delay_alu instid0(VALU_DEP_2) | instskip(NEXT) | instid1(VALU_DEP_1)
	v_lshlrev_b64 v[1:2], 1, v[1:2]
	v_add_co_u32 v1, vcc_lo, s4, v1
	s_delay_alu instid0(VALU_DEP_2) | instskip(SKIP_2) | instid1(SALU_CYCLE_1)
	v_add_co_ci_u32_e32 v2, vcc_lo, s5, v2, vcc_lo
	global_store_b16 v[1:2], v5, off
	s_or_b32 exec_lo, exec_lo, s0
	s_mov_b32 s0, exec_lo
	v_cmpx_gt_i32_e64 s8, v0
	s_cbranch_execnz .LBB137_51
.LBB137_39:
	s_or_b32 exec_lo, exec_lo, s0
	s_delay_alu instid0(SALU_CYCLE_1)
	s_mov_b32 s0, exec_lo
	v_cmpx_gt_i32_e64 s8, v0
	s_cbranch_execz .LBB137_41
.LBB137_40:
	v_dual_mov_b32 v1, 0 :: v_dual_add_nc_u32 v0, s2, v0
	s_delay_alu instid0(VALU_DEP_1) | instskip(NEXT) | instid1(VALU_DEP_1)
	v_lshlrev_b64 v[0:1], 1, v[0:1]
	v_add_co_u32 v0, vcc_lo, s4, v0
	s_delay_alu instid0(VALU_DEP_2)
	v_add_co_ci_u32_e32 v1, vcc_lo, s5, v1, vcc_lo
	global_store_b16 v[0:1], v6, off
.LBB137_41:
	s_nop 0
	s_sendmsg sendmsg(MSG_DEALLOC_VGPRS)
	s_endpgm
.LBB137_42:
	s_or_b32 exec_lo, exec_lo, s18
	s_delay_alu instid0(SALU_CYCLE_1)
	s_mov_b32 s18, exec_lo
	v_cmpx_gt_i32_e64 s8, v6
	s_cbranch_execz .LBB137_17
.LBB137_43:
	v_dual_mov_b32 v13, 0 :: v_dual_add_nc_u32 v12, s2, v6
	global_load_u8 v6, v12, s[10:11]
	v_lshlrev_b64 v[13:14], 1, v[12:13]
	s_delay_alu instid0(VALU_DEP_1) | instskip(NEXT) | instid1(VALU_DEP_1)
	v_add_co_u32 v12, s0, s6, v13
	v_add_co_ci_u32_e64 v13, s0, s7, v14, s0
	global_load_u16 v10, v[12:13], off
	s_waitcnt vmcnt(1)
	v_cmp_ne_u16_e64 s0, 0, v6
	s_delay_alu instid0(VALU_DEP_1)
	s_and_b32 s16, s0, exec_lo
	s_or_b32 exec_lo, exec_lo, s18
                                        ; implicit-def: $vgpr15
	s_and_saveexec_b32 s6, vcc_lo
	s_cbranch_execz .LBB137_19
	s_branch .LBB137_18
.LBB137_44:
	s_or_b32 exec_lo, exec_lo, s1
	s_and_saveexec_b32 s0, vcc_lo
	s_delay_alu instid0(SALU_CYCLE_1)
	s_xor_b32 s0, exec_lo, s0
	s_cbranch_execz .LBB137_33
.LBB137_45:
	v_mov_b32_e32 v2, 0
	s_delay_alu instid0(VALU_DEP_1) | instskip(NEXT) | instid1(VALU_DEP_1)
	v_lshlrev_b64 v[0:1], 1, v[1:2]
	v_add_co_u32 v8, vcc_lo, s4, v0
	s_delay_alu instid0(VALU_DEP_2) | instskip(SKIP_3) | instid1(SALU_CYCLE_1)
	v_add_co_ci_u32_e32 v9, vcc_lo, s5, v1, vcc_lo
	v_mov_b32_e32 v0, v3
	global_store_b16 v[8:9], v15, off
	s_or_b32 exec_lo, exec_lo, s0
	s_mov_b32 s0, exec_lo
	v_cmpx_gt_i32_e64 s8, v0
	s_cbranch_execnz .LBB137_34
.LBB137_46:
	s_or_b32 exec_lo, exec_lo, s0
	s_delay_alu instid0(SALU_CYCLE_1)
	s_mov_b32 s0, exec_lo
	v_cmpx_gt_i32_e64 s8, v0
	s_cbranch_execz .LBB137_35
.LBB137_47:
	v_dual_mov_b32 v2, 0 :: v_dual_add_nc_u32 v1, s2, v0
	v_add_nc_u32_e32 v0, 0x100, v0
	s_delay_alu instid0(VALU_DEP_2) | instskip(NEXT) | instid1(VALU_DEP_1)
	v_lshlrev_b64 v[1:2], 1, v[1:2]
	v_add_co_u32 v1, vcc_lo, s4, v1
	s_delay_alu instid0(VALU_DEP_2) | instskip(SKIP_2) | instid1(SALU_CYCLE_1)
	v_add_co_ci_u32_e32 v2, vcc_lo, s5, v2, vcc_lo
	global_store_b16 v[1:2], v13, off
	s_or_b32 exec_lo, exec_lo, s0
	s_mov_b32 s0, exec_lo
	v_cmpx_gt_i32_e64 s8, v0
	s_cbranch_execnz .LBB137_36
.LBB137_48:
	s_or_b32 exec_lo, exec_lo, s0
	s_delay_alu instid0(SALU_CYCLE_1)
	s_mov_b32 s0, exec_lo
	v_cmpx_gt_i32_e64 s8, v0
	s_cbranch_execz .LBB137_37
.LBB137_49:
	v_dual_mov_b32 v2, 0 :: v_dual_add_nc_u32 v1, s2, v0
	v_add_nc_u32_e32 v0, 0x100, v0
	s_delay_alu instid0(VALU_DEP_2) | instskip(NEXT) | instid1(VALU_DEP_1)
	v_lshlrev_b64 v[1:2], 1, v[1:2]
	v_add_co_u32 v1, vcc_lo, s4, v1
	s_delay_alu instid0(VALU_DEP_2) | instskip(SKIP_2) | instid1(SALU_CYCLE_1)
	v_add_co_ci_u32_e32 v2, vcc_lo, s5, v2, vcc_lo
	global_store_b16 v[1:2], v7, off
	s_or_b32 exec_lo, exec_lo, s0
	s_mov_b32 s0, exec_lo
	v_cmpx_gt_i32_e64 s8, v0
	s_cbranch_execnz .LBB137_38
.LBB137_50:
	s_or_b32 exec_lo, exec_lo, s0
	s_delay_alu instid0(SALU_CYCLE_1)
	s_mov_b32 s0, exec_lo
	v_cmpx_gt_i32_e64 s8, v0
	s_cbranch_execz .LBB137_39
.LBB137_51:
	v_dual_mov_b32 v2, 0 :: v_dual_add_nc_u32 v1, s2, v0
	v_add_nc_u32_e32 v0, 0x100, v0
	s_delay_alu instid0(VALU_DEP_2) | instskip(NEXT) | instid1(VALU_DEP_1)
	v_lshlrev_b64 v[1:2], 1, v[1:2]
	v_add_co_u32 v1, vcc_lo, s4, v1
	s_delay_alu instid0(VALU_DEP_2) | instskip(SKIP_2) | instid1(SALU_CYCLE_1)
	v_add_co_ci_u32_e32 v2, vcc_lo, s5, v2, vcc_lo
	global_store_b16 v[1:2], v4, off
	s_or_b32 exec_lo, exec_lo, s0
	s_mov_b32 s0, exec_lo
	v_cmpx_gt_i32_e64 s8, v0
	s_cbranch_execnz .LBB137_40
	s_branch .LBB137_41
	.section	.rodata,"a",@progbits
	.p2align	6, 0x0
	.amdhsa_kernel _ZN2at6native29vectorized_elementwise_kernelILi8EZNS0_12_GLOBAL__N_119masked_scale_kernelIbN3c108BFloat16EfEEvRNS_6TensorERKS6_S9_T1_EUlS5_bE_St5arrayIPcLm3EEEEviT0_SA_
		.amdhsa_group_segment_fixed_size 0
		.amdhsa_private_segment_fixed_size 0
		.amdhsa_kernarg_size 32
		.amdhsa_user_sgpr_count 15
		.amdhsa_user_sgpr_dispatch_ptr 0
		.amdhsa_user_sgpr_queue_ptr 0
		.amdhsa_user_sgpr_kernarg_segment_ptr 1
		.amdhsa_user_sgpr_dispatch_id 0
		.amdhsa_user_sgpr_private_segment_size 0
		.amdhsa_wavefront_size32 1
		.amdhsa_uses_dynamic_stack 0
		.amdhsa_enable_private_segment 0
		.amdhsa_system_sgpr_workgroup_id_x 1
		.amdhsa_system_sgpr_workgroup_id_y 0
		.amdhsa_system_sgpr_workgroup_id_z 0
		.amdhsa_system_sgpr_workgroup_info 0
		.amdhsa_system_vgpr_workitem_id 0
		.amdhsa_next_free_vgpr 18
		.amdhsa_next_free_sgpr 19
		.amdhsa_reserve_vcc 1
		.amdhsa_float_round_mode_32 0
		.amdhsa_float_round_mode_16_64 0
		.amdhsa_float_denorm_mode_32 3
		.amdhsa_float_denorm_mode_16_64 3
		.amdhsa_dx10_clamp 1
		.amdhsa_ieee_mode 1
		.amdhsa_fp16_overflow 0
		.amdhsa_workgroup_processor_mode 1
		.amdhsa_memory_ordered 1
		.amdhsa_forward_progress 0
		.amdhsa_shared_vgpr_count 0
		.amdhsa_exception_fp_ieee_invalid_op 0
		.amdhsa_exception_fp_denorm_src 0
		.amdhsa_exception_fp_ieee_div_zero 0
		.amdhsa_exception_fp_ieee_overflow 0
		.amdhsa_exception_fp_ieee_underflow 0
		.amdhsa_exception_fp_ieee_inexact 0
		.amdhsa_exception_int_div_zero 0
	.end_amdhsa_kernel
	.section	.text._ZN2at6native29vectorized_elementwise_kernelILi8EZNS0_12_GLOBAL__N_119masked_scale_kernelIbN3c108BFloat16EfEEvRNS_6TensorERKS6_S9_T1_EUlS5_bE_St5arrayIPcLm3EEEEviT0_SA_,"axG",@progbits,_ZN2at6native29vectorized_elementwise_kernelILi8EZNS0_12_GLOBAL__N_119masked_scale_kernelIbN3c108BFloat16EfEEvRNS_6TensorERKS6_S9_T1_EUlS5_bE_St5arrayIPcLm3EEEEviT0_SA_,comdat
.Lfunc_end137:
	.size	_ZN2at6native29vectorized_elementwise_kernelILi8EZNS0_12_GLOBAL__N_119masked_scale_kernelIbN3c108BFloat16EfEEvRNS_6TensorERKS6_S9_T1_EUlS5_bE_St5arrayIPcLm3EEEEviT0_SA_, .Lfunc_end137-_ZN2at6native29vectorized_elementwise_kernelILi8EZNS0_12_GLOBAL__N_119masked_scale_kernelIbN3c108BFloat16EfEEvRNS_6TensorERKS6_S9_T1_EUlS5_bE_St5arrayIPcLm3EEEEviT0_SA_
                                        ; -- End function
	.section	.AMDGPU.csdata,"",@progbits
; Kernel info:
; codeLenInByte = 3280
; NumSgprs: 21
; NumVgprs: 18
; ScratchSize: 0
; MemoryBound: 0
; FloatMode: 240
; IeeeMode: 1
; LDSByteSize: 0 bytes/workgroup (compile time only)
; SGPRBlocks: 2
; VGPRBlocks: 2
; NumSGPRsForWavesPerEU: 21
; NumVGPRsForWavesPerEU: 18
; Occupancy: 16
; WaveLimiterHint : 0
; COMPUTE_PGM_RSRC2:SCRATCH_EN: 0
; COMPUTE_PGM_RSRC2:USER_SGPR: 15
; COMPUTE_PGM_RSRC2:TRAP_HANDLER: 0
; COMPUTE_PGM_RSRC2:TGID_X_EN: 1
; COMPUTE_PGM_RSRC2:TGID_Y_EN: 0
; COMPUTE_PGM_RSRC2:TGID_Z_EN: 0
; COMPUTE_PGM_RSRC2:TIDIG_COMP_CNT: 0
	.section	.text._ZN2at6native29vectorized_elementwise_kernelILi4EZNS0_12_GLOBAL__N_119masked_scale_kernelIbN3c108BFloat16EfEEvRNS_6TensorERKS6_S9_T1_EUlS5_bE_St5arrayIPcLm3EEEEviT0_SA_,"axG",@progbits,_ZN2at6native29vectorized_elementwise_kernelILi4EZNS0_12_GLOBAL__N_119masked_scale_kernelIbN3c108BFloat16EfEEvRNS_6TensorERKS6_S9_T1_EUlS5_bE_St5arrayIPcLm3EEEEviT0_SA_,comdat
	.globl	_ZN2at6native29vectorized_elementwise_kernelILi4EZNS0_12_GLOBAL__N_119masked_scale_kernelIbN3c108BFloat16EfEEvRNS_6TensorERKS6_S9_T1_EUlS5_bE_St5arrayIPcLm3EEEEviT0_SA_ ; -- Begin function _ZN2at6native29vectorized_elementwise_kernelILi4EZNS0_12_GLOBAL__N_119masked_scale_kernelIbN3c108BFloat16EfEEvRNS_6TensorERKS6_S9_T1_EUlS5_bE_St5arrayIPcLm3EEEEviT0_SA_
	.p2align	8
	.type	_ZN2at6native29vectorized_elementwise_kernelILi4EZNS0_12_GLOBAL__N_119masked_scale_kernelIbN3c108BFloat16EfEEvRNS_6TensorERKS6_S9_T1_EUlS5_bE_St5arrayIPcLm3EEEEviT0_SA_,@function
_ZN2at6native29vectorized_elementwise_kernelILi4EZNS0_12_GLOBAL__N_119masked_scale_kernelIbN3c108BFloat16EfEEvRNS_6TensorERKS6_S9_T1_EUlS5_bE_St5arrayIPcLm3EEEEviT0_SA_: ; @_ZN2at6native29vectorized_elementwise_kernelILi4EZNS0_12_GLOBAL__N_119masked_scale_kernelIbN3c108BFloat16EfEEvRNS_6TensorERKS6_S9_T1_EUlS5_bE_St5arrayIPcLm3EEEEviT0_SA_
; %bb.0:
	s_clause 0x2
	s_load_b64 s[8:9], s[0:1], 0x0
	s_load_b128 s[4:7], s[0:1], 0x8
	s_load_b64 s[10:11], s[0:1], 0x18
	s_lshl_b32 s2, s15, 11
	s_mov_b32 s0, -1
	s_waitcnt lgkmcnt(0)
	s_sub_i32 s8, s8, s2
	s_delay_alu instid0(SALU_CYCLE_1)
	s_cmpk_gt_i32 s8, 0x7ff
	s_cbranch_scc0 .LBB138_2
; %bb.1:
	s_ashr_i32 s3, s2, 31
	v_lshlrev_b32_e32 v5, 3, v0
	s_lshl_b64 s[0:1], s[2:3], 1
	s_delay_alu instid0(SALU_CYCLE_1)
	s_add_u32 s12, s6, s0
	s_addc_u32 s13, s7, s1
	s_clause 0x1
	global_load_b64 v[1:2], v5, s[12:13]
	global_load_b64 v[3:4], v5, s[12:13] offset:2048
	s_add_u32 s12, s10, s2
	s_addc_u32 s13, s11, s3
	s_waitcnt vmcnt(1)
	v_and_b32_e32 v9, 0xffff0000, v2
	v_lshlrev_b32_e32 v6, 2, v0
	v_lshlrev_b32_e32 v2, 16, v2
	s_clause 0x1
	global_load_b32 v7, v6, s[12:13]
	global_load_b32 v6, v6, s[12:13] offset:1024
	s_add_u32 s12, s4, s0
	s_addc_u32 s13, s5, s1
	s_mov_b32 s0, 0
	s_waitcnt vmcnt(1)
	v_cmp_lt_u32_e32 vcc_lo, 0xffffff, v7
	v_and_b32_e32 v12, 0xff, v7
	v_and_b32_e32 v13, 0xff00, v7
	;; [unrolled: 1-line block ×3, first 2 shown]
	s_waitcnt vmcnt(0)
	v_and_b32_e32 v15, 0xff, v6
	v_cndmask_b32_e64 v7, 0, 1.0, vcc_lo
	v_cmp_lt_u32_e32 vcc_lo, 0xffffff, v6
	v_and_b32_e32 v16, 0xff00, v6
	v_and_b32_e32 v17, 0xff0000, v6
	v_cndmask_b32_e64 v6, 0, 1.0, vcc_lo
	v_cmp_ne_u32_e32 vcc_lo, 0, v12
	v_cndmask_b32_e64 v12, 0, 1.0, vcc_lo
	v_cmp_ne_u32_e32 vcc_lo, 0, v13
	v_and_b32_e32 v8, 0xffff0000, v1
	v_cndmask_b32_e64 v13, 0, 1.0, vcc_lo
	v_cmp_ne_u32_e32 vcc_lo, 0, v14
	v_cndmask_b32_e64 v14, 0, 1.0, vcc_lo
	v_and_b32_e32 v11, 0xffff0000, v4
	v_lshlrev_b32_e32 v4, 16, v4
	v_lshlrev_b32_e32 v1, 16, v1
	v_cmp_ne_u32_e32 vcc_lo, 0, v15
	s_delay_alu instid0(VALU_DEP_2) | instskip(SKIP_2) | instid1(VALU_DEP_3)
	v_dual_mul_f32 v1, v1, v12 :: v_dual_mul_f32 v8, v8, v13
	v_mul_f32_e32 v7, v9, v7
	v_cndmask_b32_e64 v9, 0, 1.0, vcc_lo
	v_dual_mul_f32 v1, s9, v1 :: v_dual_and_b32 v10, 0xffff0000, v3
	s_delay_alu instid0(VALU_DEP_3) | instskip(SKIP_2) | instid1(VALU_DEP_3)
	v_dual_mul_f32 v8, s9, v8 :: v_dual_mul_f32 v7, s9, v7
	v_mul_f32_e32 v2, v2, v14
	v_dual_mul_f32 v6, v11, v6 :: v_dual_lshlrev_b32 v3, 16, v3
	v_bfe_u32 v13, v8, 16, 1
	v_bfe_u32 v12, v1, 16, 1
	s_delay_alu instid0(VALU_DEP_3) | instskip(NEXT) | instid1(VALU_DEP_3)
	v_dual_mul_f32 v6, s9, v6 :: v_dual_mul_f32 v3, v3, v9
	v_add3_u32 v13, v8, v13, 0x7fff
	s_delay_alu instid0(VALU_DEP_3) | instskip(NEXT) | instid1(VALU_DEP_3)
	v_add3_u32 v12, v1, v12, 0x7fff
	v_bfe_u32 v11, v6, 16, 1
	s_delay_alu instid0(VALU_DEP_4)
	v_mul_f32_e32 v3, s9, v3
	v_cmp_ne_u32_e32 vcc_lo, 0, v16
	v_and_b32_e32 v13, 0xffff0000, v13
	v_lshrrev_b32_e32 v12, 16, v12
	v_add3_u32 v11, v6, v11, 0x7fff
	v_mul_f32_e32 v2, s9, v2
	v_cndmask_b32_e64 v15, 0, 1.0, vcc_lo
	v_cmp_ne_u32_e32 vcc_lo, 0, v17
	s_delay_alu instid0(VALU_DEP_4) | instskip(NEXT) | instid1(VALU_DEP_4)
	v_and_b32_e32 v11, 0xffff0000, v11
	v_bfe_u32 v14, v2, 16, 1
	s_delay_alu instid0(VALU_DEP_4)
	v_mul_f32_e32 v9, v10, v15
	v_bfe_u32 v10, v7, 16, 1
	v_cndmask_b32_e64 v16, 0, 1.0, vcc_lo
	v_cmp_o_f32_e32 vcc_lo, v7, v7
	v_bfe_u32 v15, v3, 16, 1
	v_mul_f32_e32 v9, s9, v9
	v_add3_u32 v10, v7, v10, 0x7fff
	v_mul_f32_e32 v4, v4, v16
	v_add3_u32 v14, v2, v14, 0x7fff
	v_add3_u32 v15, v3, v15, 0x7fff
	v_bfe_u32 v16, v9, 16, 1
	v_and_b32_e32 v10, 0xffff0000, v10
	v_mul_f32_e32 v4, s9, v4
	v_lshrrev_b32_e32 v14, 16, v14
	v_lshrrev_b32_e32 v15, 16, v15
	v_add3_u32 v16, v9, v16, 0x7fff
	v_cndmask_b32_e32 v7, 0x7fc00000, v10, vcc_lo
	v_cmp_o_f32_e32 vcc_lo, v6, v6
	v_bfe_u32 v17, v4, 16, 1
	s_delay_alu instid0(VALU_DEP_4) | instskip(SKIP_2) | instid1(VALU_DEP_4)
	v_and_b32_e32 v16, 0xffff0000, v16
	v_cndmask_b32_e32 v6, 0x7fc00000, v11, vcc_lo
	v_cmp_o_f32_e32 vcc_lo, v8, v8
	v_add3_u32 v17, v4, v17, 0x7fff
	v_cndmask_b32_e32 v8, 0x7fc00000, v13, vcc_lo
	v_cmp_o_f32_e32 vcc_lo, v1, v1
	s_delay_alu instid0(VALU_DEP_3) | instskip(SKIP_2) | instid1(VALU_DEP_2)
	v_lshrrev_b32_e32 v17, 16, v17
	v_cndmask_b32_e32 v1, 0x7fc0, v12, vcc_lo
	v_cmp_o_f32_e32 vcc_lo, v9, v9
	v_or_b32_e32 v1, v8, v1
	v_cndmask_b32_e32 v9, 0x7fc00000, v16, vcc_lo
	v_cmp_o_f32_e32 vcc_lo, v3, v3
	s_delay_alu instid0(VALU_DEP_3) | instskip(SKIP_2) | instid1(VALU_DEP_2)
	v_or3_b32 v1, v1, 0, 0
	v_cndmask_b32_e32 v3, 0x7fc0, v15, vcc_lo
	v_cmp_o_f32_e32 vcc_lo, v2, v2
	v_or_b32_e32 v3, v9, v3
	v_cndmask_b32_e32 v2, 0x7fc0, v14, vcc_lo
	v_cmp_o_f32_e32 vcc_lo, v4, v4
	s_delay_alu instid0(VALU_DEP_3) | instskip(NEXT) | instid1(VALU_DEP_3)
	v_or3_b32 v3, v3, 0, 0
	v_or3_b32 v2, 0, v7, v2
	v_cndmask_b32_e32 v4, 0x7fc0, v17, vcc_lo
	s_delay_alu instid0(VALU_DEP_1)
	v_or3_b32 v4, 0, v6, v4
	s_clause 0x1
	global_store_b64 v5, v[1:2], s[12:13]
	global_store_b64 v5, v[3:4], s[12:13] offset:2048
.LBB138_2:
	s_and_not1_b32 vcc_lo, exec_lo, s0
	s_cbranch_vccnz .LBB138_41
; %bb.3:
	v_cmp_gt_i32_e32 vcc_lo, s8, v0
	v_mov_b32_e32 v4, 0
	v_or_b32_e32 v1, s2, v0
	v_or_b32_e32 v3, 0x100, v0
	v_mov_b32_e32 v2, 0
	v_mov_b32_e32 v6, v0
	s_mov_b32 s1, 0
	s_mov_b32 s3, 0
	s_and_saveexec_b32 s12, vcc_lo
	s_cbranch_execz .LBB138_5
; %bb.4:
	v_mov_b32_e32 v2, 0
	global_load_u8 v7, v1, s[10:11]
	v_lshlrev_b64 v[5:6], 1, v[1:2]
	s_delay_alu instid0(VALU_DEP_1) | instskip(NEXT) | instid1(VALU_DEP_1)
	v_add_co_u32 v5, s0, s6, v5
	v_add_co_ci_u32_e64 v6, s0, s7, v6, s0
	global_load_u16 v2, v[5:6], off
	v_or_b32_e32 v6, 0x100, v0
	s_waitcnt vmcnt(1)
	v_cmp_ne_u16_e64 s0, 0, v7
	s_delay_alu instid0(VALU_DEP_1)
	s_and_b32 s3, s0, exec_lo
.LBB138_5:
	s_or_b32 exec_lo, exec_lo, s12
	s_delay_alu instid0(SALU_CYCLE_1)
	s_mov_b32 s12, exec_lo
	v_cmpx_gt_i32_e64 s8, v6
	s_cbranch_execz .LBB138_7
; %bb.6:
	v_dual_mov_b32 v5, 0 :: v_dual_add_nc_u32 v4, s2, v6
	v_add_nc_u32_e32 v6, 0x100, v6
	global_load_u8 v9, v4, s[10:11]
	v_lshlrev_b64 v[7:8], 1, v[4:5]
	s_delay_alu instid0(VALU_DEP_1) | instskip(NEXT) | instid1(VALU_DEP_1)
	v_add_co_u32 v4, s0, s6, v7
	v_add_co_ci_u32_e64 v5, s0, s7, v8, s0
	global_load_u16 v4, v[4:5], off
	s_waitcnt vmcnt(1)
	v_cmp_ne_u16_e64 s0, 0, v9
	s_delay_alu instid0(VALU_DEP_1)
	s_and_b32 s1, s0, exec_lo
.LBB138_7:
	s_or_b32 exec_lo, exec_lo, s12
	v_mov_b32_e32 v5, 0
	v_mov_b32_e32 v7, 0
	s_mov_b32 s12, 0
	s_mov_b32 s13, 0
	s_mov_b32 s14, exec_lo
	v_cmpx_gt_i32_e64 s8, v6
	s_cbranch_execz .LBB138_9
; %bb.8:
	v_dual_mov_b32 v8, 0 :: v_dual_add_nc_u32 v7, s2, v6
	v_add_nc_u32_e32 v6, 0x100, v6
	global_load_u8 v10, v7, s[10:11]
	v_lshlrev_b64 v[8:9], 1, v[7:8]
	s_delay_alu instid0(VALU_DEP_1) | instskip(NEXT) | instid1(VALU_DEP_1)
	v_add_co_u32 v7, s0, s6, v8
	v_add_co_ci_u32_e64 v8, s0, s7, v9, s0
	global_load_u16 v7, v[7:8], off
	s_waitcnt vmcnt(1)
	v_cmp_ne_u16_e64 s0, 0, v10
	s_delay_alu instid0(VALU_DEP_1)
	s_and_b32 s13, s0, exec_lo
.LBB138_9:
	s_or_b32 exec_lo, exec_lo, s14
	s_delay_alu instid0(SALU_CYCLE_1)
	s_mov_b32 s14, exec_lo
	v_cmpx_gt_i32_e64 s8, v6
	s_cbranch_execz .LBB138_11
; %bb.10:
	v_dual_mov_b32 v9, 0 :: v_dual_add_nc_u32 v8, s2, v6
	v_add_nc_u32_e32 v6, 0x100, v6
	global_load_u8 v11, v8, s[10:11]
	v_lshlrev_b64 v[9:10], 1, v[8:9]
	s_delay_alu instid0(VALU_DEP_1) | instskip(NEXT) | instid1(VALU_DEP_1)
	v_add_co_u32 v8, s0, s6, v9
	v_add_co_ci_u32_e64 v9, s0, s7, v10, s0
	global_load_u16 v5, v[8:9], off
	s_waitcnt vmcnt(1)
	v_cmp_ne_u16_e64 s0, 0, v11
	s_delay_alu instid0(VALU_DEP_1)
	s_and_b32 s12, s0, exec_lo
.LBB138_11:
	s_or_b32 exec_lo, exec_lo, s14
	v_dual_mov_b32 v8, 0 :: v_dual_mov_b32 v9, 0
	s_mov_b32 s14, 0
	s_mov_b32 s15, 0
	s_mov_b32 s16, exec_lo
	v_cmpx_gt_i32_e64 s8, v6
	s_cbranch_execz .LBB138_13
; %bb.12:
	v_dual_mov_b32 v10, 0 :: v_dual_add_nc_u32 v9, s2, v6
	v_add_nc_u32_e32 v6, 0x100, v6
	global_load_u8 v12, v9, s[10:11]
	v_lshlrev_b64 v[10:11], 1, v[9:10]
	s_delay_alu instid0(VALU_DEP_1) | instskip(NEXT) | instid1(VALU_DEP_1)
	v_add_co_u32 v9, s0, s6, v10
	v_add_co_ci_u32_e64 v10, s0, s7, v11, s0
	global_load_u16 v9, v[9:10], off
	s_waitcnt vmcnt(1)
	v_cmp_ne_u16_e64 s0, 0, v12
	s_delay_alu instid0(VALU_DEP_1)
	s_and_b32 s15, s0, exec_lo
.LBB138_13:
	s_or_b32 exec_lo, exec_lo, s16
	s_delay_alu instid0(SALU_CYCLE_1)
	s_mov_b32 s16, exec_lo
	v_cmpx_gt_i32_e64 s8, v6
	s_cbranch_execz .LBB138_15
; %bb.14:
	v_dual_mov_b32 v11, 0 :: v_dual_add_nc_u32 v10, s2, v6
	v_add_nc_u32_e32 v6, 0x100, v6
	global_load_u8 v13, v10, s[10:11]
	v_lshlrev_b64 v[11:12], 1, v[10:11]
	s_delay_alu instid0(VALU_DEP_1) | instskip(NEXT) | instid1(VALU_DEP_1)
	v_add_co_u32 v10, s0, s6, v11
	v_add_co_ci_u32_e64 v11, s0, s7, v12, s0
	global_load_u16 v8, v[10:11], off
	s_waitcnt vmcnt(1)
	v_cmp_ne_u16_e64 s0, 0, v13
	s_delay_alu instid0(VALU_DEP_1)
	s_and_b32 s14, s0, exec_lo
.LBB138_15:
	s_or_b32 exec_lo, exec_lo, s16
	v_dual_mov_b32 v10, 0 :: v_dual_mov_b32 v11, 0
	s_mov_b32 s16, 0
	s_mov_b32 s17, 0
	s_mov_b32 s18, exec_lo
	v_cmpx_gt_i32_e64 s8, v6
	s_cbranch_execz .LBB138_42
; %bb.16:
	v_dual_mov_b32 v12, 0 :: v_dual_add_nc_u32 v11, s2, v6
	v_add_nc_u32_e32 v6, 0x100, v6
	global_load_u8 v14, v11, s[10:11]
	v_lshlrev_b64 v[12:13], 1, v[11:12]
	s_delay_alu instid0(VALU_DEP_1) | instskip(NEXT) | instid1(VALU_DEP_1)
	v_add_co_u32 v11, s0, s6, v12
	v_add_co_ci_u32_e64 v12, s0, s7, v13, s0
	global_load_u16 v11, v[11:12], off
	s_waitcnt vmcnt(1)
	v_cmp_ne_u16_e64 s0, 0, v14
	s_delay_alu instid0(VALU_DEP_1) | instskip(SKIP_1) | instid1(SALU_CYCLE_1)
	s_and_b32 s17, s0, exec_lo
	s_or_b32 exec_lo, exec_lo, s18
	s_mov_b32 s18, exec_lo
	v_cmpx_gt_i32_e64 s8, v6
	s_cbranch_execnz .LBB138_43
.LBB138_17:
	s_or_b32 exec_lo, exec_lo, s18
                                        ; implicit-def: $vgpr15
	s_and_saveexec_b32 s6, vcc_lo
	s_cbranch_execz .LBB138_19
.LBB138_18:
	v_cndmask_b32_e64 v6, 0, 1.0, s3
	s_waitcnt vmcnt(0)
	v_lshlrev_b32_e32 v2, 16, v2
	s_delay_alu instid0(VALU_DEP_1) | instskip(NEXT) | instid1(VALU_DEP_1)
	v_mul_f32_e32 v2, v6, v2
	v_mul_f32_e32 v2, s9, v2
	s_delay_alu instid0(VALU_DEP_1) | instskip(SKIP_1) | instid1(VALU_DEP_2)
	v_bfe_u32 v6, v2, 16, 1
	v_cmp_o_f32_e64 s0, v2, v2
	v_add3_u32 v6, v2, v6, 0x7fff
	s_delay_alu instid0(VALU_DEP_1) | instskip(NEXT) | instid1(VALU_DEP_1)
	v_lshrrev_b32_e32 v6, 16, v6
	v_cndmask_b32_e64 v15, 0x7fc0, v6, s0
.LBB138_19:
	s_or_b32 exec_lo, exec_lo, s6
	s_delay_alu instid0(SALU_CYCLE_1)
	s_mov_b32 s3, exec_lo
                                        ; implicit-def: $vgpr14
	v_cmpx_gt_i32_e64 s8, v3
	s_cbranch_execz .LBB138_21
; %bb.20:
	s_waitcnt vmcnt(0)
	v_cndmask_b32_e64 v2, 0, 1.0, s1
	v_lshlrev_b32_e32 v4, 16, v4
	s_delay_alu instid0(VALU_DEP_1) | instskip(NEXT) | instid1(VALU_DEP_1)
	v_mul_f32_e32 v2, v2, v4
	v_mul_f32_e32 v2, s9, v2
	s_delay_alu instid0(VALU_DEP_1) | instskip(SKIP_1) | instid1(VALU_DEP_2)
	v_bfe_u32 v4, v2, 16, 1
	v_cmp_o_f32_e64 s0, v2, v2
	v_add3_u32 v4, v2, v4, 0x7fff
	s_delay_alu instid0(VALU_DEP_1) | instskip(NEXT) | instid1(VALU_DEP_1)
	v_lshrrev_b32_e32 v4, 16, v4
	v_cndmask_b32_e64 v14, 0x7fc0, v4, s0
.LBB138_21:
	s_or_b32 exec_lo, exec_lo, s3
	s_waitcnt vmcnt(0)
	v_or_b32_e32 v2, 0x200, v0
	s_mov_b32 s1, exec_lo
                                        ; implicit-def: $vgpr13
	s_delay_alu instid0(VALU_DEP_1)
	v_cmpx_gt_i32_e64 s8, v2
; %bb.22:
	v_cndmask_b32_e64 v2, 0, 1.0, s13
	v_lshlrev_b32_e32 v4, 16, v7
	s_delay_alu instid0(VALU_DEP_1) | instskip(NEXT) | instid1(VALU_DEP_1)
	v_mul_f32_e32 v2, v2, v4
	v_mul_f32_e32 v2, s9, v2
	s_delay_alu instid0(VALU_DEP_1) | instskip(SKIP_1) | instid1(VALU_DEP_2)
	v_bfe_u32 v4, v2, 16, 1
	v_cmp_o_f32_e64 s0, v2, v2
	v_add3_u32 v4, v2, v4, 0x7fff
	s_delay_alu instid0(VALU_DEP_1) | instskip(NEXT) | instid1(VALU_DEP_1)
	v_lshrrev_b32_e32 v4, 16, v4
	v_cndmask_b32_e64 v13, 0x7fc0, v4, s0
; %bb.23:
	s_or_b32 exec_lo, exec_lo, s1
	v_or_b32_e32 v2, 0x300, v0
	s_mov_b32 s1, exec_lo
                                        ; implicit-def: $vgpr12
	s_delay_alu instid0(VALU_DEP_1)
	v_cmpx_gt_i32_e64 s8, v2
; %bb.24:
	v_cndmask_b32_e64 v2, 0, 1.0, s12
	v_lshlrev_b32_e32 v4, 16, v5
	s_delay_alu instid0(VALU_DEP_1) | instskip(NEXT) | instid1(VALU_DEP_1)
	v_mul_f32_e32 v2, v2, v4
	v_mul_f32_e32 v2, s9, v2
	s_delay_alu instid0(VALU_DEP_1) | instskip(SKIP_1) | instid1(VALU_DEP_2)
	v_bfe_u32 v4, v2, 16, 1
	v_cmp_o_f32_e64 s0, v2, v2
	v_add3_u32 v4, v2, v4, 0x7fff
	s_delay_alu instid0(VALU_DEP_1) | instskip(NEXT) | instid1(VALU_DEP_1)
	v_lshrrev_b32_e32 v4, 16, v4
	v_cndmask_b32_e64 v12, 0x7fc0, v4, s0
; %bb.25:
	s_or_b32 exec_lo, exec_lo, s1
	v_or_b32_e32 v2, 0x400, v0
	s_mov_b32 s1, exec_lo
                                        ; implicit-def: $vgpr7
	s_delay_alu instid0(VALU_DEP_1)
	v_cmpx_gt_i32_e64 s8, v2
; %bb.26:
	v_cndmask_b32_e64 v2, 0, 1.0, s15
	v_lshlrev_b32_e32 v4, 16, v9
	s_delay_alu instid0(VALU_DEP_1) | instskip(NEXT) | instid1(VALU_DEP_1)
	v_mul_f32_e32 v2, v2, v4
	v_mul_f32_e32 v2, s9, v2
	s_delay_alu instid0(VALU_DEP_1) | instskip(SKIP_1) | instid1(VALU_DEP_2)
	v_bfe_u32 v4, v2, 16, 1
	v_cmp_o_f32_e64 s0, v2, v2
	v_add3_u32 v4, v2, v4, 0x7fff
	s_delay_alu instid0(VALU_DEP_1) | instskip(NEXT) | instid1(VALU_DEP_1)
	v_lshrrev_b32_e32 v4, 16, v4
	v_cndmask_b32_e64 v7, 0x7fc0, v4, s0
; %bb.27:
	s_or_b32 exec_lo, exec_lo, s1
	v_or_b32_e32 v2, 0x500, v0
	s_mov_b32 s1, exec_lo
                                        ; implicit-def: $vgpr5
	s_delay_alu instid0(VALU_DEP_1)
	v_cmpx_gt_i32_e64 s8, v2
; %bb.28:
	v_cndmask_b32_e64 v2, 0, 1.0, s14
	v_lshlrev_b32_e32 v4, 16, v8
	s_delay_alu instid0(VALU_DEP_1) | instskip(NEXT) | instid1(VALU_DEP_1)
	v_mul_f32_e32 v2, v2, v4
	v_mul_f32_e32 v2, s9, v2
	s_delay_alu instid0(VALU_DEP_1) | instskip(SKIP_1) | instid1(VALU_DEP_2)
	v_bfe_u32 v4, v2, 16, 1
	v_cmp_o_f32_e64 s0, v2, v2
	v_add3_u32 v4, v2, v4, 0x7fff
	s_delay_alu instid0(VALU_DEP_1) | instskip(NEXT) | instid1(VALU_DEP_1)
	v_lshrrev_b32_e32 v4, 16, v4
	v_cndmask_b32_e64 v5, 0x7fc0, v4, s0
; %bb.29:
	s_or_b32 exec_lo, exec_lo, s1
	v_or_b32_e32 v2, 0x600, v0
	s_mov_b32 s1, exec_lo
                                        ; implicit-def: $vgpr4
	s_delay_alu instid0(VALU_DEP_1)
	v_cmpx_gt_i32_e64 s8, v2
; %bb.30:
	v_cndmask_b32_e64 v2, 0, 1.0, s17
	v_lshlrev_b32_e32 v4, 16, v11
	s_delay_alu instid0(VALU_DEP_1) | instskip(NEXT) | instid1(VALU_DEP_1)
	v_mul_f32_e32 v2, v2, v4
	v_mul_f32_e32 v2, s9, v2
	s_delay_alu instid0(VALU_DEP_1) | instskip(SKIP_1) | instid1(VALU_DEP_2)
	v_bfe_u32 v4, v2, 16, 1
	v_cmp_o_f32_e64 s0, v2, v2
	v_add3_u32 v4, v2, v4, 0x7fff
	s_delay_alu instid0(VALU_DEP_1) | instskip(NEXT) | instid1(VALU_DEP_1)
	v_lshrrev_b32_e32 v4, 16, v4
	v_cndmask_b32_e64 v4, 0x7fc0, v4, s0
; %bb.31:
	s_or_b32 exec_lo, exec_lo, s1
	v_or_b32_e32 v2, 0x700, v0
	s_mov_b32 s1, exec_lo
                                        ; implicit-def: $vgpr6
	s_delay_alu instid0(VALU_DEP_1)
	v_cmpx_gt_i32_e64 s8, v2
	s_cbranch_execz .LBB138_44
; %bb.32:
	v_cndmask_b32_e64 v2, 0, 1.0, s16
	v_lshlrev_b32_e32 v6, 16, v10
	s_delay_alu instid0(VALU_DEP_1) | instskip(NEXT) | instid1(VALU_DEP_1)
	v_mul_f32_e32 v2, v2, v6
	v_mul_f32_e32 v2, s9, v2
	s_delay_alu instid0(VALU_DEP_1) | instskip(SKIP_1) | instid1(VALU_DEP_2)
	v_bfe_u32 v6, v2, 16, 1
	v_cmp_o_f32_e64 s0, v2, v2
	v_add3_u32 v6, v2, v6, 0x7fff
	s_delay_alu instid0(VALU_DEP_1) | instskip(NEXT) | instid1(VALU_DEP_1)
	v_lshrrev_b32_e32 v6, 16, v6
	v_cndmask_b32_e64 v6, 0x7fc0, v6, s0
	s_or_b32 exec_lo, exec_lo, s1
	s_and_saveexec_b32 s0, vcc_lo
	s_delay_alu instid0(SALU_CYCLE_1)
	s_xor_b32 s0, exec_lo, s0
	s_cbranch_execnz .LBB138_45
.LBB138_33:
	s_or_b32 exec_lo, exec_lo, s0
	s_delay_alu instid0(SALU_CYCLE_1)
	s_mov_b32 s0, exec_lo
	v_cmpx_gt_i32_e64 s8, v0
	s_cbranch_execz .LBB138_46
.LBB138_34:
	v_dual_mov_b32 v2, 0 :: v_dual_add_nc_u32 v1, s2, v0
	v_add_nc_u32_e32 v0, 0x100, v0
	s_delay_alu instid0(VALU_DEP_2) | instskip(NEXT) | instid1(VALU_DEP_1)
	v_lshlrev_b64 v[1:2], 1, v[1:2]
	v_add_co_u32 v1, vcc_lo, s4, v1
	s_delay_alu instid0(VALU_DEP_2) | instskip(SKIP_2) | instid1(SALU_CYCLE_1)
	v_add_co_ci_u32_e32 v2, vcc_lo, s5, v2, vcc_lo
	global_store_b16 v[1:2], v14, off
	s_or_b32 exec_lo, exec_lo, s0
	s_mov_b32 s0, exec_lo
	v_cmpx_gt_i32_e64 s8, v0
	s_cbranch_execnz .LBB138_47
.LBB138_35:
	s_or_b32 exec_lo, exec_lo, s0
	s_delay_alu instid0(SALU_CYCLE_1)
	s_mov_b32 s0, exec_lo
	v_cmpx_gt_i32_e64 s8, v0
	s_cbranch_execz .LBB138_48
.LBB138_36:
	v_dual_mov_b32 v2, 0 :: v_dual_add_nc_u32 v1, s2, v0
	v_add_nc_u32_e32 v0, 0x100, v0
	s_delay_alu instid0(VALU_DEP_2) | instskip(NEXT) | instid1(VALU_DEP_1)
	v_lshlrev_b64 v[1:2], 1, v[1:2]
	v_add_co_u32 v1, vcc_lo, s4, v1
	s_delay_alu instid0(VALU_DEP_2) | instskip(SKIP_2) | instid1(SALU_CYCLE_1)
	v_add_co_ci_u32_e32 v2, vcc_lo, s5, v2, vcc_lo
	global_store_b16 v[1:2], v12, off
	s_or_b32 exec_lo, exec_lo, s0
	s_mov_b32 s0, exec_lo
	v_cmpx_gt_i32_e64 s8, v0
	s_cbranch_execnz .LBB138_49
.LBB138_37:
	s_or_b32 exec_lo, exec_lo, s0
	s_delay_alu instid0(SALU_CYCLE_1)
	s_mov_b32 s0, exec_lo
	v_cmpx_gt_i32_e64 s8, v0
	s_cbranch_execz .LBB138_50
.LBB138_38:
	v_dual_mov_b32 v2, 0 :: v_dual_add_nc_u32 v1, s2, v0
	v_add_nc_u32_e32 v0, 0x100, v0
	s_delay_alu instid0(VALU_DEP_2) | instskip(NEXT) | instid1(VALU_DEP_1)
	v_lshlrev_b64 v[1:2], 1, v[1:2]
	v_add_co_u32 v1, vcc_lo, s4, v1
	s_delay_alu instid0(VALU_DEP_2) | instskip(SKIP_2) | instid1(SALU_CYCLE_1)
	v_add_co_ci_u32_e32 v2, vcc_lo, s5, v2, vcc_lo
	global_store_b16 v[1:2], v5, off
	s_or_b32 exec_lo, exec_lo, s0
	s_mov_b32 s0, exec_lo
	v_cmpx_gt_i32_e64 s8, v0
	s_cbranch_execnz .LBB138_51
.LBB138_39:
	s_or_b32 exec_lo, exec_lo, s0
	s_delay_alu instid0(SALU_CYCLE_1)
	s_mov_b32 s0, exec_lo
	v_cmpx_gt_i32_e64 s8, v0
	s_cbranch_execz .LBB138_41
.LBB138_40:
	v_dual_mov_b32 v1, 0 :: v_dual_add_nc_u32 v0, s2, v0
	s_delay_alu instid0(VALU_DEP_1) | instskip(NEXT) | instid1(VALU_DEP_1)
	v_lshlrev_b64 v[0:1], 1, v[0:1]
	v_add_co_u32 v0, vcc_lo, s4, v0
	s_delay_alu instid0(VALU_DEP_2)
	v_add_co_ci_u32_e32 v1, vcc_lo, s5, v1, vcc_lo
	global_store_b16 v[0:1], v6, off
.LBB138_41:
	s_nop 0
	s_sendmsg sendmsg(MSG_DEALLOC_VGPRS)
	s_endpgm
.LBB138_42:
	s_or_b32 exec_lo, exec_lo, s18
	s_delay_alu instid0(SALU_CYCLE_1)
	s_mov_b32 s18, exec_lo
	v_cmpx_gt_i32_e64 s8, v6
	s_cbranch_execz .LBB138_17
.LBB138_43:
	v_dual_mov_b32 v13, 0 :: v_dual_add_nc_u32 v12, s2, v6
	global_load_u8 v6, v12, s[10:11]
	v_lshlrev_b64 v[13:14], 1, v[12:13]
	s_delay_alu instid0(VALU_DEP_1) | instskip(NEXT) | instid1(VALU_DEP_1)
	v_add_co_u32 v12, s0, s6, v13
	v_add_co_ci_u32_e64 v13, s0, s7, v14, s0
	global_load_u16 v10, v[12:13], off
	s_waitcnt vmcnt(1)
	v_cmp_ne_u16_e64 s0, 0, v6
	s_delay_alu instid0(VALU_DEP_1)
	s_and_b32 s16, s0, exec_lo
	s_or_b32 exec_lo, exec_lo, s18
                                        ; implicit-def: $vgpr15
	s_and_saveexec_b32 s6, vcc_lo
	s_cbranch_execz .LBB138_19
	s_branch .LBB138_18
.LBB138_44:
	s_or_b32 exec_lo, exec_lo, s1
	s_and_saveexec_b32 s0, vcc_lo
	s_delay_alu instid0(SALU_CYCLE_1)
	s_xor_b32 s0, exec_lo, s0
	s_cbranch_execz .LBB138_33
.LBB138_45:
	v_mov_b32_e32 v2, 0
	s_delay_alu instid0(VALU_DEP_1) | instskip(NEXT) | instid1(VALU_DEP_1)
	v_lshlrev_b64 v[0:1], 1, v[1:2]
	v_add_co_u32 v8, vcc_lo, s4, v0
	s_delay_alu instid0(VALU_DEP_2) | instskip(SKIP_3) | instid1(SALU_CYCLE_1)
	v_add_co_ci_u32_e32 v9, vcc_lo, s5, v1, vcc_lo
	v_mov_b32_e32 v0, v3
	global_store_b16 v[8:9], v15, off
	s_or_b32 exec_lo, exec_lo, s0
	s_mov_b32 s0, exec_lo
	v_cmpx_gt_i32_e64 s8, v0
	s_cbranch_execnz .LBB138_34
.LBB138_46:
	s_or_b32 exec_lo, exec_lo, s0
	s_delay_alu instid0(SALU_CYCLE_1)
	s_mov_b32 s0, exec_lo
	v_cmpx_gt_i32_e64 s8, v0
	s_cbranch_execz .LBB138_35
.LBB138_47:
	v_dual_mov_b32 v2, 0 :: v_dual_add_nc_u32 v1, s2, v0
	v_add_nc_u32_e32 v0, 0x100, v0
	s_delay_alu instid0(VALU_DEP_2) | instskip(NEXT) | instid1(VALU_DEP_1)
	v_lshlrev_b64 v[1:2], 1, v[1:2]
	v_add_co_u32 v1, vcc_lo, s4, v1
	s_delay_alu instid0(VALU_DEP_2) | instskip(SKIP_2) | instid1(SALU_CYCLE_1)
	v_add_co_ci_u32_e32 v2, vcc_lo, s5, v2, vcc_lo
	global_store_b16 v[1:2], v13, off
	s_or_b32 exec_lo, exec_lo, s0
	s_mov_b32 s0, exec_lo
	v_cmpx_gt_i32_e64 s8, v0
	s_cbranch_execnz .LBB138_36
.LBB138_48:
	s_or_b32 exec_lo, exec_lo, s0
	s_delay_alu instid0(SALU_CYCLE_1)
	s_mov_b32 s0, exec_lo
	v_cmpx_gt_i32_e64 s8, v0
	s_cbranch_execz .LBB138_37
.LBB138_49:
	v_dual_mov_b32 v2, 0 :: v_dual_add_nc_u32 v1, s2, v0
	v_add_nc_u32_e32 v0, 0x100, v0
	s_delay_alu instid0(VALU_DEP_2) | instskip(NEXT) | instid1(VALU_DEP_1)
	v_lshlrev_b64 v[1:2], 1, v[1:2]
	v_add_co_u32 v1, vcc_lo, s4, v1
	s_delay_alu instid0(VALU_DEP_2) | instskip(SKIP_2) | instid1(SALU_CYCLE_1)
	v_add_co_ci_u32_e32 v2, vcc_lo, s5, v2, vcc_lo
	global_store_b16 v[1:2], v7, off
	s_or_b32 exec_lo, exec_lo, s0
	s_mov_b32 s0, exec_lo
	v_cmpx_gt_i32_e64 s8, v0
	s_cbranch_execnz .LBB138_38
.LBB138_50:
	s_or_b32 exec_lo, exec_lo, s0
	s_delay_alu instid0(SALU_CYCLE_1)
	s_mov_b32 s0, exec_lo
	v_cmpx_gt_i32_e64 s8, v0
	s_cbranch_execz .LBB138_39
.LBB138_51:
	v_dual_mov_b32 v2, 0 :: v_dual_add_nc_u32 v1, s2, v0
	v_add_nc_u32_e32 v0, 0x100, v0
	s_delay_alu instid0(VALU_DEP_2) | instskip(NEXT) | instid1(VALU_DEP_1)
	v_lshlrev_b64 v[1:2], 1, v[1:2]
	v_add_co_u32 v1, vcc_lo, s4, v1
	s_delay_alu instid0(VALU_DEP_2) | instskip(SKIP_2) | instid1(SALU_CYCLE_1)
	v_add_co_ci_u32_e32 v2, vcc_lo, s5, v2, vcc_lo
	global_store_b16 v[1:2], v4, off
	s_or_b32 exec_lo, exec_lo, s0
	s_mov_b32 s0, exec_lo
	v_cmpx_gt_i32_e64 s8, v0
	s_cbranch_execnz .LBB138_40
	s_branch .LBB138_41
	.section	.rodata,"a",@progbits
	.p2align	6, 0x0
	.amdhsa_kernel _ZN2at6native29vectorized_elementwise_kernelILi4EZNS0_12_GLOBAL__N_119masked_scale_kernelIbN3c108BFloat16EfEEvRNS_6TensorERKS6_S9_T1_EUlS5_bE_St5arrayIPcLm3EEEEviT0_SA_
		.amdhsa_group_segment_fixed_size 0
		.amdhsa_private_segment_fixed_size 0
		.amdhsa_kernarg_size 32
		.amdhsa_user_sgpr_count 15
		.amdhsa_user_sgpr_dispatch_ptr 0
		.amdhsa_user_sgpr_queue_ptr 0
		.amdhsa_user_sgpr_kernarg_segment_ptr 1
		.amdhsa_user_sgpr_dispatch_id 0
		.amdhsa_user_sgpr_private_segment_size 0
		.amdhsa_wavefront_size32 1
		.amdhsa_uses_dynamic_stack 0
		.amdhsa_enable_private_segment 0
		.amdhsa_system_sgpr_workgroup_id_x 1
		.amdhsa_system_sgpr_workgroup_id_y 0
		.amdhsa_system_sgpr_workgroup_id_z 0
		.amdhsa_system_sgpr_workgroup_info 0
		.amdhsa_system_vgpr_workitem_id 0
		.amdhsa_next_free_vgpr 18
		.amdhsa_next_free_sgpr 19
		.amdhsa_reserve_vcc 1
		.amdhsa_float_round_mode_32 0
		.amdhsa_float_round_mode_16_64 0
		.amdhsa_float_denorm_mode_32 3
		.amdhsa_float_denorm_mode_16_64 3
		.amdhsa_dx10_clamp 1
		.amdhsa_ieee_mode 1
		.amdhsa_fp16_overflow 0
		.amdhsa_workgroup_processor_mode 1
		.amdhsa_memory_ordered 1
		.amdhsa_forward_progress 0
		.amdhsa_shared_vgpr_count 0
		.amdhsa_exception_fp_ieee_invalid_op 0
		.amdhsa_exception_fp_denorm_src 0
		.amdhsa_exception_fp_ieee_div_zero 0
		.amdhsa_exception_fp_ieee_overflow 0
		.amdhsa_exception_fp_ieee_underflow 0
		.amdhsa_exception_fp_ieee_inexact 0
		.amdhsa_exception_int_div_zero 0
	.end_amdhsa_kernel
	.section	.text._ZN2at6native29vectorized_elementwise_kernelILi4EZNS0_12_GLOBAL__N_119masked_scale_kernelIbN3c108BFloat16EfEEvRNS_6TensorERKS6_S9_T1_EUlS5_bE_St5arrayIPcLm3EEEEviT0_SA_,"axG",@progbits,_ZN2at6native29vectorized_elementwise_kernelILi4EZNS0_12_GLOBAL__N_119masked_scale_kernelIbN3c108BFloat16EfEEvRNS_6TensorERKS6_S9_T1_EUlS5_bE_St5arrayIPcLm3EEEEviT0_SA_,comdat
.Lfunc_end138:
	.size	_ZN2at6native29vectorized_elementwise_kernelILi4EZNS0_12_GLOBAL__N_119masked_scale_kernelIbN3c108BFloat16EfEEvRNS_6TensorERKS6_S9_T1_EUlS5_bE_St5arrayIPcLm3EEEEviT0_SA_, .Lfunc_end138-_ZN2at6native29vectorized_elementwise_kernelILi4EZNS0_12_GLOBAL__N_119masked_scale_kernelIbN3c108BFloat16EfEEvRNS_6TensorERKS6_S9_T1_EUlS5_bE_St5arrayIPcLm3EEEEviT0_SA_
                                        ; -- End function
	.section	.AMDGPU.csdata,"",@progbits
; Kernel info:
; codeLenInByte = 3344
; NumSgprs: 21
; NumVgprs: 18
; ScratchSize: 0
; MemoryBound: 0
; FloatMode: 240
; IeeeMode: 1
; LDSByteSize: 0 bytes/workgroup (compile time only)
; SGPRBlocks: 2
; VGPRBlocks: 2
; NumSGPRsForWavesPerEU: 21
; NumVGPRsForWavesPerEU: 18
; Occupancy: 16
; WaveLimiterHint : 1
; COMPUTE_PGM_RSRC2:SCRATCH_EN: 0
; COMPUTE_PGM_RSRC2:USER_SGPR: 15
; COMPUTE_PGM_RSRC2:TRAP_HANDLER: 0
; COMPUTE_PGM_RSRC2:TGID_X_EN: 1
; COMPUTE_PGM_RSRC2:TGID_Y_EN: 0
; COMPUTE_PGM_RSRC2:TGID_Z_EN: 0
; COMPUTE_PGM_RSRC2:TIDIG_COMP_CNT: 0
	.section	.text._ZN2at6native29vectorized_elementwise_kernelILi2EZNS0_12_GLOBAL__N_119masked_scale_kernelIbN3c108BFloat16EfEEvRNS_6TensorERKS6_S9_T1_EUlS5_bE_St5arrayIPcLm3EEEEviT0_SA_,"axG",@progbits,_ZN2at6native29vectorized_elementwise_kernelILi2EZNS0_12_GLOBAL__N_119masked_scale_kernelIbN3c108BFloat16EfEEvRNS_6TensorERKS6_S9_T1_EUlS5_bE_St5arrayIPcLm3EEEEviT0_SA_,comdat
	.globl	_ZN2at6native29vectorized_elementwise_kernelILi2EZNS0_12_GLOBAL__N_119masked_scale_kernelIbN3c108BFloat16EfEEvRNS_6TensorERKS6_S9_T1_EUlS5_bE_St5arrayIPcLm3EEEEviT0_SA_ ; -- Begin function _ZN2at6native29vectorized_elementwise_kernelILi2EZNS0_12_GLOBAL__N_119masked_scale_kernelIbN3c108BFloat16EfEEvRNS_6TensorERKS6_S9_T1_EUlS5_bE_St5arrayIPcLm3EEEEviT0_SA_
	.p2align	8
	.type	_ZN2at6native29vectorized_elementwise_kernelILi2EZNS0_12_GLOBAL__N_119masked_scale_kernelIbN3c108BFloat16EfEEvRNS_6TensorERKS6_S9_T1_EUlS5_bE_St5arrayIPcLm3EEEEviT0_SA_,@function
_ZN2at6native29vectorized_elementwise_kernelILi2EZNS0_12_GLOBAL__N_119masked_scale_kernelIbN3c108BFloat16EfEEvRNS_6TensorERKS6_S9_T1_EUlS5_bE_St5arrayIPcLm3EEEEviT0_SA_: ; @_ZN2at6native29vectorized_elementwise_kernelILi2EZNS0_12_GLOBAL__N_119masked_scale_kernelIbN3c108BFloat16EfEEvRNS_6TensorERKS6_S9_T1_EUlS5_bE_St5arrayIPcLm3EEEEviT0_SA_
; %bb.0:
	s_clause 0x2
	s_load_b64 s[8:9], s[0:1], 0x0
	s_load_b128 s[4:7], s[0:1], 0x8
	s_load_b64 s[10:11], s[0:1], 0x18
	s_lshl_b32 s2, s15, 11
	s_mov_b32 s3, -1
	s_waitcnt lgkmcnt(0)
	s_sub_i32 s8, s8, s2
	s_delay_alu instid0(SALU_CYCLE_1)
	s_cmpk_gt_i32 s8, 0x7ff
	s_cbranch_scc0 .LBB139_2
; %bb.1:
	s_ashr_i32 s3, s2, 31
	v_lshlrev_b32_e32 v1, 2, v0
	s_lshl_b64 s[0:1], s[2:3], 1
	s_delay_alu instid0(SALU_CYCLE_1)
	s_add_u32 s12, s6, s0
	s_addc_u32 s13, s7, s1
	s_clause 0x3
	global_load_b32 v3, v1, s[12:13]
	global_load_b32 v4, v1, s[12:13] offset:1024
	global_load_b32 v5, v1, s[12:13] offset:2048
	;; [unrolled: 1-line block ×3, first 2 shown]
	s_add_u32 s12, s10, s2
	s_addc_u32 s13, s11, s3
	s_add_u32 s0, s4, s0
	s_addc_u32 s1, s5, s1
	s_mov_b32 s3, 0
	s_waitcnt vmcnt(1)
	v_and_b32_e32 v12, 0xffff0000, v5
	v_and_b32_e32 v10, 0xffff0000, v3
	v_lshlrev_b32_e32 v2, 1, v0
	v_lshlrev_b32_e32 v3, 16, v3
	s_clause 0x3
	global_load_u16 v7, v2, s[12:13]
	global_load_u16 v8, v2, s[12:13] offset:512
	global_load_u16 v9, v2, s[12:13] offset:1024
	;; [unrolled: 1-line block ×3, first 2 shown]
	s_waitcnt vmcnt(3)
	v_cmp_lt_u16_e32 vcc_lo, 0xff, v7
	v_and_b32_e32 v14, 0xff, v7
	s_waitcnt vmcnt(2)
	v_and_b32_e32 v15, 0xff, v8
	s_waitcnt vmcnt(1)
	;; [unrolled: 2-line block ×3, first 2 shown]
	v_and_b32_e32 v17, 0xff, v2
	v_cndmask_b32_e64 v7, 0, 1.0, vcc_lo
	v_cmp_lt_u16_e32 vcc_lo, 0xff, v8
	v_cndmask_b32_e64 v8, 0, 1.0, vcc_lo
	v_cmp_lt_u16_e32 vcc_lo, 0xff, v9
	;; [unrolled: 2-line block ×3, first 2 shown]
	v_cndmask_b32_e64 v2, 0, 1.0, vcc_lo
	v_cmp_ne_u16_e32 vcc_lo, 0, v14
	v_cndmask_b32_e64 v14, 0, 1.0, vcc_lo
	v_cmp_ne_u16_e32 vcc_lo, 0, v15
	s_delay_alu instid0(VALU_DEP_2)
	v_mul_f32_e32 v3, v3, v14
	v_mul_f32_e32 v9, v12, v9
	;; [unrolled: 1-line block ×3, first 2 shown]
	v_cndmask_b32_e64 v10, 0, 1.0, vcc_lo
	v_and_b32_e32 v11, 0xffff0000, v4
	v_dual_mul_f32 v3, s9, v3 :: v_dual_lshlrev_b32 v4, 16, v4
	s_delay_alu instid0(VALU_DEP_4) | instskip(SKIP_1) | instid1(VALU_DEP_3)
	v_mul_f32_e32 v7, s9, v7
	v_cmp_ne_u16_e32 vcc_lo, 0, v16
	v_dual_mul_f32 v9, s9, v9 :: v_dual_mul_f32 v4, v4, v10
	v_dual_mul_f32 v8, v11, v8 :: v_dual_and_b32 v13, 0xffff0000, v6
	v_cndmask_b32_e64 v11, 0, 1.0, vcc_lo
	v_lshlrev_b32_e32 v6, 16, v6
	s_delay_alu instid0(VALU_DEP_4)
	v_mul_f32_e32 v4, s9, v4
	v_cmp_ne_u16_e32 vcc_lo, 0, v17
	v_mul_f32_e32 v8, s9, v8
	v_bfe_u32 v10, v7, 16, 1
	v_mul_f32_e32 v2, v13, v2
	v_bfe_u32 v14, v3, 16, 1
	v_cndmask_b32_e64 v12, 0, 1.0, vcc_lo
	v_lshlrev_b32_e32 v5, 16, v5
	v_add3_u32 v10, v7, v10, 0x7fff
	v_mul_f32_e32 v2, s9, v2
	v_cmp_o_f32_e32 vcc_lo, v7, v7
	s_delay_alu instid0(VALU_DEP_4)
	v_dual_mul_f32 v6, v6, v12 :: v_dual_mul_f32 v5, v5, v11
	v_bfe_u32 v11, v8, 16, 1
	v_bfe_u32 v12, v9, 16, 1
	v_and_b32_e32 v10, 0xffff0000, v10
	v_bfe_u32 v13, v2, 16, 1
	v_dual_mul_f32 v5, s9, v5 :: v_dual_mul_f32 v6, s9, v6
	v_add3_u32 v11, v8, v11, 0x7fff
	v_add3_u32 v12, v9, v12, 0x7fff
	v_cndmask_b32_e32 v7, 0x7fc00000, v10, vcc_lo
	v_cmp_o_f32_e32 vcc_lo, v8, v8
	v_add3_u32 v13, v2, v13, 0x7fff
	v_and_b32_e32 v11, 0xffff0000, v11
	v_and_b32_e32 v12, 0xffff0000, v12
	v_bfe_u32 v15, v4, 16, 1
	v_add3_u32 v14, v3, v14, 0x7fff
	v_and_b32_e32 v13, 0xffff0000, v13
	v_cndmask_b32_e32 v8, 0x7fc00000, v11, vcc_lo
	v_cmp_o_f32_e32 vcc_lo, v9, v9
	v_bfe_u32 v16, v5, 16, 1
	v_add3_u32 v15, v4, v15, 0x7fff
	v_lshrrev_b32_e32 v14, 16, v14
	v_bfe_u32 v17, v6, 16, 1
	v_cndmask_b32_e32 v9, 0x7fc00000, v12, vcc_lo
	v_cmp_o_f32_e32 vcc_lo, v2, v2
	v_add3_u32 v16, v5, v16, 0x7fff
	v_lshrrev_b32_e32 v15, 16, v15
	v_add3_u32 v17, v6, v17, 0x7fff
	v_cndmask_b32_e32 v2, 0x7fc00000, v13, vcc_lo
	v_cmp_o_f32_e32 vcc_lo, v3, v3
	v_lshrrev_b32_e32 v16, 16, v16
	s_delay_alu instid0(VALU_DEP_4) | instskip(SKIP_2) | instid1(VALU_DEP_2)
	v_lshrrev_b32_e32 v17, 16, v17
	v_cndmask_b32_e32 v3, 0x7fc0, v14, vcc_lo
	v_cmp_o_f32_e32 vcc_lo, v4, v4
	v_or_b32_e32 v3, v3, v7
	v_cndmask_b32_e32 v4, 0x7fc0, v15, vcc_lo
	v_cmp_o_f32_e32 vcc_lo, v5, v5
	s_delay_alu instid0(VALU_DEP_2) | instskip(SKIP_2) | instid1(VALU_DEP_2)
	v_or_b32_e32 v4, v4, v8
	v_cndmask_b32_e32 v5, 0x7fc0, v16, vcc_lo
	v_cmp_o_f32_e32 vcc_lo, v6, v6
	v_or_b32_e32 v5, v5, v9
	v_cndmask_b32_e32 v6, 0x7fc0, v17, vcc_lo
	s_delay_alu instid0(VALU_DEP_1)
	v_or_b32_e32 v2, v6, v2
	s_clause 0x3
	global_store_b32 v1, v3, s[0:1]
	global_store_b32 v1, v4, s[0:1] offset:1024
	global_store_b32 v1, v5, s[0:1] offset:2048
	;; [unrolled: 1-line block ×3, first 2 shown]
.LBB139_2:
	s_and_not1_b32 vcc_lo, exec_lo, s3
	s_cbranch_vccnz .LBB139_41
; %bb.3:
	v_cmp_gt_i32_e32 vcc_lo, s8, v0
	v_mov_b32_e32 v4, 0
	v_or_b32_e32 v1, s2, v0
	v_or_b32_e32 v3, 0x100, v0
	v_mov_b32_e32 v2, 0
	v_mov_b32_e32 v6, v0
	s_mov_b32 s1, 0
	s_mov_b32 s3, 0
	s_and_saveexec_b32 s12, vcc_lo
	s_cbranch_execz .LBB139_5
; %bb.4:
	v_mov_b32_e32 v2, 0
	global_load_u8 v7, v1, s[10:11]
	v_lshlrev_b64 v[5:6], 1, v[1:2]
	s_delay_alu instid0(VALU_DEP_1) | instskip(NEXT) | instid1(VALU_DEP_1)
	v_add_co_u32 v5, s0, s6, v5
	v_add_co_ci_u32_e64 v6, s0, s7, v6, s0
	global_load_u16 v2, v[5:6], off
	v_or_b32_e32 v6, 0x100, v0
	s_waitcnt vmcnt(1)
	v_cmp_ne_u16_e64 s0, 0, v7
	s_delay_alu instid0(VALU_DEP_1)
	s_and_b32 s3, s0, exec_lo
.LBB139_5:
	s_or_b32 exec_lo, exec_lo, s12
	s_delay_alu instid0(SALU_CYCLE_1)
	s_mov_b32 s12, exec_lo
	v_cmpx_gt_i32_e64 s8, v6
	s_cbranch_execz .LBB139_7
; %bb.6:
	v_dual_mov_b32 v5, 0 :: v_dual_add_nc_u32 v4, s2, v6
	v_add_nc_u32_e32 v6, 0x100, v6
	global_load_u8 v9, v4, s[10:11]
	v_lshlrev_b64 v[7:8], 1, v[4:5]
	s_delay_alu instid0(VALU_DEP_1) | instskip(NEXT) | instid1(VALU_DEP_1)
	v_add_co_u32 v4, s0, s6, v7
	v_add_co_ci_u32_e64 v5, s0, s7, v8, s0
	global_load_u16 v4, v[4:5], off
	s_waitcnt vmcnt(1)
	v_cmp_ne_u16_e64 s0, 0, v9
	s_delay_alu instid0(VALU_DEP_1)
	s_and_b32 s1, s0, exec_lo
.LBB139_7:
	s_or_b32 exec_lo, exec_lo, s12
	v_mov_b32_e32 v5, 0
	v_mov_b32_e32 v7, 0
	s_mov_b32 s12, 0
	s_mov_b32 s13, 0
	s_mov_b32 s14, exec_lo
	v_cmpx_gt_i32_e64 s8, v6
	s_cbranch_execz .LBB139_9
; %bb.8:
	v_dual_mov_b32 v8, 0 :: v_dual_add_nc_u32 v7, s2, v6
	v_add_nc_u32_e32 v6, 0x100, v6
	global_load_u8 v10, v7, s[10:11]
	v_lshlrev_b64 v[8:9], 1, v[7:8]
	s_delay_alu instid0(VALU_DEP_1) | instskip(NEXT) | instid1(VALU_DEP_1)
	v_add_co_u32 v7, s0, s6, v8
	v_add_co_ci_u32_e64 v8, s0, s7, v9, s0
	global_load_u16 v7, v[7:8], off
	s_waitcnt vmcnt(1)
	v_cmp_ne_u16_e64 s0, 0, v10
	s_delay_alu instid0(VALU_DEP_1)
	s_and_b32 s13, s0, exec_lo
.LBB139_9:
	s_or_b32 exec_lo, exec_lo, s14
	s_delay_alu instid0(SALU_CYCLE_1)
	s_mov_b32 s14, exec_lo
	v_cmpx_gt_i32_e64 s8, v6
	s_cbranch_execz .LBB139_11
; %bb.10:
	v_dual_mov_b32 v9, 0 :: v_dual_add_nc_u32 v8, s2, v6
	v_add_nc_u32_e32 v6, 0x100, v6
	global_load_u8 v11, v8, s[10:11]
	v_lshlrev_b64 v[9:10], 1, v[8:9]
	s_delay_alu instid0(VALU_DEP_1) | instskip(NEXT) | instid1(VALU_DEP_1)
	v_add_co_u32 v8, s0, s6, v9
	v_add_co_ci_u32_e64 v9, s0, s7, v10, s0
	global_load_u16 v5, v[8:9], off
	s_waitcnt vmcnt(1)
	v_cmp_ne_u16_e64 s0, 0, v11
	s_delay_alu instid0(VALU_DEP_1)
	s_and_b32 s12, s0, exec_lo
.LBB139_11:
	s_or_b32 exec_lo, exec_lo, s14
	v_dual_mov_b32 v8, 0 :: v_dual_mov_b32 v9, 0
	s_mov_b32 s14, 0
	s_mov_b32 s15, 0
	s_mov_b32 s16, exec_lo
	v_cmpx_gt_i32_e64 s8, v6
	s_cbranch_execz .LBB139_13
; %bb.12:
	v_dual_mov_b32 v10, 0 :: v_dual_add_nc_u32 v9, s2, v6
	v_add_nc_u32_e32 v6, 0x100, v6
	global_load_u8 v12, v9, s[10:11]
	v_lshlrev_b64 v[10:11], 1, v[9:10]
	s_delay_alu instid0(VALU_DEP_1) | instskip(NEXT) | instid1(VALU_DEP_1)
	v_add_co_u32 v9, s0, s6, v10
	v_add_co_ci_u32_e64 v10, s0, s7, v11, s0
	global_load_u16 v9, v[9:10], off
	s_waitcnt vmcnt(1)
	v_cmp_ne_u16_e64 s0, 0, v12
	s_delay_alu instid0(VALU_DEP_1)
	s_and_b32 s15, s0, exec_lo
.LBB139_13:
	s_or_b32 exec_lo, exec_lo, s16
	s_delay_alu instid0(SALU_CYCLE_1)
	s_mov_b32 s16, exec_lo
	v_cmpx_gt_i32_e64 s8, v6
	s_cbranch_execz .LBB139_15
; %bb.14:
	v_dual_mov_b32 v11, 0 :: v_dual_add_nc_u32 v10, s2, v6
	v_add_nc_u32_e32 v6, 0x100, v6
	global_load_u8 v13, v10, s[10:11]
	v_lshlrev_b64 v[11:12], 1, v[10:11]
	s_delay_alu instid0(VALU_DEP_1) | instskip(NEXT) | instid1(VALU_DEP_1)
	v_add_co_u32 v10, s0, s6, v11
	v_add_co_ci_u32_e64 v11, s0, s7, v12, s0
	global_load_u16 v8, v[10:11], off
	s_waitcnt vmcnt(1)
	v_cmp_ne_u16_e64 s0, 0, v13
	s_delay_alu instid0(VALU_DEP_1)
	s_and_b32 s14, s0, exec_lo
.LBB139_15:
	s_or_b32 exec_lo, exec_lo, s16
	v_dual_mov_b32 v10, 0 :: v_dual_mov_b32 v11, 0
	s_mov_b32 s16, 0
	s_mov_b32 s17, 0
	s_mov_b32 s18, exec_lo
	v_cmpx_gt_i32_e64 s8, v6
	s_cbranch_execz .LBB139_42
; %bb.16:
	v_dual_mov_b32 v12, 0 :: v_dual_add_nc_u32 v11, s2, v6
	v_add_nc_u32_e32 v6, 0x100, v6
	global_load_u8 v14, v11, s[10:11]
	v_lshlrev_b64 v[12:13], 1, v[11:12]
	s_delay_alu instid0(VALU_DEP_1) | instskip(NEXT) | instid1(VALU_DEP_1)
	v_add_co_u32 v11, s0, s6, v12
	v_add_co_ci_u32_e64 v12, s0, s7, v13, s0
	global_load_u16 v11, v[11:12], off
	s_waitcnt vmcnt(1)
	v_cmp_ne_u16_e64 s0, 0, v14
	s_delay_alu instid0(VALU_DEP_1) | instskip(SKIP_1) | instid1(SALU_CYCLE_1)
	s_and_b32 s17, s0, exec_lo
	s_or_b32 exec_lo, exec_lo, s18
	s_mov_b32 s18, exec_lo
	v_cmpx_gt_i32_e64 s8, v6
	s_cbranch_execnz .LBB139_43
.LBB139_17:
	s_or_b32 exec_lo, exec_lo, s18
                                        ; implicit-def: $vgpr15
	s_and_saveexec_b32 s6, vcc_lo
	s_cbranch_execz .LBB139_19
.LBB139_18:
	v_cndmask_b32_e64 v6, 0, 1.0, s3
	s_waitcnt vmcnt(0)
	v_lshlrev_b32_e32 v2, 16, v2
	s_delay_alu instid0(VALU_DEP_1) | instskip(NEXT) | instid1(VALU_DEP_1)
	v_mul_f32_e32 v2, v6, v2
	v_mul_f32_e32 v2, s9, v2
	s_delay_alu instid0(VALU_DEP_1) | instskip(SKIP_1) | instid1(VALU_DEP_2)
	v_bfe_u32 v6, v2, 16, 1
	v_cmp_o_f32_e64 s0, v2, v2
	v_add3_u32 v6, v2, v6, 0x7fff
	s_delay_alu instid0(VALU_DEP_1) | instskip(NEXT) | instid1(VALU_DEP_1)
	v_lshrrev_b32_e32 v6, 16, v6
	v_cndmask_b32_e64 v15, 0x7fc0, v6, s0
.LBB139_19:
	s_or_b32 exec_lo, exec_lo, s6
	s_delay_alu instid0(SALU_CYCLE_1)
	s_mov_b32 s3, exec_lo
                                        ; implicit-def: $vgpr14
	v_cmpx_gt_i32_e64 s8, v3
	s_cbranch_execz .LBB139_21
; %bb.20:
	s_waitcnt vmcnt(0)
	v_cndmask_b32_e64 v2, 0, 1.0, s1
	v_lshlrev_b32_e32 v4, 16, v4
	s_delay_alu instid0(VALU_DEP_1) | instskip(NEXT) | instid1(VALU_DEP_1)
	v_mul_f32_e32 v2, v2, v4
	v_mul_f32_e32 v2, s9, v2
	s_delay_alu instid0(VALU_DEP_1) | instskip(SKIP_1) | instid1(VALU_DEP_2)
	v_bfe_u32 v4, v2, 16, 1
	v_cmp_o_f32_e64 s0, v2, v2
	v_add3_u32 v4, v2, v4, 0x7fff
	s_delay_alu instid0(VALU_DEP_1) | instskip(NEXT) | instid1(VALU_DEP_1)
	v_lshrrev_b32_e32 v4, 16, v4
	v_cndmask_b32_e64 v14, 0x7fc0, v4, s0
.LBB139_21:
	s_or_b32 exec_lo, exec_lo, s3
	s_waitcnt vmcnt(0)
	v_or_b32_e32 v2, 0x200, v0
	s_mov_b32 s1, exec_lo
                                        ; implicit-def: $vgpr13
	s_delay_alu instid0(VALU_DEP_1)
	v_cmpx_gt_i32_e64 s8, v2
; %bb.22:
	v_cndmask_b32_e64 v2, 0, 1.0, s13
	v_lshlrev_b32_e32 v4, 16, v7
	s_delay_alu instid0(VALU_DEP_1) | instskip(NEXT) | instid1(VALU_DEP_1)
	v_mul_f32_e32 v2, v2, v4
	v_mul_f32_e32 v2, s9, v2
	s_delay_alu instid0(VALU_DEP_1) | instskip(SKIP_1) | instid1(VALU_DEP_2)
	v_bfe_u32 v4, v2, 16, 1
	v_cmp_o_f32_e64 s0, v2, v2
	v_add3_u32 v4, v2, v4, 0x7fff
	s_delay_alu instid0(VALU_DEP_1) | instskip(NEXT) | instid1(VALU_DEP_1)
	v_lshrrev_b32_e32 v4, 16, v4
	v_cndmask_b32_e64 v13, 0x7fc0, v4, s0
; %bb.23:
	s_or_b32 exec_lo, exec_lo, s1
	v_or_b32_e32 v2, 0x300, v0
	s_mov_b32 s1, exec_lo
                                        ; implicit-def: $vgpr12
	s_delay_alu instid0(VALU_DEP_1)
	v_cmpx_gt_i32_e64 s8, v2
; %bb.24:
	v_cndmask_b32_e64 v2, 0, 1.0, s12
	v_lshlrev_b32_e32 v4, 16, v5
	s_delay_alu instid0(VALU_DEP_1) | instskip(NEXT) | instid1(VALU_DEP_1)
	v_mul_f32_e32 v2, v2, v4
	v_mul_f32_e32 v2, s9, v2
	s_delay_alu instid0(VALU_DEP_1) | instskip(SKIP_1) | instid1(VALU_DEP_2)
	v_bfe_u32 v4, v2, 16, 1
	v_cmp_o_f32_e64 s0, v2, v2
	v_add3_u32 v4, v2, v4, 0x7fff
	s_delay_alu instid0(VALU_DEP_1) | instskip(NEXT) | instid1(VALU_DEP_1)
	v_lshrrev_b32_e32 v4, 16, v4
	v_cndmask_b32_e64 v12, 0x7fc0, v4, s0
; %bb.25:
	s_or_b32 exec_lo, exec_lo, s1
	v_or_b32_e32 v2, 0x400, v0
	s_mov_b32 s1, exec_lo
                                        ; implicit-def: $vgpr7
	s_delay_alu instid0(VALU_DEP_1)
	v_cmpx_gt_i32_e64 s8, v2
; %bb.26:
	v_cndmask_b32_e64 v2, 0, 1.0, s15
	v_lshlrev_b32_e32 v4, 16, v9
	s_delay_alu instid0(VALU_DEP_1) | instskip(NEXT) | instid1(VALU_DEP_1)
	v_mul_f32_e32 v2, v2, v4
	v_mul_f32_e32 v2, s9, v2
	s_delay_alu instid0(VALU_DEP_1) | instskip(SKIP_1) | instid1(VALU_DEP_2)
	v_bfe_u32 v4, v2, 16, 1
	v_cmp_o_f32_e64 s0, v2, v2
	v_add3_u32 v4, v2, v4, 0x7fff
	s_delay_alu instid0(VALU_DEP_1) | instskip(NEXT) | instid1(VALU_DEP_1)
	v_lshrrev_b32_e32 v4, 16, v4
	v_cndmask_b32_e64 v7, 0x7fc0, v4, s0
; %bb.27:
	s_or_b32 exec_lo, exec_lo, s1
	v_or_b32_e32 v2, 0x500, v0
	s_mov_b32 s1, exec_lo
                                        ; implicit-def: $vgpr5
	s_delay_alu instid0(VALU_DEP_1)
	v_cmpx_gt_i32_e64 s8, v2
; %bb.28:
	v_cndmask_b32_e64 v2, 0, 1.0, s14
	v_lshlrev_b32_e32 v4, 16, v8
	s_delay_alu instid0(VALU_DEP_1) | instskip(NEXT) | instid1(VALU_DEP_1)
	v_mul_f32_e32 v2, v2, v4
	v_mul_f32_e32 v2, s9, v2
	s_delay_alu instid0(VALU_DEP_1) | instskip(SKIP_1) | instid1(VALU_DEP_2)
	v_bfe_u32 v4, v2, 16, 1
	v_cmp_o_f32_e64 s0, v2, v2
	v_add3_u32 v4, v2, v4, 0x7fff
	s_delay_alu instid0(VALU_DEP_1) | instskip(NEXT) | instid1(VALU_DEP_1)
	v_lshrrev_b32_e32 v4, 16, v4
	v_cndmask_b32_e64 v5, 0x7fc0, v4, s0
; %bb.29:
	s_or_b32 exec_lo, exec_lo, s1
	v_or_b32_e32 v2, 0x600, v0
	s_mov_b32 s1, exec_lo
                                        ; implicit-def: $vgpr4
	s_delay_alu instid0(VALU_DEP_1)
	v_cmpx_gt_i32_e64 s8, v2
; %bb.30:
	v_cndmask_b32_e64 v2, 0, 1.0, s17
	v_lshlrev_b32_e32 v4, 16, v11
	s_delay_alu instid0(VALU_DEP_1) | instskip(NEXT) | instid1(VALU_DEP_1)
	v_mul_f32_e32 v2, v2, v4
	v_mul_f32_e32 v2, s9, v2
	s_delay_alu instid0(VALU_DEP_1) | instskip(SKIP_1) | instid1(VALU_DEP_2)
	v_bfe_u32 v4, v2, 16, 1
	v_cmp_o_f32_e64 s0, v2, v2
	v_add3_u32 v4, v2, v4, 0x7fff
	s_delay_alu instid0(VALU_DEP_1) | instskip(NEXT) | instid1(VALU_DEP_1)
	v_lshrrev_b32_e32 v4, 16, v4
	v_cndmask_b32_e64 v4, 0x7fc0, v4, s0
; %bb.31:
	s_or_b32 exec_lo, exec_lo, s1
	v_or_b32_e32 v2, 0x700, v0
	s_mov_b32 s1, exec_lo
                                        ; implicit-def: $vgpr6
	s_delay_alu instid0(VALU_DEP_1)
	v_cmpx_gt_i32_e64 s8, v2
	s_cbranch_execz .LBB139_44
; %bb.32:
	v_cndmask_b32_e64 v2, 0, 1.0, s16
	v_lshlrev_b32_e32 v6, 16, v10
	s_delay_alu instid0(VALU_DEP_1) | instskip(NEXT) | instid1(VALU_DEP_1)
	v_mul_f32_e32 v2, v2, v6
	v_mul_f32_e32 v2, s9, v2
	s_delay_alu instid0(VALU_DEP_1) | instskip(SKIP_1) | instid1(VALU_DEP_2)
	v_bfe_u32 v6, v2, 16, 1
	v_cmp_o_f32_e64 s0, v2, v2
	v_add3_u32 v6, v2, v6, 0x7fff
	s_delay_alu instid0(VALU_DEP_1) | instskip(NEXT) | instid1(VALU_DEP_1)
	v_lshrrev_b32_e32 v6, 16, v6
	v_cndmask_b32_e64 v6, 0x7fc0, v6, s0
	s_or_b32 exec_lo, exec_lo, s1
	s_and_saveexec_b32 s0, vcc_lo
	s_delay_alu instid0(SALU_CYCLE_1)
	s_xor_b32 s0, exec_lo, s0
	s_cbranch_execnz .LBB139_45
.LBB139_33:
	s_or_b32 exec_lo, exec_lo, s0
	s_delay_alu instid0(SALU_CYCLE_1)
	s_mov_b32 s0, exec_lo
	v_cmpx_gt_i32_e64 s8, v0
	s_cbranch_execz .LBB139_46
.LBB139_34:
	v_dual_mov_b32 v2, 0 :: v_dual_add_nc_u32 v1, s2, v0
	v_add_nc_u32_e32 v0, 0x100, v0
	s_delay_alu instid0(VALU_DEP_2) | instskip(NEXT) | instid1(VALU_DEP_1)
	v_lshlrev_b64 v[1:2], 1, v[1:2]
	v_add_co_u32 v1, vcc_lo, s4, v1
	s_delay_alu instid0(VALU_DEP_2) | instskip(SKIP_2) | instid1(SALU_CYCLE_1)
	v_add_co_ci_u32_e32 v2, vcc_lo, s5, v2, vcc_lo
	global_store_b16 v[1:2], v14, off
	s_or_b32 exec_lo, exec_lo, s0
	s_mov_b32 s0, exec_lo
	v_cmpx_gt_i32_e64 s8, v0
	s_cbranch_execnz .LBB139_47
.LBB139_35:
	s_or_b32 exec_lo, exec_lo, s0
	s_delay_alu instid0(SALU_CYCLE_1)
	s_mov_b32 s0, exec_lo
	v_cmpx_gt_i32_e64 s8, v0
	s_cbranch_execz .LBB139_48
.LBB139_36:
	v_dual_mov_b32 v2, 0 :: v_dual_add_nc_u32 v1, s2, v0
	v_add_nc_u32_e32 v0, 0x100, v0
	s_delay_alu instid0(VALU_DEP_2) | instskip(NEXT) | instid1(VALU_DEP_1)
	v_lshlrev_b64 v[1:2], 1, v[1:2]
	v_add_co_u32 v1, vcc_lo, s4, v1
	s_delay_alu instid0(VALU_DEP_2) | instskip(SKIP_2) | instid1(SALU_CYCLE_1)
	v_add_co_ci_u32_e32 v2, vcc_lo, s5, v2, vcc_lo
	global_store_b16 v[1:2], v12, off
	s_or_b32 exec_lo, exec_lo, s0
	s_mov_b32 s0, exec_lo
	v_cmpx_gt_i32_e64 s8, v0
	s_cbranch_execnz .LBB139_49
.LBB139_37:
	s_or_b32 exec_lo, exec_lo, s0
	s_delay_alu instid0(SALU_CYCLE_1)
	s_mov_b32 s0, exec_lo
	v_cmpx_gt_i32_e64 s8, v0
	s_cbranch_execz .LBB139_50
.LBB139_38:
	v_dual_mov_b32 v2, 0 :: v_dual_add_nc_u32 v1, s2, v0
	v_add_nc_u32_e32 v0, 0x100, v0
	s_delay_alu instid0(VALU_DEP_2) | instskip(NEXT) | instid1(VALU_DEP_1)
	v_lshlrev_b64 v[1:2], 1, v[1:2]
	v_add_co_u32 v1, vcc_lo, s4, v1
	s_delay_alu instid0(VALU_DEP_2) | instskip(SKIP_2) | instid1(SALU_CYCLE_1)
	v_add_co_ci_u32_e32 v2, vcc_lo, s5, v2, vcc_lo
	global_store_b16 v[1:2], v5, off
	s_or_b32 exec_lo, exec_lo, s0
	s_mov_b32 s0, exec_lo
	v_cmpx_gt_i32_e64 s8, v0
	s_cbranch_execnz .LBB139_51
.LBB139_39:
	s_or_b32 exec_lo, exec_lo, s0
	s_delay_alu instid0(SALU_CYCLE_1)
	s_mov_b32 s0, exec_lo
	v_cmpx_gt_i32_e64 s8, v0
	s_cbranch_execz .LBB139_41
.LBB139_40:
	v_dual_mov_b32 v1, 0 :: v_dual_add_nc_u32 v0, s2, v0
	s_delay_alu instid0(VALU_DEP_1) | instskip(NEXT) | instid1(VALU_DEP_1)
	v_lshlrev_b64 v[0:1], 1, v[0:1]
	v_add_co_u32 v0, vcc_lo, s4, v0
	s_delay_alu instid0(VALU_DEP_2)
	v_add_co_ci_u32_e32 v1, vcc_lo, s5, v1, vcc_lo
	global_store_b16 v[0:1], v6, off
.LBB139_41:
	s_nop 0
	s_sendmsg sendmsg(MSG_DEALLOC_VGPRS)
	s_endpgm
.LBB139_42:
	s_or_b32 exec_lo, exec_lo, s18
	s_delay_alu instid0(SALU_CYCLE_1)
	s_mov_b32 s18, exec_lo
	v_cmpx_gt_i32_e64 s8, v6
	s_cbranch_execz .LBB139_17
.LBB139_43:
	v_dual_mov_b32 v13, 0 :: v_dual_add_nc_u32 v12, s2, v6
	global_load_u8 v6, v12, s[10:11]
	v_lshlrev_b64 v[13:14], 1, v[12:13]
	s_delay_alu instid0(VALU_DEP_1) | instskip(NEXT) | instid1(VALU_DEP_1)
	v_add_co_u32 v12, s0, s6, v13
	v_add_co_ci_u32_e64 v13, s0, s7, v14, s0
	global_load_u16 v10, v[12:13], off
	s_waitcnt vmcnt(1)
	v_cmp_ne_u16_e64 s0, 0, v6
	s_delay_alu instid0(VALU_DEP_1)
	s_and_b32 s16, s0, exec_lo
	s_or_b32 exec_lo, exec_lo, s18
                                        ; implicit-def: $vgpr15
	s_and_saveexec_b32 s6, vcc_lo
	s_cbranch_execz .LBB139_19
	s_branch .LBB139_18
.LBB139_44:
	s_or_b32 exec_lo, exec_lo, s1
	s_and_saveexec_b32 s0, vcc_lo
	s_delay_alu instid0(SALU_CYCLE_1)
	s_xor_b32 s0, exec_lo, s0
	s_cbranch_execz .LBB139_33
.LBB139_45:
	v_mov_b32_e32 v2, 0
	s_delay_alu instid0(VALU_DEP_1) | instskip(NEXT) | instid1(VALU_DEP_1)
	v_lshlrev_b64 v[0:1], 1, v[1:2]
	v_add_co_u32 v8, vcc_lo, s4, v0
	s_delay_alu instid0(VALU_DEP_2) | instskip(SKIP_3) | instid1(SALU_CYCLE_1)
	v_add_co_ci_u32_e32 v9, vcc_lo, s5, v1, vcc_lo
	v_mov_b32_e32 v0, v3
	global_store_b16 v[8:9], v15, off
	s_or_b32 exec_lo, exec_lo, s0
	s_mov_b32 s0, exec_lo
	v_cmpx_gt_i32_e64 s8, v0
	s_cbranch_execnz .LBB139_34
.LBB139_46:
	s_or_b32 exec_lo, exec_lo, s0
	s_delay_alu instid0(SALU_CYCLE_1)
	s_mov_b32 s0, exec_lo
	v_cmpx_gt_i32_e64 s8, v0
	s_cbranch_execz .LBB139_35
.LBB139_47:
	v_dual_mov_b32 v2, 0 :: v_dual_add_nc_u32 v1, s2, v0
	v_add_nc_u32_e32 v0, 0x100, v0
	s_delay_alu instid0(VALU_DEP_2) | instskip(NEXT) | instid1(VALU_DEP_1)
	v_lshlrev_b64 v[1:2], 1, v[1:2]
	v_add_co_u32 v1, vcc_lo, s4, v1
	s_delay_alu instid0(VALU_DEP_2) | instskip(SKIP_2) | instid1(SALU_CYCLE_1)
	v_add_co_ci_u32_e32 v2, vcc_lo, s5, v2, vcc_lo
	global_store_b16 v[1:2], v13, off
	s_or_b32 exec_lo, exec_lo, s0
	s_mov_b32 s0, exec_lo
	v_cmpx_gt_i32_e64 s8, v0
	s_cbranch_execnz .LBB139_36
.LBB139_48:
	s_or_b32 exec_lo, exec_lo, s0
	s_delay_alu instid0(SALU_CYCLE_1)
	s_mov_b32 s0, exec_lo
	v_cmpx_gt_i32_e64 s8, v0
	s_cbranch_execz .LBB139_37
.LBB139_49:
	v_dual_mov_b32 v2, 0 :: v_dual_add_nc_u32 v1, s2, v0
	v_add_nc_u32_e32 v0, 0x100, v0
	s_delay_alu instid0(VALU_DEP_2) | instskip(NEXT) | instid1(VALU_DEP_1)
	v_lshlrev_b64 v[1:2], 1, v[1:2]
	v_add_co_u32 v1, vcc_lo, s4, v1
	s_delay_alu instid0(VALU_DEP_2) | instskip(SKIP_2) | instid1(SALU_CYCLE_1)
	v_add_co_ci_u32_e32 v2, vcc_lo, s5, v2, vcc_lo
	global_store_b16 v[1:2], v7, off
	s_or_b32 exec_lo, exec_lo, s0
	s_mov_b32 s0, exec_lo
	v_cmpx_gt_i32_e64 s8, v0
	s_cbranch_execnz .LBB139_38
.LBB139_50:
	s_or_b32 exec_lo, exec_lo, s0
	s_delay_alu instid0(SALU_CYCLE_1)
	s_mov_b32 s0, exec_lo
	v_cmpx_gt_i32_e64 s8, v0
	s_cbranch_execz .LBB139_39
.LBB139_51:
	v_dual_mov_b32 v2, 0 :: v_dual_add_nc_u32 v1, s2, v0
	v_add_nc_u32_e32 v0, 0x100, v0
	s_delay_alu instid0(VALU_DEP_2) | instskip(NEXT) | instid1(VALU_DEP_1)
	v_lshlrev_b64 v[1:2], 1, v[1:2]
	v_add_co_u32 v1, vcc_lo, s4, v1
	s_delay_alu instid0(VALU_DEP_2) | instskip(SKIP_2) | instid1(SALU_CYCLE_1)
	v_add_co_ci_u32_e32 v2, vcc_lo, s5, v2, vcc_lo
	global_store_b16 v[1:2], v4, off
	s_or_b32 exec_lo, exec_lo, s0
	s_mov_b32 s0, exec_lo
	v_cmpx_gt_i32_e64 s8, v0
	s_cbranch_execnz .LBB139_40
	s_branch .LBB139_41
	.section	.rodata,"a",@progbits
	.p2align	6, 0x0
	.amdhsa_kernel _ZN2at6native29vectorized_elementwise_kernelILi2EZNS0_12_GLOBAL__N_119masked_scale_kernelIbN3c108BFloat16EfEEvRNS_6TensorERKS6_S9_T1_EUlS5_bE_St5arrayIPcLm3EEEEviT0_SA_
		.amdhsa_group_segment_fixed_size 0
		.amdhsa_private_segment_fixed_size 0
		.amdhsa_kernarg_size 32
		.amdhsa_user_sgpr_count 15
		.amdhsa_user_sgpr_dispatch_ptr 0
		.amdhsa_user_sgpr_queue_ptr 0
		.amdhsa_user_sgpr_kernarg_segment_ptr 1
		.amdhsa_user_sgpr_dispatch_id 0
		.amdhsa_user_sgpr_private_segment_size 0
		.amdhsa_wavefront_size32 1
		.amdhsa_uses_dynamic_stack 0
		.amdhsa_enable_private_segment 0
		.amdhsa_system_sgpr_workgroup_id_x 1
		.amdhsa_system_sgpr_workgroup_id_y 0
		.amdhsa_system_sgpr_workgroup_id_z 0
		.amdhsa_system_sgpr_workgroup_info 0
		.amdhsa_system_vgpr_workitem_id 0
		.amdhsa_next_free_vgpr 18
		.amdhsa_next_free_sgpr 19
		.amdhsa_reserve_vcc 1
		.amdhsa_float_round_mode_32 0
		.amdhsa_float_round_mode_16_64 0
		.amdhsa_float_denorm_mode_32 3
		.amdhsa_float_denorm_mode_16_64 3
		.amdhsa_dx10_clamp 1
		.amdhsa_ieee_mode 1
		.amdhsa_fp16_overflow 0
		.amdhsa_workgroup_processor_mode 1
		.amdhsa_memory_ordered 1
		.amdhsa_forward_progress 0
		.amdhsa_shared_vgpr_count 0
		.amdhsa_exception_fp_ieee_invalid_op 0
		.amdhsa_exception_fp_denorm_src 0
		.amdhsa_exception_fp_ieee_div_zero 0
		.amdhsa_exception_fp_ieee_overflow 0
		.amdhsa_exception_fp_ieee_underflow 0
		.amdhsa_exception_fp_ieee_inexact 0
		.amdhsa_exception_int_div_zero 0
	.end_amdhsa_kernel
	.section	.text._ZN2at6native29vectorized_elementwise_kernelILi2EZNS0_12_GLOBAL__N_119masked_scale_kernelIbN3c108BFloat16EfEEvRNS_6TensorERKS6_S9_T1_EUlS5_bE_St5arrayIPcLm3EEEEviT0_SA_,"axG",@progbits,_ZN2at6native29vectorized_elementwise_kernelILi2EZNS0_12_GLOBAL__N_119masked_scale_kernelIbN3c108BFloat16EfEEvRNS_6TensorERKS6_S9_T1_EUlS5_bE_St5arrayIPcLm3EEEEviT0_SA_,comdat
.Lfunc_end139:
	.size	_ZN2at6native29vectorized_elementwise_kernelILi2EZNS0_12_GLOBAL__N_119masked_scale_kernelIbN3c108BFloat16EfEEvRNS_6TensorERKS6_S9_T1_EUlS5_bE_St5arrayIPcLm3EEEEviT0_SA_, .Lfunc_end139-_ZN2at6native29vectorized_elementwise_kernelILi2EZNS0_12_GLOBAL__N_119masked_scale_kernelIbN3c108BFloat16EfEEvRNS_6TensorERKS6_S9_T1_EUlS5_bE_St5arrayIPcLm3EEEEviT0_SA_
                                        ; -- End function
	.section	.AMDGPU.csdata,"",@progbits
; Kernel info:
; codeLenInByte = 3348
; NumSgprs: 21
; NumVgprs: 18
; ScratchSize: 0
; MemoryBound: 0
; FloatMode: 240
; IeeeMode: 1
; LDSByteSize: 0 bytes/workgroup (compile time only)
; SGPRBlocks: 2
; VGPRBlocks: 2
; NumSGPRsForWavesPerEU: 21
; NumVGPRsForWavesPerEU: 18
; Occupancy: 16
; WaveLimiterHint : 1
; COMPUTE_PGM_RSRC2:SCRATCH_EN: 0
; COMPUTE_PGM_RSRC2:USER_SGPR: 15
; COMPUTE_PGM_RSRC2:TRAP_HANDLER: 0
; COMPUTE_PGM_RSRC2:TGID_X_EN: 1
; COMPUTE_PGM_RSRC2:TGID_Y_EN: 0
; COMPUTE_PGM_RSRC2:TGID_Z_EN: 0
; COMPUTE_PGM_RSRC2:TIDIG_COMP_CNT: 0
	.section	.text._ZN2at6native27unrolled_elementwise_kernelIZNS0_12_GLOBAL__N_119masked_scale_kernelIbN3c108BFloat16EfEEvRNS_6TensorERKS6_S9_T1_EUlS5_bE_St5arrayIPcLm3EELi4E23TrivialOffsetCalculatorILi2EjESF_ILi1EjENS0_6memory15LoadWithoutCastENSI_16StoreWithoutCastEEEviT_T0_T2_T3_T4_T5_,"axG",@progbits,_ZN2at6native27unrolled_elementwise_kernelIZNS0_12_GLOBAL__N_119masked_scale_kernelIbN3c108BFloat16EfEEvRNS_6TensorERKS6_S9_T1_EUlS5_bE_St5arrayIPcLm3EELi4E23TrivialOffsetCalculatorILi2EjESF_ILi1EjENS0_6memory15LoadWithoutCastENSI_16StoreWithoutCastEEEviT_T0_T2_T3_T4_T5_,comdat
	.globl	_ZN2at6native27unrolled_elementwise_kernelIZNS0_12_GLOBAL__N_119masked_scale_kernelIbN3c108BFloat16EfEEvRNS_6TensorERKS6_S9_T1_EUlS5_bE_St5arrayIPcLm3EELi4E23TrivialOffsetCalculatorILi2EjESF_ILi1EjENS0_6memory15LoadWithoutCastENSI_16StoreWithoutCastEEEviT_T0_T2_T3_T4_T5_ ; -- Begin function _ZN2at6native27unrolled_elementwise_kernelIZNS0_12_GLOBAL__N_119masked_scale_kernelIbN3c108BFloat16EfEEvRNS_6TensorERKS6_S9_T1_EUlS5_bE_St5arrayIPcLm3EELi4E23TrivialOffsetCalculatorILi2EjESF_ILi1EjENS0_6memory15LoadWithoutCastENSI_16StoreWithoutCastEEEviT_T0_T2_T3_T4_T5_
	.p2align	8
	.type	_ZN2at6native27unrolled_elementwise_kernelIZNS0_12_GLOBAL__N_119masked_scale_kernelIbN3c108BFloat16EfEEvRNS_6TensorERKS6_S9_T1_EUlS5_bE_St5arrayIPcLm3EELi4E23TrivialOffsetCalculatorILi2EjESF_ILi1EjENS0_6memory15LoadWithoutCastENSI_16StoreWithoutCastEEEviT_T0_T2_T3_T4_T5_,@function
_ZN2at6native27unrolled_elementwise_kernelIZNS0_12_GLOBAL__N_119masked_scale_kernelIbN3c108BFloat16EfEEvRNS_6TensorERKS6_S9_T1_EUlS5_bE_St5arrayIPcLm3EELi4E23TrivialOffsetCalculatorILi2EjESF_ILi1EjENS0_6memory15LoadWithoutCastENSI_16StoreWithoutCastEEEviT_T0_T2_T3_T4_T5_: ; @_ZN2at6native27unrolled_elementwise_kernelIZNS0_12_GLOBAL__N_119masked_scale_kernelIbN3c108BFloat16EfEEvRNS_6TensorERKS6_S9_T1_EUlS5_bE_St5arrayIPcLm3EELi4E23TrivialOffsetCalculatorILi2EjESF_ILi1EjENS0_6memory15LoadWithoutCastENSI_16StoreWithoutCastEEEviT_T0_T2_T3_T4_T5_
; %bb.0:
	s_clause 0x2
	s_load_b64 s[2:3], s[0:1], 0x0
	s_load_b128 s[4:7], s[0:1], 0x8
	s_load_b64 s[8:9], s[0:1], 0x18
	s_lshl_b32 s1, s15, 10
	v_dual_mov_b32 v4, 0 :: v_dual_mov_b32 v5, 0
	v_mov_b32_e32 v2, 0
	v_or_b32_e32 v1, s1, v0
	v_or_b32_e32 v3, 0x100, v0
	v_mov_b32_e32 v8, v0
	s_waitcnt lgkmcnt(0)
	s_sub_i32 s2, s2, s1
	s_delay_alu instid0(SALU_CYCLE_1)
	v_cmp_gt_i32_e32 vcc_lo, s2, v0
	s_and_saveexec_b32 s10, vcc_lo
	s_cbranch_execz .LBB140_2
; %bb.1:
	v_mov_b32_e32 v2, 0
	v_or_b32_e32 v8, 0x100, v0
	s_delay_alu instid0(VALU_DEP_2) | instskip(NEXT) | instid1(VALU_DEP_1)
	v_lshlrev_b64 v[5:6], 1, v[1:2]
	v_add_co_u32 v5, s0, s6, v5
	s_delay_alu instid0(VALU_DEP_1)
	v_add_co_ci_u32_e64 v6, s0, s7, v6, s0
	global_load_u8 v2, v1, s[8:9]
	global_load_u16 v6, v[5:6], off
	s_waitcnt vmcnt(1)
	v_cmp_ne_u16_e64 s0, 0, v2
	s_waitcnt vmcnt(0)
	v_lshlrev_b32_e32 v2, 16, v6
	s_delay_alu instid0(VALU_DEP_2)
	v_cndmask_b32_e64 v5, 0, 1.0, s0
.LBB140_2:
	s_or_b32 exec_lo, exec_lo, s10
	v_mov_b32_e32 v7, 0
	s_mov_b32 s10, exec_lo
	v_cmpx_gt_i32_e64 s2, v8
	s_cbranch_execz .LBB140_4
; %bb.3:
	v_dual_mov_b32 v7, 0 :: v_dual_add_nc_u32 v6, s1, v8
	v_add_nc_u32_e32 v8, 0x100, v8
	s_delay_alu instid0(VALU_DEP_2) | instskip(NEXT) | instid1(VALU_DEP_1)
	v_lshlrev_b64 v[9:10], 1, v[6:7]
	v_add_co_u32 v9, s0, s6, v9
	s_delay_alu instid0(VALU_DEP_1)
	v_add_co_ci_u32_e64 v10, s0, s7, v10, s0
	global_load_u8 v4, v6, s[8:9]
	global_load_u16 v6, v[9:10], off
	s_waitcnt vmcnt(1)
	v_cmp_ne_u16_e64 s0, 0, v4
	s_waitcnt vmcnt(0)
	v_lshlrev_b32_e32 v4, 16, v6
	s_delay_alu instid0(VALU_DEP_2)
	v_cndmask_b32_e64 v7, 0, 1.0, s0
.LBB140_4:
	s_or_b32 exec_lo, exec_lo, s10
	v_dual_mov_b32 v6, 0 :: v_dual_mov_b32 v9, 0
	v_mov_b32_e32 v10, 0
	s_mov_b32 s10, exec_lo
	v_cmpx_gt_i32_e64 s2, v8
	s_cbranch_execz .LBB140_6
; %bb.5:
	v_dual_mov_b32 v10, 0 :: v_dual_add_nc_u32 v9, s1, v8
	v_add_nc_u32_e32 v8, 0x100, v8
	s_delay_alu instid0(VALU_DEP_2) | instskip(NEXT) | instid1(VALU_DEP_1)
	v_lshlrev_b64 v[10:11], 1, v[9:10]
	v_add_co_u32 v10, s0, s6, v10
	s_delay_alu instid0(VALU_DEP_1)
	v_add_co_ci_u32_e64 v11, s0, s7, v11, s0
	global_load_u8 v9, v9, s[8:9]
	global_load_u16 v11, v[10:11], off
	s_waitcnt vmcnt(1)
	v_cmp_ne_u16_e64 s0, 0, v9
	s_waitcnt vmcnt(0)
	v_lshlrev_b32_e32 v9, 16, v11
	s_delay_alu instid0(VALU_DEP_2)
	v_cndmask_b32_e64 v10, 0, 1.0, s0
.LBB140_6:
	s_or_b32 exec_lo, exec_lo, s10
	v_mov_b32_e32 v12, 0
	s_mov_b32 s10, exec_lo
	v_cmpx_gt_i32_e64 s2, v8
	s_cbranch_execz .LBB140_8
; %bb.7:
	v_dual_mov_b32 v12, 0 :: v_dual_add_nc_u32 v11, s1, v8
	s_delay_alu instid0(VALU_DEP_1) | instskip(NEXT) | instid1(VALU_DEP_1)
	v_lshlrev_b64 v[12:13], 1, v[11:12]
	v_add_co_u32 v12, s0, s6, v12
	s_delay_alu instid0(VALU_DEP_1)
	v_add_co_ci_u32_e64 v13, s0, s7, v13, s0
	global_load_u8 v6, v11, s[8:9]
	global_load_u16 v8, v[12:13], off
	s_waitcnt vmcnt(1)
	v_cmp_ne_u16_e64 s0, 0, v6
	s_waitcnt vmcnt(0)
	v_lshlrev_b32_e32 v6, 16, v8
	s_delay_alu instid0(VALU_DEP_2)
	v_cndmask_b32_e64 v12, 0, 1.0, s0
	s_or_b32 exec_lo, exec_lo, s10
                                        ; implicit-def: $vgpr11
	s_and_saveexec_b32 s6, vcc_lo
	s_branch .LBB140_9
.LBB140_8:
	s_or_b32 exec_lo, exec_lo, s10
                                        ; implicit-def: $vgpr11
	s_and_saveexec_b32 s6, vcc_lo
.LBB140_9:
	v_mul_f32_e32 v2, v2, v5
	s_delay_alu instid0(VALU_DEP_1) | instskip(NEXT) | instid1(VALU_DEP_1)
	v_mul_f32_e32 v2, s3, v2
	v_bfe_u32 v5, v2, 16, 1
	v_cmp_o_f32_e64 s0, v2, v2
	s_delay_alu instid0(VALU_DEP_2) | instskip(NEXT) | instid1(VALU_DEP_1)
	v_add3_u32 v5, v2, v5, 0x7fff
	v_lshrrev_b32_e32 v5, 16, v5
	s_delay_alu instid0(VALU_DEP_1)
	v_cndmask_b32_e64 v11, 0x7fc0, v5, s0
; %bb.10:
	s_or_b32 exec_lo, exec_lo, s6
	s_delay_alu instid0(SALU_CYCLE_1)
	s_mov_b32 s6, exec_lo
                                        ; implicit-def: $vgpr8
	v_cmpx_gt_i32_e64 s2, v3
; %bb.11:
	v_mul_f32_e32 v2, v4, v7
	s_delay_alu instid0(VALU_DEP_1) | instskip(NEXT) | instid1(VALU_DEP_1)
	v_mul_f32_e32 v2, s3, v2
	v_bfe_u32 v4, v2, 16, 1
	v_cmp_o_f32_e64 s0, v2, v2
	s_delay_alu instid0(VALU_DEP_2) | instskip(NEXT) | instid1(VALU_DEP_1)
	v_add3_u32 v4, v2, v4, 0x7fff
	v_lshrrev_b32_e32 v4, 16, v4
	s_delay_alu instid0(VALU_DEP_1)
	v_cndmask_b32_e64 v8, 0x7fc0, v4, s0
; %bb.12:
	s_or_b32 exec_lo, exec_lo, s6
	v_or_b32_e32 v2, 0x200, v0
	s_mov_b32 s6, exec_lo
                                        ; implicit-def: $vgpr4
	s_delay_alu instid0(VALU_DEP_1)
	v_cmpx_gt_i32_e64 s2, v2
; %bb.13:
	v_mul_f32_e32 v2, v9, v10
	s_delay_alu instid0(VALU_DEP_1) | instskip(NEXT) | instid1(VALU_DEP_1)
	v_mul_f32_e32 v2, s3, v2
	v_bfe_u32 v4, v2, 16, 1
	v_cmp_o_f32_e64 s0, v2, v2
	s_delay_alu instid0(VALU_DEP_2) | instskip(NEXT) | instid1(VALU_DEP_1)
	v_add3_u32 v4, v2, v4, 0x7fff
	v_lshrrev_b32_e32 v4, 16, v4
	s_delay_alu instid0(VALU_DEP_1)
	v_cndmask_b32_e64 v4, 0x7fc0, v4, s0
; %bb.14:
	s_or_b32 exec_lo, exec_lo, s6
	v_or_b32_e32 v2, 0x300, v0
	s_mov_b32 s6, exec_lo
                                        ; implicit-def: $vgpr5
	s_delay_alu instid0(VALU_DEP_1)
	v_cmpx_gt_i32_e64 s2, v2
	s_cbranch_execz .LBB140_20
; %bb.15:
	v_mul_f32_e32 v2, v6, v12
	s_delay_alu instid0(VALU_DEP_1) | instskip(NEXT) | instid1(VALU_DEP_1)
	v_mul_f32_e32 v2, s3, v2
	v_bfe_u32 v5, v2, 16, 1
	v_cmp_o_f32_e64 s0, v2, v2
	s_delay_alu instid0(VALU_DEP_2) | instskip(NEXT) | instid1(VALU_DEP_1)
	v_add3_u32 v5, v2, v5, 0x7fff
	v_lshrrev_b32_e32 v5, 16, v5
	s_delay_alu instid0(VALU_DEP_1) | instskip(SKIP_2) | instid1(SALU_CYCLE_1)
	v_cndmask_b32_e64 v5, 0x7fc0, v5, s0
	s_or_b32 exec_lo, exec_lo, s6
	s_and_saveexec_b32 s0, vcc_lo
	s_xor_b32 s0, exec_lo, s0
	s_cbranch_execnz .LBB140_21
.LBB140_16:
	s_or_b32 exec_lo, exec_lo, s0
	s_delay_alu instid0(SALU_CYCLE_1)
	s_mov_b32 s0, exec_lo
	v_cmpx_gt_i32_e64 s2, v0
	s_cbranch_execz .LBB140_22
.LBB140_17:
	v_dual_mov_b32 v2, 0 :: v_dual_add_nc_u32 v1, s1, v0
	v_add_nc_u32_e32 v0, 0x100, v0
	s_delay_alu instid0(VALU_DEP_2) | instskip(NEXT) | instid1(VALU_DEP_1)
	v_lshlrev_b64 v[1:2], 1, v[1:2]
	v_add_co_u32 v1, vcc_lo, s4, v1
	s_delay_alu instid0(VALU_DEP_2) | instskip(SKIP_2) | instid1(SALU_CYCLE_1)
	v_add_co_ci_u32_e32 v2, vcc_lo, s5, v2, vcc_lo
	global_store_b16 v[1:2], v8, off
	s_or_b32 exec_lo, exec_lo, s0
	s_mov_b32 s0, exec_lo
	v_cmpx_gt_i32_e64 s2, v0
	s_cbranch_execnz .LBB140_23
.LBB140_18:
	s_or_b32 exec_lo, exec_lo, s0
	s_delay_alu instid0(SALU_CYCLE_1)
	s_mov_b32 s0, exec_lo
	v_cmpx_gt_i32_e64 s2, v0
	s_cbranch_execz .LBB140_24
.LBB140_19:
	v_dual_mov_b32 v1, 0 :: v_dual_add_nc_u32 v0, s1, v0
	s_delay_alu instid0(VALU_DEP_1) | instskip(NEXT) | instid1(VALU_DEP_1)
	v_lshlrev_b64 v[0:1], 1, v[0:1]
	v_add_co_u32 v0, vcc_lo, s4, v0
	s_delay_alu instid0(VALU_DEP_2)
	v_add_co_ci_u32_e32 v1, vcc_lo, s5, v1, vcc_lo
	global_store_b16 v[0:1], v5, off
	s_nop 0
	s_sendmsg sendmsg(MSG_DEALLOC_VGPRS)
	s_endpgm
.LBB140_20:
	s_or_b32 exec_lo, exec_lo, s6
	s_and_saveexec_b32 s0, vcc_lo
	s_delay_alu instid0(SALU_CYCLE_1)
	s_xor_b32 s0, exec_lo, s0
	s_cbranch_execz .LBB140_16
.LBB140_21:
	v_mov_b32_e32 v2, 0
	s_delay_alu instid0(VALU_DEP_1) | instskip(NEXT) | instid1(VALU_DEP_1)
	v_lshlrev_b64 v[0:1], 1, v[1:2]
	v_add_co_u32 v6, vcc_lo, s4, v0
	s_delay_alu instid0(VALU_DEP_2) | instskip(SKIP_3) | instid1(SALU_CYCLE_1)
	v_add_co_ci_u32_e32 v7, vcc_lo, s5, v1, vcc_lo
	v_mov_b32_e32 v0, v3
	global_store_b16 v[6:7], v11, off
	s_or_b32 exec_lo, exec_lo, s0
	s_mov_b32 s0, exec_lo
	v_cmpx_gt_i32_e64 s2, v0
	s_cbranch_execnz .LBB140_17
.LBB140_22:
	s_or_b32 exec_lo, exec_lo, s0
	s_delay_alu instid0(SALU_CYCLE_1)
	s_mov_b32 s0, exec_lo
	v_cmpx_gt_i32_e64 s2, v0
	s_cbranch_execz .LBB140_18
.LBB140_23:
	v_dual_mov_b32 v2, 0 :: v_dual_add_nc_u32 v1, s1, v0
	v_add_nc_u32_e32 v0, 0x100, v0
	s_delay_alu instid0(VALU_DEP_2) | instskip(NEXT) | instid1(VALU_DEP_1)
	v_lshlrev_b64 v[1:2], 1, v[1:2]
	v_add_co_u32 v1, vcc_lo, s4, v1
	s_delay_alu instid0(VALU_DEP_2) | instskip(SKIP_2) | instid1(SALU_CYCLE_1)
	v_add_co_ci_u32_e32 v2, vcc_lo, s5, v2, vcc_lo
	global_store_b16 v[1:2], v4, off
	s_or_b32 exec_lo, exec_lo, s0
	s_mov_b32 s0, exec_lo
	v_cmpx_gt_i32_e64 s2, v0
	s_cbranch_execnz .LBB140_19
.LBB140_24:
	s_nop 0
	s_sendmsg sendmsg(MSG_DEALLOC_VGPRS)
	s_endpgm
	.section	.rodata,"a",@progbits
	.p2align	6, 0x0
	.amdhsa_kernel _ZN2at6native27unrolled_elementwise_kernelIZNS0_12_GLOBAL__N_119masked_scale_kernelIbN3c108BFloat16EfEEvRNS_6TensorERKS6_S9_T1_EUlS5_bE_St5arrayIPcLm3EELi4E23TrivialOffsetCalculatorILi2EjESF_ILi1EjENS0_6memory15LoadWithoutCastENSI_16StoreWithoutCastEEEviT_T0_T2_T3_T4_T5_
		.amdhsa_group_segment_fixed_size 0
		.amdhsa_private_segment_fixed_size 0
		.amdhsa_kernarg_size 36
		.amdhsa_user_sgpr_count 15
		.amdhsa_user_sgpr_dispatch_ptr 0
		.amdhsa_user_sgpr_queue_ptr 0
		.amdhsa_user_sgpr_kernarg_segment_ptr 1
		.amdhsa_user_sgpr_dispatch_id 0
		.amdhsa_user_sgpr_private_segment_size 0
		.amdhsa_wavefront_size32 1
		.amdhsa_uses_dynamic_stack 0
		.amdhsa_enable_private_segment 0
		.amdhsa_system_sgpr_workgroup_id_x 1
		.amdhsa_system_sgpr_workgroup_id_y 0
		.amdhsa_system_sgpr_workgroup_id_z 0
		.amdhsa_system_sgpr_workgroup_info 0
		.amdhsa_system_vgpr_workitem_id 0
		.amdhsa_next_free_vgpr 14
		.amdhsa_next_free_sgpr 16
		.amdhsa_reserve_vcc 1
		.amdhsa_float_round_mode_32 0
		.amdhsa_float_round_mode_16_64 0
		.amdhsa_float_denorm_mode_32 3
		.amdhsa_float_denorm_mode_16_64 3
		.amdhsa_dx10_clamp 1
		.amdhsa_ieee_mode 1
		.amdhsa_fp16_overflow 0
		.amdhsa_workgroup_processor_mode 1
		.amdhsa_memory_ordered 1
		.amdhsa_forward_progress 0
		.amdhsa_shared_vgpr_count 0
		.amdhsa_exception_fp_ieee_invalid_op 0
		.amdhsa_exception_fp_denorm_src 0
		.amdhsa_exception_fp_ieee_div_zero 0
		.amdhsa_exception_fp_ieee_overflow 0
		.amdhsa_exception_fp_ieee_underflow 0
		.amdhsa_exception_fp_ieee_inexact 0
		.amdhsa_exception_int_div_zero 0
	.end_amdhsa_kernel
	.section	.text._ZN2at6native27unrolled_elementwise_kernelIZNS0_12_GLOBAL__N_119masked_scale_kernelIbN3c108BFloat16EfEEvRNS_6TensorERKS6_S9_T1_EUlS5_bE_St5arrayIPcLm3EELi4E23TrivialOffsetCalculatorILi2EjESF_ILi1EjENS0_6memory15LoadWithoutCastENSI_16StoreWithoutCastEEEviT_T0_T2_T3_T4_T5_,"axG",@progbits,_ZN2at6native27unrolled_elementwise_kernelIZNS0_12_GLOBAL__N_119masked_scale_kernelIbN3c108BFloat16EfEEvRNS_6TensorERKS6_S9_T1_EUlS5_bE_St5arrayIPcLm3EELi4E23TrivialOffsetCalculatorILi2EjESF_ILi1EjENS0_6memory15LoadWithoutCastENSI_16StoreWithoutCastEEEviT_T0_T2_T3_T4_T5_,comdat
.Lfunc_end140:
	.size	_ZN2at6native27unrolled_elementwise_kernelIZNS0_12_GLOBAL__N_119masked_scale_kernelIbN3c108BFloat16EfEEvRNS_6TensorERKS6_S9_T1_EUlS5_bE_St5arrayIPcLm3EELi4E23TrivialOffsetCalculatorILi2EjESF_ILi1EjENS0_6memory15LoadWithoutCastENSI_16StoreWithoutCastEEEviT_T0_T2_T3_T4_T5_, .Lfunc_end140-_ZN2at6native27unrolled_elementwise_kernelIZNS0_12_GLOBAL__N_119masked_scale_kernelIbN3c108BFloat16EfEEvRNS_6TensorERKS6_S9_T1_EUlS5_bE_St5arrayIPcLm3EELi4E23TrivialOffsetCalculatorILi2EjESF_ILi1EjENS0_6memory15LoadWithoutCastENSI_16StoreWithoutCastEEEviT_T0_T2_T3_T4_T5_
                                        ; -- End function
	.section	.AMDGPU.csdata,"",@progbits
; Kernel info:
; codeLenInByte = 1276
; NumSgprs: 18
; NumVgprs: 14
; ScratchSize: 0
; MemoryBound: 0
; FloatMode: 240
; IeeeMode: 1
; LDSByteSize: 0 bytes/workgroup (compile time only)
; SGPRBlocks: 2
; VGPRBlocks: 1
; NumSGPRsForWavesPerEU: 18
; NumVGPRsForWavesPerEU: 14
; Occupancy: 16
; WaveLimiterHint : 0
; COMPUTE_PGM_RSRC2:SCRATCH_EN: 0
; COMPUTE_PGM_RSRC2:USER_SGPR: 15
; COMPUTE_PGM_RSRC2:TRAP_HANDLER: 0
; COMPUTE_PGM_RSRC2:TGID_X_EN: 1
; COMPUTE_PGM_RSRC2:TGID_Y_EN: 0
; COMPUTE_PGM_RSRC2:TGID_Z_EN: 0
; COMPUTE_PGM_RSRC2:TIDIG_COMP_CNT: 0
	.section	.text._ZN2at6native32elementwise_kernel_manual_unrollILi128ELi8EZNS0_22gpu_kernel_impl_nocastIZNS0_12_GLOBAL__N_119masked_scale_kernelIbN3c108BFloat16EfEEvRNS_6TensorERKS7_SA_T1_EUlS6_bE_EEvRNS_18TensorIteratorBaseERKT_EUlibE_EEviSB_,"axG",@progbits,_ZN2at6native32elementwise_kernel_manual_unrollILi128ELi8EZNS0_22gpu_kernel_impl_nocastIZNS0_12_GLOBAL__N_119masked_scale_kernelIbN3c108BFloat16EfEEvRNS_6TensorERKS7_SA_T1_EUlS6_bE_EEvRNS_18TensorIteratorBaseERKT_EUlibE_EEviSB_,comdat
	.globl	_ZN2at6native32elementwise_kernel_manual_unrollILi128ELi8EZNS0_22gpu_kernel_impl_nocastIZNS0_12_GLOBAL__N_119masked_scale_kernelIbN3c108BFloat16EfEEvRNS_6TensorERKS7_SA_T1_EUlS6_bE_EEvRNS_18TensorIteratorBaseERKT_EUlibE_EEviSB_ ; -- Begin function _ZN2at6native32elementwise_kernel_manual_unrollILi128ELi8EZNS0_22gpu_kernel_impl_nocastIZNS0_12_GLOBAL__N_119masked_scale_kernelIbN3c108BFloat16EfEEvRNS_6TensorERKS7_SA_T1_EUlS6_bE_EEvRNS_18TensorIteratorBaseERKT_EUlibE_EEviSB_
	.p2align	8
	.type	_ZN2at6native32elementwise_kernel_manual_unrollILi128ELi8EZNS0_22gpu_kernel_impl_nocastIZNS0_12_GLOBAL__N_119masked_scale_kernelIbN3c108BFloat16EfEEvRNS_6TensorERKS7_SA_T1_EUlS6_bE_EEvRNS_18TensorIteratorBaseERKT_EUlibE_EEviSB_,@function
_ZN2at6native32elementwise_kernel_manual_unrollILi128ELi8EZNS0_22gpu_kernel_impl_nocastIZNS0_12_GLOBAL__N_119masked_scale_kernelIbN3c108BFloat16EfEEvRNS_6TensorERKS7_SA_T1_EUlS6_bE_EEvRNS_18TensorIteratorBaseERKT_EUlibE_EEviSB_: ; @_ZN2at6native32elementwise_kernel_manual_unrollILi128ELi8EZNS0_22gpu_kernel_impl_nocastIZNS0_12_GLOBAL__N_119masked_scale_kernelIbN3c108BFloat16EfEEvRNS_6TensorERKS7_SA_T1_EUlS6_bE_EEvRNS_18TensorIteratorBaseERKT_EUlibE_EEviSB_
; %bb.0:
	s_clause 0x1
	s_load_b32 s22, s[0:1], 0x8
	s_load_b32 s29, s[0:1], 0x0
	v_lshl_or_b32 v18, s15, 10, v0
	s_or_b32 s0, s0, 8
	s_mov_b32 s2, exec_lo
	s_delay_alu instid0(VALU_DEP_1) | instskip(SKIP_2) | instid1(SALU_CYCLE_1)
	v_or_b32_e32 v24, 0x380, v18
	s_waitcnt lgkmcnt(0)
	s_add_i32 s23, s22, -1
	s_cmp_gt_u32 s23, 1
	s_cselect_b32 s24, -1, 0
	v_cmpx_le_i32_e64 s29, v24
	s_xor_b32 s25, exec_lo, s2
	s_cbranch_execz .LBB141_8
; %bb.1:
	s_clause 0x6
	s_load_b128 s[12:15], s[0:1], 0x4
	s_load_b64 s[18:19], s[0:1], 0x14
	s_load_b128 s[8:11], s[0:1], 0xc4
	s_load_b64 s[16:17], s[0:1], 0xd4
	s_load_b64 s[2:3], s[0:1], 0x198
	s_load_b128 s[4:7], s[0:1], 0x188
	s_load_b32 s26, s[0:1], 0x1a0
	s_cmp_lg_u32 s22, 0
	s_mov_b32 s31, exec_lo
	s_cselect_b32 s30, -1, 0
	s_min_u32 s28, s23, 15
	s_cmp_gt_u32 s22, 1
	s_cselect_b32 s27, -1, 0
	v_cmpx_gt_i32_e64 s29, v18
	s_cbranch_execz .LBB141_15
; %bb.2:
	s_and_not1_b32 vcc_lo, exec_lo, s24
	s_cbranch_vccnz .LBB141_97
; %bb.3:
	v_dual_mov_b32 v0, 0 :: v_dual_mov_b32 v1, 0
	v_mov_b32_e32 v2, 0
	s_and_not1_b32 vcc_lo, exec_lo, s30
	s_mov_b32 s33, 0
	s_cbranch_vccnz .LBB141_98
; %bb.4:
	s_add_i32 s20, s28, 1
	v_dual_mov_b32 v1, 0 :: v_dual_mov_b32 v2, 0
	v_dual_mov_b32 v0, 0 :: v_dual_mov_b32 v3, v18
	s_and_b32 s34, s20, 30
	s_add_u32 s20, s0, 0xffffffec
	s_addc_u32 s21, s1, -1
	s_set_inst_prefetch_distance 0x1
	.p2align	6
.LBB141_5:                              ; =>This Inner Loop Header: Depth=1
	s_clause 0x2
	s_load_b128 s[36:39], s[20:21], 0x18
	s_load_b64 s[44:45], s[20:21], 0x28
	s_load_b128 s[40:43], s[20:21], 0xd8
	s_waitcnt lgkmcnt(0)
	v_mul_hi_u32 v4, s37, v3
	s_delay_alu instid0(VALU_DEP_1) | instskip(NEXT) | instid1(VALU_DEP_1)
	v_add_nc_u32_e32 v4, v3, v4
	v_lshrrev_b32_e32 v4, s38, v4
	s_delay_alu instid0(VALU_DEP_1)
	v_mul_hi_u32 v5, s44, v4
	v_mul_lo_u32 v6, v4, s36
	s_load_b64 s[36:37], s[20:21], 0xe8
	s_add_u32 s20, s20, 24
	s_addc_u32 s21, s21, 0
	s_add_i32 s34, s34, -2
	s_delay_alu instid0(SALU_CYCLE_1) | instskip(NEXT) | instid1(VALU_DEP_2)
	s_cmp_lg_u32 s34, 0
	v_add_nc_u32_e32 v5, v4, v5
	s_delay_alu instid0(VALU_DEP_2) | instskip(NEXT) | instid1(VALU_DEP_2)
	v_sub_nc_u32_e32 v6, v3, v6
	v_lshrrev_b32_e32 v3, s45, v5
	s_delay_alu instid0(VALU_DEP_2) | instskip(NEXT) | instid1(VALU_DEP_2)
	v_mul_lo_u32 v7, v6, s40
	v_mul_lo_u32 v5, v3, s39
	s_delay_alu instid0(VALU_DEP_1) | instskip(SKIP_2) | instid1(VALU_DEP_3)
	v_sub_nc_u32_e32 v4, v4, v5
	v_mul_lo_u32 v5, v6, s41
	v_mul_lo_u32 v6, v6, s42
	;; [unrolled: 1-line block ×3, first 2 shown]
	s_waitcnt lgkmcnt(0)
	v_mul_lo_u32 v9, v4, s36
	v_mul_lo_u32 v4, v4, s37
	s_delay_alu instid0(VALU_DEP_3) | instskip(NEXT) | instid1(VALU_DEP_3)
	v_add3_u32 v0, v7, v0, v8
	v_add3_u32 v2, v5, v2, v9
	s_delay_alu instid0(VALU_DEP_3)
	v_add3_u32 v1, v6, v1, v4
	s_cbranch_scc1 .LBB141_5
; %bb.6:
	s_set_inst_prefetch_distance 0x2
	s_bitcmp1_b32 s28, 0
	s_cselect_b32 s34, -1, 0
	s_delay_alu instid0(SALU_CYCLE_1)
	s_and_b32 vcc_lo, exec_lo, s34
	s_cbranch_vccnz .LBB141_98
; %bb.7:
	s_clause 0x3
	s_load_b64 s[34:35], s[20:21], 0x18
	s_load_b32 s38, s[20:21], 0x20
	s_load_b64 s[36:37], s[20:21], 0xd8
	s_load_b32 s20, s[20:21], 0xe0
	s_waitcnt lgkmcnt(0)
	v_mul_hi_u32 v4, s35, v3
	s_delay_alu instid0(VALU_DEP_1) | instskip(NEXT) | instid1(VALU_DEP_1)
	v_add_nc_u32_e32 v4, v3, v4
	v_lshrrev_b32_e32 v4, s38, v4
	s_delay_alu instid0(VALU_DEP_1) | instskip(NEXT) | instid1(VALU_DEP_1)
	v_mul_lo_u32 v4, v4, s34
	v_sub_nc_u32_e32 v7, v3, v4
	s_delay_alu instid0(VALU_DEP_1) | instskip(NEXT) | instid1(VALU_DEP_1)
	v_mad_u64_u32 v[3:4], null, v7, s36, v[0:1]
	v_mad_u64_u32 v[4:5], null, v7, s37, v[2:3]
	;; [unrolled: 1-line block ×3, first 2 shown]
	v_mov_b32_e32 v0, v3
	s_delay_alu instid0(VALU_DEP_2)
	v_dual_mov_b32 v2, v4 :: v_dual_mov_b32 v1, v5
	s_branch .LBB141_98
.LBB141_8:
	s_and_not1_saveexec_b32 s2, s25
	s_cbranch_execz .LBB141_164
.LBB141_9:
	v_cndmask_b32_e64 v21, 0, 1, s24
	s_and_not1_b32 vcc_lo, exec_lo, s24
	s_cbranch_vccnz .LBB141_22
; %bb.10:
	v_dual_mov_b32 v0, 0 :: v_dual_mov_b32 v1, 0
	v_mov_b32_e32 v2, 0
	s_cmp_lg_u32 s22, 0
	s_mov_b32 s4, 0
	s_cbranch_scc0 .LBB141_23
; %bb.11:
	s_min_u32 s5, s23, 15
	v_dual_mov_b32 v1, 0 :: v_dual_mov_b32 v2, 0
	s_add_i32 s2, s5, 1
	v_dual_mov_b32 v0, 0 :: v_dual_mov_b32 v3, v18
	s_and_b32 s6, s2, 30
	s_add_u32 s2, s0, 0xffffffec
	s_addc_u32 s3, s1, -1
	s_set_inst_prefetch_distance 0x1
	.p2align	6
.LBB141_12:                             ; =>This Inner Loop Header: Depth=1
	s_clause 0x2
	s_load_b128 s[8:11], s[2:3], 0x18
	s_load_b64 s[16:17], s[2:3], 0x28
	s_load_b128 s[12:15], s[2:3], 0xd8
	s_waitcnt lgkmcnt(0)
	v_mul_hi_u32 v4, s9, v3
	s_delay_alu instid0(VALU_DEP_1) | instskip(NEXT) | instid1(VALU_DEP_1)
	v_add_nc_u32_e32 v4, v3, v4
	v_lshrrev_b32_e32 v4, s10, v4
	s_delay_alu instid0(VALU_DEP_1)
	v_mul_hi_u32 v5, s16, v4
	v_mul_lo_u32 v6, v4, s8
	s_load_b64 s[8:9], s[2:3], 0xe8
	s_add_u32 s2, s2, 24
	s_addc_u32 s3, s3, 0
	s_add_i32 s6, s6, -2
	s_delay_alu instid0(SALU_CYCLE_1) | instskip(NEXT) | instid1(VALU_DEP_2)
	s_cmp_lg_u32 s6, 0
	v_add_nc_u32_e32 v5, v4, v5
	s_delay_alu instid0(VALU_DEP_2) | instskip(NEXT) | instid1(VALU_DEP_2)
	v_sub_nc_u32_e32 v6, v3, v6
	v_lshrrev_b32_e32 v3, s17, v5
	s_delay_alu instid0(VALU_DEP_2) | instskip(NEXT) | instid1(VALU_DEP_2)
	v_mul_lo_u32 v7, v6, s12
	v_mul_lo_u32 v5, v3, s11
	s_delay_alu instid0(VALU_DEP_1) | instskip(SKIP_2) | instid1(VALU_DEP_3)
	v_sub_nc_u32_e32 v4, v4, v5
	v_mul_lo_u32 v5, v6, s13
	v_mul_lo_u32 v6, v6, s14
	;; [unrolled: 1-line block ×3, first 2 shown]
	s_waitcnt lgkmcnt(0)
	v_mul_lo_u32 v9, v4, s8
	v_mul_lo_u32 v4, v4, s9
	s_delay_alu instid0(VALU_DEP_3) | instskip(NEXT) | instid1(VALU_DEP_3)
	v_add3_u32 v0, v7, v0, v8
	v_add3_u32 v2, v5, v2, v9
	s_delay_alu instid0(VALU_DEP_3)
	v_add3_u32 v1, v6, v1, v4
	s_cbranch_scc1 .LBB141_12
; %bb.13:
	s_set_inst_prefetch_distance 0x2
	s_bitcmp1_b32 s5, 0
	s_cselect_b32 s5, -1, 0
	s_delay_alu instid0(SALU_CYCLE_1)
	s_and_b32 vcc_lo, exec_lo, s5
	s_cbranch_vccnz .LBB141_23
; %bb.14:
	s_clause 0x3
	s_load_b64 s[6:7], s[2:3], 0x18
	s_load_b32 s5, s[2:3], 0x20
	s_load_b64 s[8:9], s[2:3], 0xd8
	s_load_b32 s2, s[2:3], 0xe0
	s_waitcnt lgkmcnt(0)
	v_mul_hi_u32 v4, s7, v3
	s_delay_alu instid0(VALU_DEP_1) | instskip(NEXT) | instid1(VALU_DEP_1)
	v_add_nc_u32_e32 v4, v3, v4
	v_lshrrev_b32_e32 v4, s5, v4
	s_delay_alu instid0(VALU_DEP_1) | instskip(NEXT) | instid1(VALU_DEP_1)
	v_mul_lo_u32 v4, v4, s6
	v_sub_nc_u32_e32 v7, v3, v4
	s_delay_alu instid0(VALU_DEP_1) | instskip(NEXT) | instid1(VALU_DEP_1)
	v_mad_u64_u32 v[3:4], null, v7, s8, v[0:1]
	v_mad_u64_u32 v[4:5], null, v7, s9, v[2:3]
	;; [unrolled: 1-line block ×3, first 2 shown]
	v_mov_b32_e32 v0, v3
	s_delay_alu instid0(VALU_DEP_2)
	v_dual_mov_b32 v2, v4 :: v_dual_mov_b32 v1, v5
	s_branch .LBB141_23
.LBB141_15:
	s_or_b32 exec_lo, exec_lo, s31
	s_delay_alu instid0(SALU_CYCLE_1)
	s_mov_b32 s31, exec_lo
	v_cmpx_gt_i32_e64 s29, v18
	s_cbranch_execz .LBB141_102
.LBB141_16:
	s_and_not1_b32 vcc_lo, exec_lo, s24
	s_cbranch_vccnz .LBB141_109
; %bb.17:
	v_dual_mov_b32 v0, 0 :: v_dual_mov_b32 v1, 0
	v_mov_b32_e32 v2, 0
	s_and_not1_b32 vcc_lo, exec_lo, s30
	s_mov_b32 s33, 0
	s_cbranch_vccnz .LBB141_110
; %bb.18:
	s_add_i32 s20, s28, 1
	v_dual_mov_b32 v1, 0 :: v_dual_mov_b32 v2, 0
	v_dual_mov_b32 v0, 0 :: v_dual_mov_b32 v3, v18
	s_and_b32 s34, s20, 30
	s_add_u32 s20, s0, 0xffffffec
	s_addc_u32 s21, s1, -1
	s_set_inst_prefetch_distance 0x1
	.p2align	6
.LBB141_19:                             ; =>This Inner Loop Header: Depth=1
	s_clause 0x2
	s_load_b128 s[36:39], s[20:21], 0x18
	s_load_b64 s[44:45], s[20:21], 0x28
	s_load_b128 s[40:43], s[20:21], 0xd8
	s_waitcnt lgkmcnt(0)
	v_mul_hi_u32 v4, s37, v3
	s_delay_alu instid0(VALU_DEP_1) | instskip(NEXT) | instid1(VALU_DEP_1)
	v_add_nc_u32_e32 v4, v3, v4
	v_lshrrev_b32_e32 v4, s38, v4
	s_delay_alu instid0(VALU_DEP_1)
	v_mul_hi_u32 v5, s44, v4
	v_mul_lo_u32 v6, v4, s36
	s_load_b64 s[36:37], s[20:21], 0xe8
	s_add_u32 s20, s20, 24
	s_addc_u32 s21, s21, 0
	s_add_i32 s34, s34, -2
	s_delay_alu instid0(SALU_CYCLE_1) | instskip(NEXT) | instid1(VALU_DEP_2)
	s_cmp_eq_u32 s34, 0
	v_add_nc_u32_e32 v5, v4, v5
	s_delay_alu instid0(VALU_DEP_2) | instskip(NEXT) | instid1(VALU_DEP_2)
	v_sub_nc_u32_e32 v6, v3, v6
	v_lshrrev_b32_e32 v3, s45, v5
	s_delay_alu instid0(VALU_DEP_2) | instskip(NEXT) | instid1(VALU_DEP_2)
	v_mul_lo_u32 v7, v6, s40
	v_mul_lo_u32 v5, v3, s39
	s_delay_alu instid0(VALU_DEP_1) | instskip(SKIP_2) | instid1(VALU_DEP_3)
	v_sub_nc_u32_e32 v4, v4, v5
	v_mul_lo_u32 v5, v6, s41
	v_mul_lo_u32 v6, v6, s42
	;; [unrolled: 1-line block ×3, first 2 shown]
	s_waitcnt lgkmcnt(0)
	v_mul_lo_u32 v9, v4, s36
	v_mul_lo_u32 v4, v4, s37
	s_delay_alu instid0(VALU_DEP_3) | instskip(NEXT) | instid1(VALU_DEP_3)
	v_add3_u32 v0, v7, v0, v8
	v_add3_u32 v2, v5, v2, v9
	s_delay_alu instid0(VALU_DEP_3)
	v_add3_u32 v1, v6, v1, v4
	s_cbranch_scc0 .LBB141_19
; %bb.20:
	s_set_inst_prefetch_distance 0x2
	s_bitcmp1_b32 s28, 0
	s_cselect_b32 s34, -1, 0
	s_delay_alu instid0(SALU_CYCLE_1)
	s_and_b32 vcc_lo, exec_lo, s34
	s_cbranch_vccnz .LBB141_110
; %bb.21:
	s_clause 0x3
	s_load_b64 s[34:35], s[20:21], 0x18
	s_load_b32 s38, s[20:21], 0x20
	s_load_b64 s[36:37], s[20:21], 0xd8
	s_load_b32 s20, s[20:21], 0xe0
	s_waitcnt lgkmcnt(0)
	v_mul_hi_u32 v4, s35, v3
	s_delay_alu instid0(VALU_DEP_1) | instskip(NEXT) | instid1(VALU_DEP_1)
	v_add_nc_u32_e32 v4, v3, v4
	v_lshrrev_b32_e32 v4, s38, v4
	s_delay_alu instid0(VALU_DEP_1) | instskip(NEXT) | instid1(VALU_DEP_1)
	v_mul_lo_u32 v4, v4, s34
	v_sub_nc_u32_e32 v7, v3, v4
	s_delay_alu instid0(VALU_DEP_1) | instskip(NEXT) | instid1(VALU_DEP_1)
	v_mad_u64_u32 v[3:4], null, v7, s36, v[0:1]
	v_mad_u64_u32 v[4:5], null, v7, s37, v[2:3]
	;; [unrolled: 1-line block ×3, first 2 shown]
	v_mov_b32_e32 v0, v3
	s_delay_alu instid0(VALU_DEP_2)
	v_dual_mov_b32 v2, v4 :: v_dual_mov_b32 v1, v5
	s_branch .LBB141_110
.LBB141_22:
	s_mov_b32 s4, -1
                                        ; implicit-def: $vgpr0
                                        ; implicit-def: $vgpr2
                                        ; implicit-def: $vgpr1
.LBB141_23:
	s_delay_alu instid0(SALU_CYCLE_1)
	s_and_not1_b32 vcc_lo, exec_lo, s4
	s_cbranch_vccnz .LBB141_26
; %bb.24:
	s_clause 0x1
	s_load_b128 s[4:7], s[0:1], 0x4
	s_load_b128 s[8:11], s[0:1], 0xc4
	s_cmp_lt_u32 s22, 2
	s_waitcnt lgkmcnt(0)
	v_mul_hi_u32 v0, s5, v18
	s_delay_alu instid0(VALU_DEP_1) | instskip(NEXT) | instid1(VALU_DEP_1)
	v_add_nc_u32_e32 v0, v18, v0
	v_lshrrev_b32_e32 v3, s6, v0
	s_delay_alu instid0(VALU_DEP_1) | instskip(NEXT) | instid1(VALU_DEP_1)
	v_mul_lo_u32 v0, v3, s4
	v_sub_nc_u32_e32 v1, v18, v0
	s_delay_alu instid0(VALU_DEP_1)
	v_mul_lo_u32 v0, v1, s8
	v_mul_lo_u32 v2, v1, s9
	;; [unrolled: 1-line block ×3, first 2 shown]
	s_cbranch_scc1 .LBB141_26
; %bb.25:
	s_clause 0x1
	s_load_b128 s[4:7], s[0:1], 0x10
	s_load_b128 s[8:11], s[0:1], 0xd0
	s_waitcnt lgkmcnt(0)
	v_mul_hi_u32 v4, s5, v3
	s_delay_alu instid0(VALU_DEP_1) | instskip(NEXT) | instid1(VALU_DEP_1)
	v_add_nc_u32_e32 v4, v3, v4
	v_lshrrev_b32_e32 v4, s6, v4
	s_delay_alu instid0(VALU_DEP_1) | instskip(NEXT) | instid1(VALU_DEP_1)
	v_mul_lo_u32 v4, v4, s4
	v_sub_nc_u32_e32 v7, v3, v4
	s_delay_alu instid0(VALU_DEP_1) | instskip(NEXT) | instid1(VALU_DEP_1)
	v_mad_u64_u32 v[3:4], null, v7, s8, v[0:1]
	v_mad_u64_u32 v[4:5], null, v7, s9, v[2:3]
	;; [unrolled: 1-line block ×3, first 2 shown]
	v_mov_b32_e32 v0, v3
	s_delay_alu instid0(VALU_DEP_2)
	v_dual_mov_b32 v2, v4 :: v_dual_mov_b32 v1, v5
.LBB141_26:
	v_cmp_ne_u32_e32 vcc_lo, 1, v21
	v_add_nc_u32_e32 v6, 0x80, v18
	s_cbranch_vccnz .LBB141_32
; %bb.27:
	v_dual_mov_b32 v3, 0 :: v_dual_mov_b32 v4, 0
	v_mov_b32_e32 v5, 0
	s_cmp_lg_u32 s22, 0
	s_mov_b32 s4, 0
	s_cbranch_scc0 .LBB141_33
; %bb.28:
	s_min_u32 s5, s23, 15
	v_dual_mov_b32 v4, 0 :: v_dual_mov_b32 v5, 0
	s_add_i32 s2, s5, 1
	v_mov_b32_e32 v3, 0
	v_mov_b32_e32 v7, v6
	s_and_b32 s6, s2, 30
	s_add_u32 s2, s0, 0xffffffec
	s_addc_u32 s3, s1, -1
	s_set_inst_prefetch_distance 0x1
	.p2align	6
.LBB141_29:                             ; =>This Inner Loop Header: Depth=1
	s_clause 0x2
	s_load_b128 s[8:11], s[2:3], 0x18
	s_load_b64 s[16:17], s[2:3], 0x28
	s_load_b128 s[12:15], s[2:3], 0xd8
	s_waitcnt lgkmcnt(0)
	v_mul_hi_u32 v8, s9, v7
	s_delay_alu instid0(VALU_DEP_1) | instskip(NEXT) | instid1(VALU_DEP_1)
	v_add_nc_u32_e32 v8, v7, v8
	v_lshrrev_b32_e32 v8, s10, v8
	s_delay_alu instid0(VALU_DEP_1)
	v_mul_hi_u32 v9, s16, v8
	v_mul_lo_u32 v10, v8, s8
	s_load_b64 s[8:9], s[2:3], 0xe8
	s_add_u32 s2, s2, 24
	s_addc_u32 s3, s3, 0
	s_add_i32 s6, s6, -2
	s_delay_alu instid0(SALU_CYCLE_1) | instskip(NEXT) | instid1(VALU_DEP_2)
	s_cmp_lg_u32 s6, 0
	v_add_nc_u32_e32 v9, v8, v9
	s_delay_alu instid0(VALU_DEP_2) | instskip(NEXT) | instid1(VALU_DEP_2)
	v_sub_nc_u32_e32 v10, v7, v10
	v_lshrrev_b32_e32 v7, s17, v9
	s_delay_alu instid0(VALU_DEP_2) | instskip(NEXT) | instid1(VALU_DEP_2)
	v_mul_lo_u32 v11, v10, s12
	v_mul_lo_u32 v9, v7, s11
	s_delay_alu instid0(VALU_DEP_1) | instskip(SKIP_2) | instid1(VALU_DEP_3)
	v_sub_nc_u32_e32 v8, v8, v9
	v_mul_lo_u32 v9, v10, s13
	v_mul_lo_u32 v10, v10, s14
	;; [unrolled: 1-line block ×3, first 2 shown]
	s_waitcnt lgkmcnt(0)
	v_mul_lo_u32 v13, v8, s8
	v_mul_lo_u32 v8, v8, s9
	s_delay_alu instid0(VALU_DEP_3) | instskip(NEXT) | instid1(VALU_DEP_3)
	v_add3_u32 v3, v11, v3, v12
	v_add3_u32 v5, v9, v5, v13
	s_delay_alu instid0(VALU_DEP_3)
	v_add3_u32 v4, v10, v4, v8
	s_cbranch_scc1 .LBB141_29
; %bb.30:
	s_set_inst_prefetch_distance 0x2
	s_bitcmp1_b32 s5, 0
	s_cselect_b32 s5, -1, 0
	s_delay_alu instid0(SALU_CYCLE_1)
	s_and_b32 vcc_lo, exec_lo, s5
	s_cbranch_vccnz .LBB141_33
; %bb.31:
	s_clause 0x3
	s_load_b64 s[6:7], s[2:3], 0x18
	s_load_b32 s5, s[2:3], 0x20
	s_load_b64 s[8:9], s[2:3], 0xd8
	s_load_b32 s2, s[2:3], 0xe0
	s_waitcnt lgkmcnt(0)
	v_mul_hi_u32 v8, s7, v7
	s_delay_alu instid0(VALU_DEP_1) | instskip(NEXT) | instid1(VALU_DEP_1)
	v_add_nc_u32_e32 v8, v7, v8
	v_lshrrev_b32_e32 v8, s5, v8
	s_delay_alu instid0(VALU_DEP_1) | instskip(NEXT) | instid1(VALU_DEP_1)
	v_mul_lo_u32 v8, v8, s6
	v_sub_nc_u32_e32 v11, v7, v8
	s_delay_alu instid0(VALU_DEP_1) | instskip(SKIP_2) | instid1(VALU_DEP_3)
	v_mad_u64_u32 v[7:8], null, v11, s8, v[3:4]
	v_mad_u64_u32 v[8:9], null, v11, s9, v[5:6]
	;; [unrolled: 1-line block ×3, first 2 shown]
	v_mov_b32_e32 v3, v7
	s_delay_alu instid0(VALU_DEP_2)
	v_dual_mov_b32 v5, v8 :: v_dual_mov_b32 v4, v9
	s_branch .LBB141_33
.LBB141_32:
	s_mov_b32 s4, -1
                                        ; implicit-def: $vgpr3
                                        ; implicit-def: $vgpr5
                                        ; implicit-def: $vgpr4
.LBB141_33:
	s_delay_alu instid0(SALU_CYCLE_1)
	s_and_not1_b32 vcc_lo, exec_lo, s4
	s_cbranch_vccnz .LBB141_36
; %bb.34:
	s_clause 0x1
	s_load_b128 s[4:7], s[0:1], 0x4
	s_load_b128 s[8:11], s[0:1], 0xc4
	s_cmp_lt_u32 s22, 2
	s_waitcnt lgkmcnt(0)
	v_mul_hi_u32 v3, s5, v6
	s_delay_alu instid0(VALU_DEP_1) | instskip(NEXT) | instid1(VALU_DEP_1)
	v_add_nc_u32_e32 v3, v6, v3
	v_lshrrev_b32_e32 v7, s6, v3
	s_delay_alu instid0(VALU_DEP_1) | instskip(NEXT) | instid1(VALU_DEP_1)
	v_mul_lo_u32 v3, v7, s4
	v_sub_nc_u32_e32 v4, v6, v3
	s_delay_alu instid0(VALU_DEP_1)
	v_mul_lo_u32 v3, v4, s8
	v_mul_lo_u32 v5, v4, s9
	v_mul_lo_u32 v4, v4, s10
	s_cbranch_scc1 .LBB141_36
; %bb.35:
	s_clause 0x1
	s_load_b128 s[4:7], s[0:1], 0x10
	s_load_b128 s[8:11], s[0:1], 0xd0
	s_waitcnt lgkmcnt(0)
	v_mul_hi_u32 v6, s5, v7
	s_delay_alu instid0(VALU_DEP_1) | instskip(NEXT) | instid1(VALU_DEP_1)
	v_add_nc_u32_e32 v6, v7, v6
	v_lshrrev_b32_e32 v6, s6, v6
	s_delay_alu instid0(VALU_DEP_1) | instskip(NEXT) | instid1(VALU_DEP_1)
	v_mul_lo_u32 v6, v6, s4
	v_sub_nc_u32_e32 v10, v7, v6
	s_delay_alu instid0(VALU_DEP_1) | instskip(NEXT) | instid1(VALU_DEP_1)
	v_mad_u64_u32 v[6:7], null, v10, s8, v[3:4]
	v_mad_u64_u32 v[7:8], null, v10, s9, v[5:6]
	;; [unrolled: 1-line block ×3, first 2 shown]
	v_mov_b32_e32 v3, v6
	s_delay_alu instid0(VALU_DEP_2)
	v_dual_mov_b32 v5, v7 :: v_dual_mov_b32 v4, v8
.LBB141_36:
	v_cmp_ne_u32_e32 vcc_lo, 1, v21
	v_add_nc_u32_e32 v9, 0x100, v18
	s_cbranch_vccnz .LBB141_42
; %bb.37:
	v_dual_mov_b32 v6, 0 :: v_dual_mov_b32 v7, 0
	v_mov_b32_e32 v8, 0
	s_cmp_lg_u32 s22, 0
	s_mov_b32 s4, 0
	s_cbranch_scc0 .LBB141_43
; %bb.38:
	s_min_u32 s5, s23, 15
	v_dual_mov_b32 v7, 0 :: v_dual_mov_b32 v8, 0
	s_add_i32 s2, s5, 1
	v_mov_b32_e32 v6, 0
	v_mov_b32_e32 v10, v9
	s_and_b32 s6, s2, 30
	s_add_u32 s2, s0, 0xffffffec
	s_addc_u32 s3, s1, -1
	s_set_inst_prefetch_distance 0x1
	.p2align	6
.LBB141_39:                             ; =>This Inner Loop Header: Depth=1
	s_clause 0x2
	s_load_b128 s[8:11], s[2:3], 0x18
	s_load_b64 s[16:17], s[2:3], 0x28
	s_load_b128 s[12:15], s[2:3], 0xd8
	s_waitcnt lgkmcnt(0)
	v_mul_hi_u32 v11, s9, v10
	s_delay_alu instid0(VALU_DEP_1) | instskip(NEXT) | instid1(VALU_DEP_1)
	v_add_nc_u32_e32 v11, v10, v11
	v_lshrrev_b32_e32 v11, s10, v11
	s_delay_alu instid0(VALU_DEP_1)
	v_mul_hi_u32 v12, s16, v11
	v_mul_lo_u32 v13, v11, s8
	s_load_b64 s[8:9], s[2:3], 0xe8
	s_add_u32 s2, s2, 24
	s_addc_u32 s3, s3, 0
	s_add_i32 s6, s6, -2
	s_delay_alu instid0(SALU_CYCLE_1) | instskip(NEXT) | instid1(VALU_DEP_2)
	s_cmp_lg_u32 s6, 0
	v_add_nc_u32_e32 v12, v11, v12
	s_delay_alu instid0(VALU_DEP_2) | instskip(NEXT) | instid1(VALU_DEP_2)
	v_sub_nc_u32_e32 v13, v10, v13
	v_lshrrev_b32_e32 v10, s17, v12
	s_delay_alu instid0(VALU_DEP_2) | instskip(NEXT) | instid1(VALU_DEP_2)
	v_mul_lo_u32 v14, v13, s12
	v_mul_lo_u32 v12, v10, s11
	s_delay_alu instid0(VALU_DEP_1) | instskip(SKIP_2) | instid1(VALU_DEP_3)
	v_sub_nc_u32_e32 v11, v11, v12
	v_mul_lo_u32 v12, v13, s13
	v_mul_lo_u32 v13, v13, s14
	;; [unrolled: 1-line block ×3, first 2 shown]
	s_waitcnt lgkmcnt(0)
	v_mul_lo_u32 v16, v11, s8
	v_mul_lo_u32 v11, v11, s9
	s_delay_alu instid0(VALU_DEP_3) | instskip(NEXT) | instid1(VALU_DEP_3)
	v_add3_u32 v6, v14, v6, v15
	v_add3_u32 v8, v12, v8, v16
	s_delay_alu instid0(VALU_DEP_3)
	v_add3_u32 v7, v13, v7, v11
	s_cbranch_scc1 .LBB141_39
; %bb.40:
	s_set_inst_prefetch_distance 0x2
	s_bitcmp1_b32 s5, 0
	s_cselect_b32 s5, -1, 0
	s_delay_alu instid0(SALU_CYCLE_1)
	s_and_b32 vcc_lo, exec_lo, s5
	s_cbranch_vccnz .LBB141_43
; %bb.41:
	s_clause 0x3
	s_load_b64 s[6:7], s[2:3], 0x18
	s_load_b32 s5, s[2:3], 0x20
	s_load_b64 s[8:9], s[2:3], 0xd8
	s_load_b32 s2, s[2:3], 0xe0
	s_waitcnt lgkmcnt(0)
	v_mul_hi_u32 v11, s7, v10
	s_delay_alu instid0(VALU_DEP_1) | instskip(NEXT) | instid1(VALU_DEP_1)
	v_add_nc_u32_e32 v11, v10, v11
	v_lshrrev_b32_e32 v11, s5, v11
	s_delay_alu instid0(VALU_DEP_1) | instskip(NEXT) | instid1(VALU_DEP_1)
	v_mul_lo_u32 v11, v11, s6
	v_sub_nc_u32_e32 v14, v10, v11
	s_delay_alu instid0(VALU_DEP_1) | instskip(SKIP_2) | instid1(VALU_DEP_3)
	v_mad_u64_u32 v[10:11], null, v14, s8, v[6:7]
	v_mad_u64_u32 v[11:12], null, v14, s9, v[8:9]
	;; [unrolled: 1-line block ×3, first 2 shown]
	v_mov_b32_e32 v6, v10
	s_delay_alu instid0(VALU_DEP_2)
	v_dual_mov_b32 v8, v11 :: v_dual_mov_b32 v7, v12
	s_branch .LBB141_43
.LBB141_42:
	s_mov_b32 s4, -1
                                        ; implicit-def: $vgpr6
                                        ; implicit-def: $vgpr8
                                        ; implicit-def: $vgpr7
.LBB141_43:
	s_delay_alu instid0(SALU_CYCLE_1)
	s_and_not1_b32 vcc_lo, exec_lo, s4
	s_cbranch_vccnz .LBB141_46
; %bb.44:
	s_clause 0x1
	s_load_b128 s[4:7], s[0:1], 0x4
	s_load_b128 s[8:11], s[0:1], 0xc4
	s_cmp_lt_u32 s22, 2
	s_waitcnt lgkmcnt(0)
	v_mul_hi_u32 v6, s5, v9
	s_delay_alu instid0(VALU_DEP_1) | instskip(NEXT) | instid1(VALU_DEP_1)
	v_add_nc_u32_e32 v6, v9, v6
	v_lshrrev_b32_e32 v10, s6, v6
	s_delay_alu instid0(VALU_DEP_1) | instskip(NEXT) | instid1(VALU_DEP_1)
	v_mul_lo_u32 v6, v10, s4
	v_sub_nc_u32_e32 v7, v9, v6
	s_delay_alu instid0(VALU_DEP_1)
	v_mul_lo_u32 v6, v7, s8
	v_mul_lo_u32 v8, v7, s9
	;; [unrolled: 1-line block ×3, first 2 shown]
	s_cbranch_scc1 .LBB141_46
; %bb.45:
	s_clause 0x1
	s_load_b128 s[4:7], s[0:1], 0x10
	s_load_b128 s[8:11], s[0:1], 0xd0
	s_waitcnt lgkmcnt(0)
	v_mul_hi_u32 v9, s5, v10
	s_delay_alu instid0(VALU_DEP_1) | instskip(NEXT) | instid1(VALU_DEP_1)
	v_add_nc_u32_e32 v9, v10, v9
	v_lshrrev_b32_e32 v9, s6, v9
	s_delay_alu instid0(VALU_DEP_1) | instskip(NEXT) | instid1(VALU_DEP_1)
	v_mul_lo_u32 v9, v9, s4
	v_sub_nc_u32_e32 v13, v10, v9
	s_delay_alu instid0(VALU_DEP_1) | instskip(NEXT) | instid1(VALU_DEP_1)
	v_mad_u64_u32 v[9:10], null, v13, s8, v[6:7]
	v_mad_u64_u32 v[10:11], null, v13, s9, v[8:9]
	v_mad_u64_u32 v[11:12], null, v13, s10, v[7:8]
	v_mov_b32_e32 v6, v9
	s_delay_alu instid0(VALU_DEP_2)
	v_dual_mov_b32 v8, v10 :: v_dual_mov_b32 v7, v11
.LBB141_46:
	v_cmp_ne_u32_e32 vcc_lo, 1, v21
	v_add_nc_u32_e32 v12, 0x180, v18
	s_cbranch_vccnz .LBB141_52
; %bb.47:
	v_dual_mov_b32 v9, 0 :: v_dual_mov_b32 v10, 0
	v_mov_b32_e32 v11, 0
	s_cmp_lg_u32 s22, 0
	s_mov_b32 s4, 0
	s_cbranch_scc0 .LBB141_53
; %bb.48:
	s_min_u32 s5, s23, 15
	v_dual_mov_b32 v10, 0 :: v_dual_mov_b32 v11, 0
	s_add_i32 s2, s5, 1
	v_mov_b32_e32 v9, 0
	v_mov_b32_e32 v13, v12
	s_and_b32 s6, s2, 30
	s_add_u32 s2, s0, 0xffffffec
	s_addc_u32 s3, s1, -1
	s_set_inst_prefetch_distance 0x1
	.p2align	6
.LBB141_49:                             ; =>This Inner Loop Header: Depth=1
	s_clause 0x2
	s_load_b128 s[8:11], s[2:3], 0x18
	s_load_b64 s[16:17], s[2:3], 0x28
	s_load_b128 s[12:15], s[2:3], 0xd8
	s_waitcnt lgkmcnt(0)
	v_mul_hi_u32 v14, s9, v13
	s_delay_alu instid0(VALU_DEP_1) | instskip(NEXT) | instid1(VALU_DEP_1)
	v_add_nc_u32_e32 v14, v13, v14
	v_lshrrev_b32_e32 v14, s10, v14
	s_delay_alu instid0(VALU_DEP_1)
	v_mul_hi_u32 v15, s16, v14
	v_mul_lo_u32 v16, v14, s8
	s_load_b64 s[8:9], s[2:3], 0xe8
	s_add_u32 s2, s2, 24
	s_addc_u32 s3, s3, 0
	s_add_i32 s6, s6, -2
	s_delay_alu instid0(SALU_CYCLE_1) | instskip(NEXT) | instid1(VALU_DEP_2)
	s_cmp_lg_u32 s6, 0
	v_add_nc_u32_e32 v15, v14, v15
	s_delay_alu instid0(VALU_DEP_2) | instskip(NEXT) | instid1(VALU_DEP_2)
	v_sub_nc_u32_e32 v16, v13, v16
	v_lshrrev_b32_e32 v13, s17, v15
	s_delay_alu instid0(VALU_DEP_2) | instskip(NEXT) | instid1(VALU_DEP_2)
	v_mul_lo_u32 v17, v16, s12
	v_mul_lo_u32 v15, v13, s11
	s_delay_alu instid0(VALU_DEP_1) | instskip(SKIP_2) | instid1(VALU_DEP_3)
	v_sub_nc_u32_e32 v14, v14, v15
	v_mul_lo_u32 v15, v16, s13
	v_mul_lo_u32 v16, v16, s14
	;; [unrolled: 1-line block ×3, first 2 shown]
	s_waitcnt lgkmcnt(0)
	v_mul_lo_u32 v20, v14, s8
	v_mul_lo_u32 v14, v14, s9
	s_delay_alu instid0(VALU_DEP_3) | instskip(NEXT) | instid1(VALU_DEP_3)
	v_add3_u32 v9, v17, v9, v19
	v_add3_u32 v11, v15, v11, v20
	s_delay_alu instid0(VALU_DEP_3)
	v_add3_u32 v10, v16, v10, v14
	s_cbranch_scc1 .LBB141_49
; %bb.50:
	s_set_inst_prefetch_distance 0x2
	s_bitcmp1_b32 s5, 0
	s_cselect_b32 s5, -1, 0
	s_delay_alu instid0(SALU_CYCLE_1)
	s_and_b32 vcc_lo, exec_lo, s5
	s_cbranch_vccnz .LBB141_53
; %bb.51:
	s_clause 0x3
	s_load_b64 s[6:7], s[2:3], 0x18
	s_load_b32 s5, s[2:3], 0x20
	s_load_b64 s[8:9], s[2:3], 0xd8
	s_load_b32 s2, s[2:3], 0xe0
	s_waitcnt lgkmcnt(0)
	v_mul_hi_u32 v14, s7, v13
	s_delay_alu instid0(VALU_DEP_1) | instskip(NEXT) | instid1(VALU_DEP_1)
	v_add_nc_u32_e32 v14, v13, v14
	v_lshrrev_b32_e32 v14, s5, v14
	s_delay_alu instid0(VALU_DEP_1) | instskip(NEXT) | instid1(VALU_DEP_1)
	v_mul_lo_u32 v14, v14, s6
	v_sub_nc_u32_e32 v17, v13, v14
	s_delay_alu instid0(VALU_DEP_1) | instskip(SKIP_2) | instid1(VALU_DEP_3)
	v_mad_u64_u32 v[13:14], null, v17, s8, v[9:10]
	v_mad_u64_u32 v[14:15], null, v17, s9, v[11:12]
	;; [unrolled: 1-line block ×3, first 2 shown]
	v_mov_b32_e32 v9, v13
	s_delay_alu instid0(VALU_DEP_2)
	v_dual_mov_b32 v11, v14 :: v_dual_mov_b32 v10, v15
	s_branch .LBB141_53
.LBB141_52:
	s_mov_b32 s4, -1
                                        ; implicit-def: $vgpr9
                                        ; implicit-def: $vgpr11
                                        ; implicit-def: $vgpr10
.LBB141_53:
	s_delay_alu instid0(SALU_CYCLE_1)
	s_and_not1_b32 vcc_lo, exec_lo, s4
	s_cbranch_vccnz .LBB141_56
; %bb.54:
	s_clause 0x1
	s_load_b128 s[4:7], s[0:1], 0x4
	s_load_b128 s[8:11], s[0:1], 0xc4
	s_cmp_lt_u32 s22, 2
	s_waitcnt lgkmcnt(0)
	v_mul_hi_u32 v9, s5, v12
	s_delay_alu instid0(VALU_DEP_1) | instskip(NEXT) | instid1(VALU_DEP_1)
	v_add_nc_u32_e32 v9, v12, v9
	v_lshrrev_b32_e32 v13, s6, v9
	s_delay_alu instid0(VALU_DEP_1) | instskip(NEXT) | instid1(VALU_DEP_1)
	v_mul_lo_u32 v9, v13, s4
	v_sub_nc_u32_e32 v10, v12, v9
	s_delay_alu instid0(VALU_DEP_1)
	v_mul_lo_u32 v9, v10, s8
	v_mul_lo_u32 v11, v10, s9
	;; [unrolled: 1-line block ×3, first 2 shown]
	s_cbranch_scc1 .LBB141_56
; %bb.55:
	s_clause 0x1
	s_load_b128 s[4:7], s[0:1], 0x10
	s_load_b128 s[8:11], s[0:1], 0xd0
	s_waitcnt lgkmcnt(0)
	v_mul_hi_u32 v12, s5, v13
	s_delay_alu instid0(VALU_DEP_1) | instskip(NEXT) | instid1(VALU_DEP_1)
	v_add_nc_u32_e32 v12, v13, v12
	v_lshrrev_b32_e32 v12, s6, v12
	s_delay_alu instid0(VALU_DEP_1) | instskip(NEXT) | instid1(VALU_DEP_1)
	v_mul_lo_u32 v12, v12, s4
	v_sub_nc_u32_e32 v16, v13, v12
	s_delay_alu instid0(VALU_DEP_1) | instskip(NEXT) | instid1(VALU_DEP_1)
	v_mad_u64_u32 v[12:13], null, v16, s8, v[9:10]
	v_mad_u64_u32 v[13:14], null, v16, s9, v[11:12]
	v_mad_u64_u32 v[14:15], null, v16, s10, v[10:11]
	v_mov_b32_e32 v9, v12
	s_delay_alu instid0(VALU_DEP_2)
	v_dual_mov_b32 v11, v13 :: v_dual_mov_b32 v10, v14
.LBB141_56:
	v_cmp_ne_u32_e32 vcc_lo, 1, v21
	v_add_nc_u32_e32 v15, 0x200, v18
	s_cbranch_vccnz .LBB141_62
; %bb.57:
	v_dual_mov_b32 v12, 0 :: v_dual_mov_b32 v13, 0
	v_mov_b32_e32 v14, 0
	s_cmp_lg_u32 s22, 0
	s_mov_b32 s4, 0
	s_cbranch_scc0 .LBB141_63
; %bb.58:
	s_min_u32 s5, s23, 15
	v_dual_mov_b32 v13, 0 :: v_dual_mov_b32 v14, 0
	s_add_i32 s2, s5, 1
	v_mov_b32_e32 v12, 0
	v_mov_b32_e32 v16, v15
	s_and_b32 s6, s2, 30
	s_add_u32 s2, s0, 0xffffffec
	s_addc_u32 s3, s1, -1
	s_set_inst_prefetch_distance 0x1
	.p2align	6
.LBB141_59:                             ; =>This Inner Loop Header: Depth=1
	s_clause 0x2
	s_load_b128 s[8:11], s[2:3], 0x18
	s_load_b64 s[16:17], s[2:3], 0x28
	s_load_b128 s[12:15], s[2:3], 0xd8
	s_waitcnt lgkmcnt(0)
	v_mul_hi_u32 v17, s9, v16
	s_delay_alu instid0(VALU_DEP_1) | instskip(NEXT) | instid1(VALU_DEP_1)
	v_add_nc_u32_e32 v17, v16, v17
	v_lshrrev_b32_e32 v17, s10, v17
	s_delay_alu instid0(VALU_DEP_1)
	v_mul_hi_u32 v19, s16, v17
	v_mul_lo_u32 v20, v17, s8
	s_load_b64 s[8:9], s[2:3], 0xe8
	s_add_u32 s2, s2, 24
	s_addc_u32 s3, s3, 0
	s_add_i32 s6, s6, -2
	s_delay_alu instid0(SALU_CYCLE_1) | instskip(NEXT) | instid1(VALU_DEP_2)
	s_cmp_lg_u32 s6, 0
	v_add_nc_u32_e32 v19, v17, v19
	s_delay_alu instid0(VALU_DEP_2) | instskip(NEXT) | instid1(VALU_DEP_2)
	v_sub_nc_u32_e32 v20, v16, v20
	v_lshrrev_b32_e32 v16, s17, v19
	s_delay_alu instid0(VALU_DEP_2) | instskip(NEXT) | instid1(VALU_DEP_2)
	v_mul_lo_u32 v22, v20, s12
	v_mul_lo_u32 v19, v16, s11
	s_delay_alu instid0(VALU_DEP_1) | instskip(SKIP_2) | instid1(VALU_DEP_3)
	v_sub_nc_u32_e32 v17, v17, v19
	v_mul_lo_u32 v19, v20, s13
	v_mul_lo_u32 v20, v20, s14
	;; [unrolled: 1-line block ×3, first 2 shown]
	s_waitcnt lgkmcnt(0)
	v_mul_lo_u32 v25, v17, s8
	v_mul_lo_u32 v17, v17, s9
	s_delay_alu instid0(VALU_DEP_3) | instskip(NEXT) | instid1(VALU_DEP_3)
	v_add3_u32 v12, v22, v12, v23
	v_add3_u32 v14, v19, v14, v25
	s_delay_alu instid0(VALU_DEP_3)
	v_add3_u32 v13, v20, v13, v17
	s_cbranch_scc1 .LBB141_59
; %bb.60:
	s_set_inst_prefetch_distance 0x2
	s_bitcmp1_b32 s5, 0
	s_cselect_b32 s5, -1, 0
	s_delay_alu instid0(SALU_CYCLE_1)
	s_and_b32 vcc_lo, exec_lo, s5
	s_cbranch_vccnz .LBB141_63
; %bb.61:
	s_clause 0x3
	s_load_b64 s[6:7], s[2:3], 0x18
	s_load_b32 s5, s[2:3], 0x20
	s_load_b64 s[8:9], s[2:3], 0xd8
	s_load_b32 s2, s[2:3], 0xe0
	s_waitcnt lgkmcnt(0)
	v_mul_hi_u32 v17, s7, v16
	s_delay_alu instid0(VALU_DEP_1) | instskip(NEXT) | instid1(VALU_DEP_1)
	v_add_nc_u32_e32 v17, v16, v17
	v_lshrrev_b32_e32 v17, s5, v17
	s_delay_alu instid0(VALU_DEP_1) | instskip(NEXT) | instid1(VALU_DEP_1)
	v_mul_lo_u32 v17, v17, s6
	v_sub_nc_u32_e32 v25, v16, v17
	s_delay_alu instid0(VALU_DEP_1) | instskip(SKIP_2) | instid1(VALU_DEP_3)
	v_mad_u64_u32 v[16:17], null, v25, s8, v[12:13]
	v_mad_u64_u32 v[19:20], null, v25, s9, v[14:15]
	;; [unrolled: 1-line block ×3, first 2 shown]
	v_mov_b32_e32 v12, v16
	s_delay_alu instid0(VALU_DEP_2)
	v_dual_mov_b32 v14, v19 :: v_dual_mov_b32 v13, v22
	s_branch .LBB141_63
.LBB141_62:
	s_mov_b32 s4, -1
                                        ; implicit-def: $vgpr12
                                        ; implicit-def: $vgpr14
                                        ; implicit-def: $vgpr13
.LBB141_63:
	s_delay_alu instid0(SALU_CYCLE_1)
	s_and_not1_b32 vcc_lo, exec_lo, s4
	s_cbranch_vccnz .LBB141_66
; %bb.64:
	s_clause 0x1
	s_load_b128 s[4:7], s[0:1], 0x4
	s_load_b128 s[8:11], s[0:1], 0xc4
	s_cmp_lt_u32 s22, 2
	s_waitcnt lgkmcnt(0)
	v_mul_hi_u32 v12, s5, v15
	s_delay_alu instid0(VALU_DEP_1) | instskip(NEXT) | instid1(VALU_DEP_1)
	v_add_nc_u32_e32 v12, v15, v12
	v_lshrrev_b32_e32 v16, s6, v12
	s_delay_alu instid0(VALU_DEP_1) | instskip(NEXT) | instid1(VALU_DEP_1)
	v_mul_lo_u32 v12, v16, s4
	v_sub_nc_u32_e32 v13, v15, v12
	s_delay_alu instid0(VALU_DEP_1)
	v_mul_lo_u32 v12, v13, s8
	v_mul_lo_u32 v14, v13, s9
	;; [unrolled: 1-line block ×3, first 2 shown]
	s_cbranch_scc1 .LBB141_66
; %bb.65:
	s_clause 0x1
	s_load_b128 s[4:7], s[0:1], 0x10
	s_load_b128 s[8:11], s[0:1], 0xd0
	s_waitcnt lgkmcnt(0)
	v_mul_hi_u32 v15, s5, v16
	s_delay_alu instid0(VALU_DEP_1) | instskip(NEXT) | instid1(VALU_DEP_1)
	v_add_nc_u32_e32 v15, v16, v15
	v_lshrrev_b32_e32 v15, s6, v15
	s_delay_alu instid0(VALU_DEP_1) | instskip(NEXT) | instid1(VALU_DEP_1)
	v_mul_lo_u32 v15, v15, s4
	v_sub_nc_u32_e32 v22, v16, v15
	s_delay_alu instid0(VALU_DEP_1) | instskip(SKIP_1) | instid1(VALU_DEP_2)
	v_mad_u64_u32 v[15:16], null, v22, s8, v[12:13]
	v_mad_u64_u32 v[19:20], null, v22, s10, v[13:14]
	;; [unrolled: 1-line block ×3, first 2 shown]
	v_mov_b32_e32 v12, v15
	s_delay_alu instid0(VALU_DEP_2)
	v_dual_mov_b32 v13, v19 :: v_dual_mov_b32 v14, v16
.LBB141_66:
	v_cmp_ne_u32_e32 vcc_lo, 1, v21
	v_add_nc_u32_e32 v19, 0x280, v18
	s_cbranch_vccnz .LBB141_72
; %bb.67:
	v_dual_mov_b32 v15, 0 :: v_dual_mov_b32 v16, 0
	v_mov_b32_e32 v17, 0
	s_cmp_lg_u32 s22, 0
	s_mov_b32 s4, 0
	s_cbranch_scc0 .LBB141_73
; %bb.68:
	s_min_u32 s5, s23, 15
	v_dual_mov_b32 v16, 0 :: v_dual_mov_b32 v17, 0
	s_add_i32 s2, s5, 1
	v_dual_mov_b32 v15, 0 :: v_dual_mov_b32 v20, v19
	s_and_b32 s6, s2, 30
	s_add_u32 s2, s0, 0xffffffec
	s_addc_u32 s3, s1, -1
	s_set_inst_prefetch_distance 0x1
	.p2align	6
.LBB141_69:                             ; =>This Inner Loop Header: Depth=1
	s_clause 0x2
	s_load_b128 s[8:11], s[2:3], 0x18
	s_load_b64 s[16:17], s[2:3], 0x28
	s_load_b128 s[12:15], s[2:3], 0xd8
	s_waitcnt lgkmcnt(0)
	v_mul_hi_u32 v22, s9, v20
	s_delay_alu instid0(VALU_DEP_1) | instskip(NEXT) | instid1(VALU_DEP_1)
	v_add_nc_u32_e32 v22, v20, v22
	v_lshrrev_b32_e32 v22, s10, v22
	s_delay_alu instid0(VALU_DEP_1)
	v_mul_hi_u32 v23, s16, v22
	v_mul_lo_u32 v25, v22, s8
	s_load_b64 s[8:9], s[2:3], 0xe8
	s_add_u32 s2, s2, 24
	s_addc_u32 s3, s3, 0
	s_add_i32 s6, s6, -2
	s_delay_alu instid0(SALU_CYCLE_1) | instskip(NEXT) | instid1(VALU_DEP_2)
	s_cmp_lg_u32 s6, 0
	v_add_nc_u32_e32 v23, v22, v23
	s_delay_alu instid0(VALU_DEP_2) | instskip(NEXT) | instid1(VALU_DEP_2)
	v_sub_nc_u32_e32 v25, v20, v25
	v_lshrrev_b32_e32 v20, s17, v23
	s_delay_alu instid0(VALU_DEP_2) | instskip(NEXT) | instid1(VALU_DEP_2)
	v_mul_lo_u32 v26, v25, s12
	v_mul_lo_u32 v23, v20, s11
	s_delay_alu instid0(VALU_DEP_1) | instskip(SKIP_2) | instid1(VALU_DEP_3)
	v_sub_nc_u32_e32 v22, v22, v23
	v_mul_lo_u32 v23, v25, s13
	v_mul_lo_u32 v25, v25, s14
	v_mul_lo_u32 v27, v22, s15
	s_waitcnt lgkmcnt(0)
	v_mul_lo_u32 v28, v22, s8
	v_mul_lo_u32 v22, v22, s9
	s_delay_alu instid0(VALU_DEP_3) | instskip(NEXT) | instid1(VALU_DEP_3)
	v_add3_u32 v15, v26, v15, v27
	v_add3_u32 v17, v23, v17, v28
	s_delay_alu instid0(VALU_DEP_3)
	v_add3_u32 v16, v25, v16, v22
	s_cbranch_scc1 .LBB141_69
; %bb.70:
	s_set_inst_prefetch_distance 0x2
	s_bitcmp1_b32 s5, 0
	s_cselect_b32 s5, -1, 0
	s_delay_alu instid0(SALU_CYCLE_1)
	s_and_b32 vcc_lo, exec_lo, s5
	s_cbranch_vccnz .LBB141_73
; %bb.71:
	s_clause 0x3
	s_load_b64 s[6:7], s[2:3], 0x18
	s_load_b32 s5, s[2:3], 0x20
	s_load_b64 s[8:9], s[2:3], 0xd8
	s_load_b32 s2, s[2:3], 0xe0
	s_waitcnt lgkmcnt(0)
	v_mul_hi_u32 v22, s7, v20
	s_delay_alu instid0(VALU_DEP_1) | instskip(NEXT) | instid1(VALU_DEP_1)
	v_add_nc_u32_e32 v22, v20, v22
	v_lshrrev_b32_e32 v22, s5, v22
	s_delay_alu instid0(VALU_DEP_1) | instskip(NEXT) | instid1(VALU_DEP_1)
	v_mul_lo_u32 v22, v22, s6
	v_sub_nc_u32_e32 v20, v20, v22
	s_delay_alu instid0(VALU_DEP_1) | instskip(SKIP_2) | instid1(VALU_DEP_3)
	v_mad_u64_u32 v[25:26], null, v20, s9, v[17:18]
	v_mad_u64_u32 v[22:23], null, v20, s8, v[15:16]
	;; [unrolled: 1-line block ×3, first 2 shown]
	v_mov_b32_e32 v17, v25
	s_delay_alu instid0(VALU_DEP_3) | instskip(NEXT) | instid1(VALU_DEP_3)
	v_mov_b32_e32 v15, v22
	v_mov_b32_e32 v16, v26
	s_branch .LBB141_73
.LBB141_72:
	s_mov_b32 s4, -1
                                        ; implicit-def: $vgpr15
                                        ; implicit-def: $vgpr17
                                        ; implicit-def: $vgpr16
.LBB141_73:
	s_delay_alu instid0(SALU_CYCLE_1)
	s_and_not1_b32 vcc_lo, exec_lo, s4
	s_cbranch_vccnz .LBB141_76
; %bb.74:
	s_clause 0x1
	s_load_b128 s[4:7], s[0:1], 0x4
	s_load_b128 s[8:11], s[0:1], 0xc4
	s_cmp_lt_u32 s22, 2
	s_waitcnt lgkmcnt(0)
	v_mul_hi_u32 v15, s5, v19
	s_delay_alu instid0(VALU_DEP_1) | instskip(NEXT) | instid1(VALU_DEP_1)
	v_add_nc_u32_e32 v15, v19, v15
	v_lshrrev_b32_e32 v20, s6, v15
	s_delay_alu instid0(VALU_DEP_1) | instskip(NEXT) | instid1(VALU_DEP_1)
	v_mul_lo_u32 v15, v20, s4
	v_sub_nc_u32_e32 v16, v19, v15
	s_delay_alu instid0(VALU_DEP_1)
	v_mul_lo_u32 v15, v16, s8
	v_mul_lo_u32 v17, v16, s9
	;; [unrolled: 1-line block ×3, first 2 shown]
	s_cbranch_scc1 .LBB141_76
; %bb.75:
	s_clause 0x1
	s_load_b128 s[4:7], s[0:1], 0x10
	s_load_b128 s[8:11], s[0:1], 0xd0
	s_waitcnt lgkmcnt(0)
	v_mul_hi_u32 v19, s5, v20
	s_delay_alu instid0(VALU_DEP_1) | instskip(NEXT) | instid1(VALU_DEP_1)
	v_add_nc_u32_e32 v19, v20, v19
	v_lshrrev_b32_e32 v19, s6, v19
	s_delay_alu instid0(VALU_DEP_1) | instskip(NEXT) | instid1(VALU_DEP_1)
	v_mul_lo_u32 v19, v19, s4
	v_sub_nc_u32_e32 v27, v20, v19
	s_delay_alu instid0(VALU_DEP_1) | instskip(SKIP_2) | instid1(VALU_DEP_3)
	v_mad_u64_u32 v[19:20], null, v27, s8, v[15:16]
	v_mad_u64_u32 v[22:23], null, v27, s9, v[17:18]
	;; [unrolled: 1-line block ×3, first 2 shown]
	v_mov_b32_e32 v15, v19
	s_delay_alu instid0(VALU_DEP_2)
	v_dual_mov_b32 v17, v22 :: v_dual_mov_b32 v16, v25
.LBB141_76:
	v_cmp_ne_u32_e32 vcc_lo, 1, v21
	v_add_nc_u32_e32 v22, 0x300, v18
	s_cbranch_vccnz .LBB141_82
; %bb.77:
	v_dual_mov_b32 v18, 0 :: v_dual_mov_b32 v19, 0
	v_mov_b32_e32 v20, 0
	s_cmp_lg_u32 s22, 0
	s_mov_b32 s4, 0
	s_cbranch_scc0 .LBB141_83
; %bb.78:
	s_min_u32 s5, s23, 15
	v_dual_mov_b32 v19, 0 :: v_dual_mov_b32 v20, 0
	s_add_i32 s2, s5, 1
	v_dual_mov_b32 v18, 0 :: v_dual_mov_b32 v23, v22
	s_and_b32 s6, s2, 30
	s_add_u32 s2, s0, 0xffffffec
	s_addc_u32 s3, s1, -1
	s_set_inst_prefetch_distance 0x1
	.p2align	6
.LBB141_79:                             ; =>This Inner Loop Header: Depth=1
	s_clause 0x2
	s_load_b128 s[8:11], s[2:3], 0x18
	s_load_b64 s[16:17], s[2:3], 0x28
	s_load_b128 s[12:15], s[2:3], 0xd8
	s_waitcnt lgkmcnt(0)
	v_mul_hi_u32 v25, s9, v23
	s_delay_alu instid0(VALU_DEP_1) | instskip(NEXT) | instid1(VALU_DEP_1)
	v_add_nc_u32_e32 v25, v23, v25
	v_lshrrev_b32_e32 v25, s10, v25
	s_delay_alu instid0(VALU_DEP_1)
	v_mul_hi_u32 v26, s16, v25
	v_mul_lo_u32 v27, v25, s8
	s_load_b64 s[8:9], s[2:3], 0xe8
	s_add_u32 s2, s2, 24
	s_addc_u32 s3, s3, 0
	s_add_i32 s6, s6, -2
	s_delay_alu instid0(SALU_CYCLE_1) | instskip(NEXT) | instid1(VALU_DEP_2)
	s_cmp_lg_u32 s6, 0
	v_add_nc_u32_e32 v26, v25, v26
	s_delay_alu instid0(VALU_DEP_2) | instskip(NEXT) | instid1(VALU_DEP_2)
	v_sub_nc_u32_e32 v27, v23, v27
	v_lshrrev_b32_e32 v23, s17, v26
	s_delay_alu instid0(VALU_DEP_2) | instskip(NEXT) | instid1(VALU_DEP_2)
	v_mul_lo_u32 v28, v27, s12
	v_mul_lo_u32 v26, v23, s11
	s_delay_alu instid0(VALU_DEP_1) | instskip(SKIP_2) | instid1(VALU_DEP_3)
	v_sub_nc_u32_e32 v25, v25, v26
	v_mul_lo_u32 v26, v27, s13
	v_mul_lo_u32 v27, v27, s14
	;; [unrolled: 1-line block ×3, first 2 shown]
	s_waitcnt lgkmcnt(0)
	v_mul_lo_u32 v30, v25, s8
	v_mul_lo_u32 v25, v25, s9
	s_delay_alu instid0(VALU_DEP_3) | instskip(NEXT) | instid1(VALU_DEP_3)
	v_add3_u32 v18, v28, v18, v29
	v_add3_u32 v20, v26, v20, v30
	s_delay_alu instid0(VALU_DEP_3)
	v_add3_u32 v19, v27, v19, v25
	s_cbranch_scc1 .LBB141_79
; %bb.80:
	s_set_inst_prefetch_distance 0x2
	s_bitcmp1_b32 s5, 0
	s_cselect_b32 s5, -1, 0
	s_delay_alu instid0(SALU_CYCLE_1)
	s_and_b32 vcc_lo, exec_lo, s5
	s_cbranch_vccnz .LBB141_83
; %bb.81:
	s_clause 0x3
	s_load_b64 s[6:7], s[2:3], 0x18
	s_load_b32 s5, s[2:3], 0x20
	s_load_b64 s[8:9], s[2:3], 0xd8
	s_load_b32 s2, s[2:3], 0xe0
	s_waitcnt lgkmcnt(0)
	v_mul_hi_u32 v25, s7, v23
	s_delay_alu instid0(VALU_DEP_1) | instskip(NEXT) | instid1(VALU_DEP_1)
	v_add_nc_u32_e32 v25, v23, v25
	v_lshrrev_b32_e32 v25, s5, v25
	s_delay_alu instid0(VALU_DEP_1) | instskip(NEXT) | instid1(VALU_DEP_1)
	v_mul_lo_u32 v25, v25, s6
	v_sub_nc_u32_e32 v23, v23, v25
	s_delay_alu instid0(VALU_DEP_1) | instskip(SKIP_2) | instid1(VALU_DEP_3)
	v_mad_u64_u32 v[25:26], null, v23, s8, v[18:19]
	v_mad_u64_u32 v[26:27], null, v23, s9, v[20:21]
	;; [unrolled: 1-line block ×3, first 2 shown]
	v_mov_b32_e32 v18, v25
	s_delay_alu instid0(VALU_DEP_2)
	v_dual_mov_b32 v20, v26 :: v_dual_mov_b32 v19, v27
	s_branch .LBB141_83
.LBB141_82:
	s_mov_b32 s4, -1
                                        ; implicit-def: $vgpr18
                                        ; implicit-def: $vgpr20
                                        ; implicit-def: $vgpr19
.LBB141_83:
	s_delay_alu instid0(SALU_CYCLE_1)
	s_and_not1_b32 vcc_lo, exec_lo, s4
	s_cbranch_vccnz .LBB141_86
; %bb.84:
	s_clause 0x1
	s_load_b128 s[4:7], s[0:1], 0x4
	s_load_b128 s[8:11], s[0:1], 0xc4
	s_cmp_lt_u32 s22, 2
	s_waitcnt lgkmcnt(0)
	v_mul_hi_u32 v18, s5, v22
	s_delay_alu instid0(VALU_DEP_1) | instskip(NEXT) | instid1(VALU_DEP_1)
	v_add_nc_u32_e32 v18, v22, v18
	v_lshrrev_b32_e32 v23, s6, v18
	s_delay_alu instid0(VALU_DEP_1) | instskip(NEXT) | instid1(VALU_DEP_1)
	v_mul_lo_u32 v18, v23, s4
	v_sub_nc_u32_e32 v19, v22, v18
	s_delay_alu instid0(VALU_DEP_1)
	v_mul_lo_u32 v18, v19, s8
	v_mul_lo_u32 v20, v19, s9
	;; [unrolled: 1-line block ×3, first 2 shown]
	s_cbranch_scc1 .LBB141_86
; %bb.85:
	s_clause 0x1
	s_load_b128 s[4:7], s[0:1], 0x10
	s_load_b128 s[8:11], s[0:1], 0xd0
	s_waitcnt lgkmcnt(0)
	v_mul_hi_u32 v22, s5, v23
	s_delay_alu instid0(VALU_DEP_1) | instskip(NEXT) | instid1(VALU_DEP_1)
	v_add_nc_u32_e32 v22, v23, v22
	v_lshrrev_b32_e32 v22, s6, v22
	s_delay_alu instid0(VALU_DEP_1) | instskip(NEXT) | instid1(VALU_DEP_1)
	v_mul_lo_u32 v22, v22, s4
	v_sub_nc_u32_e32 v28, v23, v22
	s_delay_alu instid0(VALU_DEP_1) | instskip(SKIP_2) | instid1(VALU_DEP_3)
	v_mad_u64_u32 v[25:26], null, v28, s9, v[20:21]
	v_mad_u64_u32 v[22:23], null, v28, s8, v[18:19]
	v_mad_u64_u32 v[26:27], null, v28, s10, v[19:20]
	v_mov_b32_e32 v20, v25
	s_delay_alu instid0(VALU_DEP_3) | instskip(NEXT) | instid1(VALU_DEP_3)
	v_mov_b32_e32 v18, v22
	v_mov_b32_e32 v19, v26
.LBB141_86:
	v_cmp_ne_u32_e32 vcc_lo, 1, v21
	s_cbranch_vccnz .LBB141_92
; %bb.87:
	v_dual_mov_b32 v21, 0 :: v_dual_mov_b32 v22, 0
	v_mov_b32_e32 v23, 0
	s_cmp_lg_u32 s22, 0
	s_mov_b32 s4, 0
	s_cbranch_scc0 .LBB141_93
; %bb.88:
	s_min_u32 s5, s23, 15
	v_dual_mov_b32 v22, 0 :: v_dual_mov_b32 v23, 0
	s_add_i32 s2, s5, 1
	v_mov_b32_e32 v21, 0
	v_mov_b32_e32 v25, v24
	s_and_b32 s6, s2, 30
	s_add_u32 s2, s0, 0xffffffec
	s_addc_u32 s3, s1, -1
	s_set_inst_prefetch_distance 0x1
	.p2align	6
.LBB141_89:                             ; =>This Inner Loop Header: Depth=1
	s_clause 0x2
	s_load_b128 s[8:11], s[2:3], 0x18
	s_load_b64 s[16:17], s[2:3], 0x28
	s_load_b128 s[12:15], s[2:3], 0xd8
	s_waitcnt lgkmcnt(0)
	v_mul_hi_u32 v26, s9, v25
	s_delay_alu instid0(VALU_DEP_1) | instskip(NEXT) | instid1(VALU_DEP_1)
	v_add_nc_u32_e32 v26, v25, v26
	v_lshrrev_b32_e32 v26, s10, v26
	s_delay_alu instid0(VALU_DEP_1)
	v_mul_hi_u32 v27, s16, v26
	v_mul_lo_u32 v28, v26, s8
	s_load_b64 s[8:9], s[2:3], 0xe8
	s_add_u32 s2, s2, 24
	s_addc_u32 s3, s3, 0
	s_add_i32 s6, s6, -2
	s_delay_alu instid0(SALU_CYCLE_1) | instskip(NEXT) | instid1(VALU_DEP_2)
	s_cmp_lg_u32 s6, 0
	v_add_nc_u32_e32 v27, v26, v27
	s_delay_alu instid0(VALU_DEP_2) | instskip(NEXT) | instid1(VALU_DEP_2)
	v_sub_nc_u32_e32 v28, v25, v28
	v_lshrrev_b32_e32 v25, s17, v27
	s_delay_alu instid0(VALU_DEP_2) | instskip(NEXT) | instid1(VALU_DEP_2)
	v_mul_lo_u32 v29, v28, s12
	v_mul_lo_u32 v27, v25, s11
	s_delay_alu instid0(VALU_DEP_1) | instskip(SKIP_2) | instid1(VALU_DEP_3)
	v_sub_nc_u32_e32 v26, v26, v27
	v_mul_lo_u32 v27, v28, s13
	v_mul_lo_u32 v28, v28, s14
	;; [unrolled: 1-line block ×3, first 2 shown]
	s_waitcnt lgkmcnt(0)
	v_mul_lo_u32 v31, v26, s8
	v_mul_lo_u32 v26, v26, s9
	s_delay_alu instid0(VALU_DEP_3) | instskip(NEXT) | instid1(VALU_DEP_3)
	v_add3_u32 v21, v29, v21, v30
	v_add3_u32 v23, v27, v23, v31
	s_delay_alu instid0(VALU_DEP_3)
	v_add3_u32 v22, v28, v22, v26
	s_cbranch_scc1 .LBB141_89
; %bb.90:
	s_set_inst_prefetch_distance 0x2
	s_bitcmp1_b32 s5, 0
	s_cselect_b32 s5, -1, 0
	s_delay_alu instid0(SALU_CYCLE_1)
	s_and_b32 vcc_lo, exec_lo, s5
	s_cbranch_vccnz .LBB141_93
; %bb.91:
	s_clause 0x3
	s_load_b64 s[6:7], s[2:3], 0x18
	s_load_b32 s5, s[2:3], 0x20
	s_load_b64 s[8:9], s[2:3], 0xd8
	s_load_b32 s2, s[2:3], 0xe0
	s_waitcnt lgkmcnt(0)
	v_mul_hi_u32 v26, s7, v25
	s_delay_alu instid0(VALU_DEP_1) | instskip(NEXT) | instid1(VALU_DEP_1)
	v_add_nc_u32_e32 v26, v25, v26
	v_lshrrev_b32_e32 v26, s5, v26
	s_delay_alu instid0(VALU_DEP_1) | instskip(NEXT) | instid1(VALU_DEP_1)
	v_mul_lo_u32 v26, v26, s6
	v_sub_nc_u32_e32 v29, v25, v26
	s_delay_alu instid0(VALU_DEP_1) | instskip(SKIP_2) | instid1(VALU_DEP_3)
	v_mad_u64_u32 v[25:26], null, v29, s8, v[21:22]
	v_mad_u64_u32 v[26:27], null, v29, s9, v[23:24]
	;; [unrolled: 1-line block ×3, first 2 shown]
	v_mov_b32_e32 v21, v25
	s_delay_alu instid0(VALU_DEP_2)
	v_dual_mov_b32 v23, v26 :: v_dual_mov_b32 v22, v27
	s_branch .LBB141_93
.LBB141_92:
	s_mov_b32 s4, -1
                                        ; implicit-def: $vgpr21
                                        ; implicit-def: $vgpr23
                                        ; implicit-def: $vgpr22
.LBB141_93:
	s_delay_alu instid0(SALU_CYCLE_1)
	s_and_not1_b32 vcc_lo, exec_lo, s4
	s_cbranch_vccnz .LBB141_96
; %bb.94:
	s_clause 0x1
	s_load_b128 s[4:7], s[0:1], 0x4
	s_load_b128 s[8:11], s[0:1], 0xc4
	s_cmp_lt_u32 s22, 2
	s_waitcnt lgkmcnt(0)
	v_mul_hi_u32 v21, s5, v24
	s_delay_alu instid0(VALU_DEP_1) | instskip(NEXT) | instid1(VALU_DEP_1)
	v_add_nc_u32_e32 v21, v24, v21
	v_lshrrev_b32_e32 v25, s6, v21
	s_delay_alu instid0(VALU_DEP_1) | instskip(NEXT) | instid1(VALU_DEP_1)
	v_mul_lo_u32 v21, v25, s4
	v_sub_nc_u32_e32 v22, v24, v21
	s_delay_alu instid0(VALU_DEP_1)
	v_mul_lo_u32 v21, v22, s8
	v_mul_lo_u32 v23, v22, s9
	;; [unrolled: 1-line block ×3, first 2 shown]
	s_cbranch_scc1 .LBB141_96
; %bb.95:
	s_clause 0x1
	s_load_b128 s[4:7], s[0:1], 0x10
	s_load_b128 s[8:11], s[0:1], 0xd0
	s_waitcnt lgkmcnt(0)
	v_mul_hi_u32 v24, s5, v25
	s_delay_alu instid0(VALU_DEP_1) | instskip(NEXT) | instid1(VALU_DEP_1)
	v_add_nc_u32_e32 v24, v25, v24
	v_lshrrev_b32_e32 v24, s6, v24
	s_delay_alu instid0(VALU_DEP_1) | instskip(NEXT) | instid1(VALU_DEP_1)
	v_mul_lo_u32 v24, v24, s4
	v_sub_nc_u32_e32 v28, v25, v24
	s_delay_alu instid0(VALU_DEP_1) | instskip(NEXT) | instid1(VALU_DEP_1)
	v_mad_u64_u32 v[24:25], null, v28, s8, v[21:22]
	v_mad_u64_u32 v[25:26], null, v28, s9, v[23:24]
	;; [unrolled: 1-line block ×3, first 2 shown]
	v_mov_b32_e32 v21, v24
	s_delay_alu instid0(VALU_DEP_2)
	v_dual_mov_b32 v23, v25 :: v_dual_mov_b32 v22, v26
.LBB141_96:
	s_clause 0x2
	s_load_b64 s[2:3], s[0:1], 0x198
	s_load_b128 s[4:7], s[0:1], 0x188
	s_load_b32 s0, s[0:1], 0x1a0
	s_waitcnt lgkmcnt(0)
	global_load_u8 v1, v1, s[2:3]
	global_load_u16 v2, v2, s[6:7]
	global_load_u8 v4, v4, s[2:3]
	global_load_u16 v5, v5, s[6:7]
	;; [unrolled: 2-line block ×8, first 2 shown]
	s_waitcnt vmcnt(15)
	v_cmp_ne_u16_e32 vcc_lo, 0, v1
	v_cndmask_b32_e64 v1, 0, 1.0, vcc_lo
	s_waitcnt vmcnt(13)
	v_cmp_ne_u16_e32 vcc_lo, 0, v4
	v_cndmask_b32_e64 v4, 0, 1.0, vcc_lo
	s_waitcnt vmcnt(11)
	v_cmp_ne_u16_e32 vcc_lo, 0, v7
	s_waitcnt vmcnt(8)
	v_lshlrev_b32_e32 v11, 16, v11
	v_cndmask_b32_e64 v7, 0, 1.0, vcc_lo
	v_cmp_ne_u16_e32 vcc_lo, 0, v10
	v_cndmask_b32_e64 v10, 0, 1.0, vcc_lo
	s_waitcnt vmcnt(7)
	v_cmp_ne_u16_e32 vcc_lo, 0, v13
	v_lshlrev_b32_e32 v2, 16, v2
	v_lshlrev_b32_e32 v8, 16, v8
	v_cndmask_b32_e64 v13, 0, 1.0, vcc_lo
	s_delay_alu instid0(VALU_DEP_3)
	v_mul_f32_e32 v1, v1, v2
	s_waitcnt vmcnt(5)
	v_cmp_ne_u16_e32 vcc_lo, 0, v16
	v_lshlrev_b32_e32 v5, 16, v5
	v_cndmask_b32_e64 v16, 0, 1.0, vcc_lo
	s_waitcnt vmcnt(3)
	v_cmp_ne_u16_e32 vcc_lo, 0, v19
	s_waitcnt vmcnt(0)
	v_dual_mul_f32 v2, v4, v5 :: v_dual_lshlrev_b32 v23, 16, v23
	v_dual_mul_f32 v1, s0, v1 :: v_dual_mul_f32 v4, v7, v8
	v_cndmask_b32_e64 v19, 0, 1.0, vcc_lo
	v_cmp_ne_u16_e32 vcc_lo, 0, v22
	s_delay_alu instid0(VALU_DEP_4) | instskip(NEXT) | instid1(VALU_DEP_4)
	v_dual_mul_f32 v2, s0, v2 :: v_dual_mul_f32 v5, v10, v11
	v_mul_f32_e32 v4, s0, v4
	v_cndmask_b32_e64 v22, 0, 1.0, vcc_lo
	s_delay_alu instid0(VALU_DEP_3) | instskip(SKIP_1) | instid1(VALU_DEP_3)
	v_dual_mul_f32 v5, s0, v5 :: v_dual_lshlrev_b32 v14, 16, v14
	v_cmp_o_f32_e32 vcc_lo, v1, v1
	v_dual_mul_f32 v11, v22, v23 :: v_dual_lshlrev_b32 v20, 16, v20
	s_delay_alu instid0(VALU_DEP_3) | instskip(SKIP_4) | instid1(VALU_DEP_4)
	v_mul_f32_e32 v7, v13, v14
	v_bfe_u32 v13, v1, 16, 1
	v_lshlrev_b32_e32 v17, 16, v17
	v_bfe_u32 v14, v2, 16, 1
	v_dual_mul_f32 v10, v19, v20 :: v_dual_mul_f32 v11, s0, v11
	v_add3_u32 v13, v1, v13, 0x7fff
	s_delay_alu instid0(VALU_DEP_4)
	v_mul_f32_e32 v8, v16, v17
	v_bfe_u32 v16, v4, 16, 1
	v_add3_u32 v14, v2, v14, 0x7fff
	v_mul_f32_e32 v7, s0, v7
	v_lshrrev_b32_e32 v13, 16, v13
	v_mul_f32_e32 v8, s0, v8
	v_bfe_u32 v17, v5, 16, 1
	v_add3_u32 v16, v4, v16, 0x7fff
	v_lshrrev_b32_e32 v14, 16, v14
	v_cndmask_b32_e32 v1, 0x7fc0, v13, vcc_lo
	v_cmp_o_f32_e32 vcc_lo, v2, v2
	v_bfe_u32 v19, v7, 16, 1
	v_add3_u32 v17, v5, v17, 0x7fff
	v_lshrrev_b32_e32 v16, 16, v16
	v_mul_f32_e32 v10, s0, v10
	v_cndmask_b32_e32 v2, 0x7fc0, v14, vcc_lo
	v_cmp_o_f32_e32 vcc_lo, v4, v4
	v_bfe_u32 v20, v8, 16, 1
	v_add3_u32 v19, v7, v19, 0x7fff
	v_lshrrev_b32_e32 v17, 16, v17
	v_bfe_u32 v22, v10, 16, 1
	v_cndmask_b32_e32 v4, 0x7fc0, v16, vcc_lo
	v_cmp_o_f32_e32 vcc_lo, v5, v5
	v_add3_u32 v20, v8, v20, 0x7fff
	v_lshrrev_b32_e32 v19, 16, v19
	v_bfe_u32 v23, v11, 16, 1
	v_add3_u32 v22, v10, v22, 0x7fff
	v_cndmask_b32_e32 v5, 0x7fc0, v17, vcc_lo
	v_cmp_o_f32_e32 vcc_lo, v7, v7
	v_lshrrev_b32_e32 v20, 16, v20
	v_add3_u32 v23, v11, v23, 0x7fff
	v_lshrrev_b32_e32 v22, 16, v22
	v_cndmask_b32_e32 v7, 0x7fc0, v19, vcc_lo
	v_cmp_o_f32_e32 vcc_lo, v8, v8
	s_delay_alu instid0(VALU_DEP_4)
	v_lshrrev_b32_e32 v23, 16, v23
	v_cndmask_b32_e32 v8, 0x7fc0, v20, vcc_lo
	v_cmp_o_f32_e32 vcc_lo, v10, v10
	v_cndmask_b32_e32 v10, 0x7fc0, v22, vcc_lo
	v_cmp_o_f32_e32 vcc_lo, v11, v11
	v_cndmask_b32_e32 v11, 0x7fc0, v23, vcc_lo
	s_clause 0x7
	global_store_b16 v0, v1, s[4:5]
	global_store_b16 v3, v2, s[4:5]
	;; [unrolled: 1-line block ×8, first 2 shown]
	s_nop 0
	s_sendmsg sendmsg(MSG_DEALLOC_VGPRS)
	s_endpgm
.LBB141_97:
	s_mov_b32 s33, -1
                                        ; implicit-def: $vgpr0
                                        ; implicit-def: $vgpr2
                                        ; implicit-def: $vgpr1
.LBB141_98:
	s_delay_alu instid0(SALU_CYCLE_1)
	s_and_not1_b32 vcc_lo, exec_lo, s33
	s_cbranch_vccnz .LBB141_101
; %bb.99:
	s_waitcnt lgkmcnt(0)
	v_mul_hi_u32 v0, s13, v18
	s_and_not1_b32 vcc_lo, exec_lo, s27
	s_delay_alu instid0(VALU_DEP_1) | instskip(NEXT) | instid1(VALU_DEP_1)
	v_add_nc_u32_e32 v0, v18, v0
	v_lshrrev_b32_e32 v3, s14, v0
	s_delay_alu instid0(VALU_DEP_1) | instskip(NEXT) | instid1(VALU_DEP_1)
	v_mul_lo_u32 v0, v3, s12
	v_sub_nc_u32_e32 v1, v18, v0
	s_delay_alu instid0(VALU_DEP_1)
	v_mul_lo_u32 v0, v1, s8
	v_mul_lo_u32 v2, v1, s9
	;; [unrolled: 1-line block ×3, first 2 shown]
	s_cbranch_vccnz .LBB141_101
; %bb.100:
	v_mul_hi_u32 v4, s18, v3
	s_delay_alu instid0(VALU_DEP_1) | instskip(NEXT) | instid1(VALU_DEP_1)
	v_add_nc_u32_e32 v4, v3, v4
	v_lshrrev_b32_e32 v4, s19, v4
	s_delay_alu instid0(VALU_DEP_1) | instskip(NEXT) | instid1(VALU_DEP_1)
	v_mul_lo_u32 v4, v4, s15
	v_sub_nc_u32_e32 v7, v3, v4
	s_delay_alu instid0(VALU_DEP_1) | instskip(NEXT) | instid1(VALU_DEP_1)
	v_mad_u64_u32 v[3:4], null, v7, s11, v[0:1]
	v_mad_u64_u32 v[4:5], null, v7, s16, v[2:3]
	;; [unrolled: 1-line block ×3, first 2 shown]
	v_mov_b32_e32 v0, v3
	s_delay_alu instid0(VALU_DEP_2)
	v_dual_mov_b32 v2, v4 :: v_dual_mov_b32 v1, v5
.LBB141_101:
	s_waitcnt lgkmcnt(0)
	global_load_u8 v1, v1, s[2:3]
	global_load_u16 v2, v2, s[6:7]
	v_add_nc_u32_e32 v18, 0x80, v18
	s_waitcnt vmcnt(1)
	v_cmp_ne_u16_e32 vcc_lo, 0, v1
	s_waitcnt vmcnt(0)
	v_lshlrev_b32_e32 v2, 16, v2
	v_cndmask_b32_e64 v1, 0, 1.0, vcc_lo
	s_delay_alu instid0(VALU_DEP_1) | instskip(NEXT) | instid1(VALU_DEP_1)
	v_mul_f32_e32 v1, v1, v2
	v_mul_f32_e32 v1, s26, v1
	s_delay_alu instid0(VALU_DEP_1) | instskip(SKIP_1) | instid1(VALU_DEP_2)
	v_bfe_u32 v2, v1, 16, 1
	v_cmp_o_f32_e32 vcc_lo, v1, v1
	v_add3_u32 v2, v1, v2, 0x7fff
	s_delay_alu instid0(VALU_DEP_1) | instskip(NEXT) | instid1(VALU_DEP_1)
	v_lshrrev_b32_e32 v2, 16, v2
	v_cndmask_b32_e32 v1, 0x7fc0, v2, vcc_lo
	global_store_b16 v0, v1, s[4:5]
	s_or_b32 exec_lo, exec_lo, s31
	s_delay_alu instid0(SALU_CYCLE_1)
	s_mov_b32 s31, exec_lo
	v_cmpx_gt_i32_e64 s29, v18
	s_cbranch_execnz .LBB141_16
.LBB141_102:
	s_or_b32 exec_lo, exec_lo, s31
	s_delay_alu instid0(SALU_CYCLE_1)
	s_mov_b32 s31, exec_lo
	v_cmpx_gt_i32_e64 s29, v18
	s_cbranch_execz .LBB141_114
.LBB141_103:
	s_and_not1_b32 vcc_lo, exec_lo, s24
	s_cbranch_vccnz .LBB141_121
; %bb.104:
	v_dual_mov_b32 v0, 0 :: v_dual_mov_b32 v1, 0
	v_mov_b32_e32 v2, 0
	s_and_not1_b32 vcc_lo, exec_lo, s30
	s_mov_b32 s33, 0
	s_cbranch_vccnz .LBB141_122
; %bb.105:
	s_add_i32 s20, s28, 1
	v_dual_mov_b32 v1, 0 :: v_dual_mov_b32 v2, 0
	v_dual_mov_b32 v0, 0 :: v_dual_mov_b32 v3, v18
	s_and_b32 s34, s20, 30
	s_add_u32 s20, s0, 0xffffffec
	s_addc_u32 s21, s1, -1
	s_set_inst_prefetch_distance 0x1
	.p2align	6
.LBB141_106:                            ; =>This Inner Loop Header: Depth=1
	s_clause 0x2
	s_load_b128 s[36:39], s[20:21], 0x18
	s_load_b64 s[44:45], s[20:21], 0x28
	s_load_b128 s[40:43], s[20:21], 0xd8
	s_waitcnt lgkmcnt(0)
	v_mul_hi_u32 v4, s37, v3
	s_delay_alu instid0(VALU_DEP_1) | instskip(NEXT) | instid1(VALU_DEP_1)
	v_add_nc_u32_e32 v4, v3, v4
	v_lshrrev_b32_e32 v4, s38, v4
	s_delay_alu instid0(VALU_DEP_1)
	v_mul_hi_u32 v5, s44, v4
	v_mul_lo_u32 v6, v4, s36
	s_load_b64 s[36:37], s[20:21], 0xe8
	s_add_u32 s20, s20, 24
	s_addc_u32 s21, s21, 0
	s_add_i32 s34, s34, -2
	s_delay_alu instid0(SALU_CYCLE_1) | instskip(NEXT) | instid1(VALU_DEP_2)
	s_cmp_eq_u32 s34, 0
	v_add_nc_u32_e32 v5, v4, v5
	s_delay_alu instid0(VALU_DEP_2) | instskip(NEXT) | instid1(VALU_DEP_2)
	v_sub_nc_u32_e32 v6, v3, v6
	v_lshrrev_b32_e32 v3, s45, v5
	s_delay_alu instid0(VALU_DEP_2) | instskip(NEXT) | instid1(VALU_DEP_2)
	v_mul_lo_u32 v7, v6, s40
	v_mul_lo_u32 v5, v3, s39
	s_delay_alu instid0(VALU_DEP_1) | instskip(SKIP_2) | instid1(VALU_DEP_3)
	v_sub_nc_u32_e32 v4, v4, v5
	v_mul_lo_u32 v5, v6, s41
	v_mul_lo_u32 v6, v6, s42
	;; [unrolled: 1-line block ×3, first 2 shown]
	s_waitcnt lgkmcnt(0)
	v_mul_lo_u32 v9, v4, s36
	v_mul_lo_u32 v4, v4, s37
	s_delay_alu instid0(VALU_DEP_3) | instskip(NEXT) | instid1(VALU_DEP_3)
	v_add3_u32 v0, v7, v0, v8
	v_add3_u32 v2, v5, v2, v9
	s_delay_alu instid0(VALU_DEP_3)
	v_add3_u32 v1, v6, v1, v4
	s_cbranch_scc0 .LBB141_106
; %bb.107:
	s_set_inst_prefetch_distance 0x2
	s_bitcmp1_b32 s28, 0
	s_cselect_b32 s34, -1, 0
	s_delay_alu instid0(SALU_CYCLE_1)
	s_and_b32 vcc_lo, exec_lo, s34
	s_cbranch_vccnz .LBB141_122
; %bb.108:
	s_clause 0x3
	s_load_b64 s[34:35], s[20:21], 0x18
	s_load_b32 s38, s[20:21], 0x20
	s_load_b64 s[36:37], s[20:21], 0xd8
	s_load_b32 s20, s[20:21], 0xe0
	s_waitcnt lgkmcnt(0)
	v_mul_hi_u32 v4, s35, v3
	s_delay_alu instid0(VALU_DEP_1) | instskip(NEXT) | instid1(VALU_DEP_1)
	v_add_nc_u32_e32 v4, v3, v4
	v_lshrrev_b32_e32 v4, s38, v4
	s_delay_alu instid0(VALU_DEP_1) | instskip(NEXT) | instid1(VALU_DEP_1)
	v_mul_lo_u32 v4, v4, s34
	v_sub_nc_u32_e32 v7, v3, v4
	s_delay_alu instid0(VALU_DEP_1) | instskip(NEXT) | instid1(VALU_DEP_1)
	v_mad_u64_u32 v[3:4], null, v7, s36, v[0:1]
	v_mad_u64_u32 v[4:5], null, v7, s37, v[2:3]
	;; [unrolled: 1-line block ×3, first 2 shown]
	v_mov_b32_e32 v0, v3
	s_delay_alu instid0(VALU_DEP_2)
	v_dual_mov_b32 v2, v4 :: v_dual_mov_b32 v1, v5
	s_branch .LBB141_122
.LBB141_109:
	s_mov_b32 s33, -1
                                        ; implicit-def: $vgpr0
                                        ; implicit-def: $vgpr2
                                        ; implicit-def: $vgpr1
.LBB141_110:
	s_delay_alu instid0(SALU_CYCLE_1)
	s_and_not1_b32 vcc_lo, exec_lo, s33
	s_cbranch_vccnz .LBB141_113
; %bb.111:
	s_waitcnt lgkmcnt(0)
	v_mul_hi_u32 v0, s13, v18
	s_and_not1_b32 vcc_lo, exec_lo, s27
	s_delay_alu instid0(VALU_DEP_1) | instskip(NEXT) | instid1(VALU_DEP_1)
	v_add_nc_u32_e32 v0, v18, v0
	v_lshrrev_b32_e32 v3, s14, v0
	s_delay_alu instid0(VALU_DEP_1) | instskip(NEXT) | instid1(VALU_DEP_1)
	v_mul_lo_u32 v0, v3, s12
	v_sub_nc_u32_e32 v1, v18, v0
	s_delay_alu instid0(VALU_DEP_1)
	v_mul_lo_u32 v0, v1, s8
	v_mul_lo_u32 v2, v1, s9
	;; [unrolled: 1-line block ×3, first 2 shown]
	s_cbranch_vccnz .LBB141_113
; %bb.112:
	v_mul_hi_u32 v4, s18, v3
	s_delay_alu instid0(VALU_DEP_1) | instskip(NEXT) | instid1(VALU_DEP_1)
	v_add_nc_u32_e32 v4, v3, v4
	v_lshrrev_b32_e32 v4, s19, v4
	s_delay_alu instid0(VALU_DEP_1) | instskip(NEXT) | instid1(VALU_DEP_1)
	v_mul_lo_u32 v4, v4, s15
	v_sub_nc_u32_e32 v7, v3, v4
	s_delay_alu instid0(VALU_DEP_1) | instskip(NEXT) | instid1(VALU_DEP_1)
	v_mad_u64_u32 v[3:4], null, v7, s11, v[0:1]
	v_mad_u64_u32 v[4:5], null, v7, s16, v[2:3]
	;; [unrolled: 1-line block ×3, first 2 shown]
	v_mov_b32_e32 v0, v3
	s_delay_alu instid0(VALU_DEP_2)
	v_dual_mov_b32 v2, v4 :: v_dual_mov_b32 v1, v5
.LBB141_113:
	s_waitcnt lgkmcnt(0)
	global_load_u8 v1, v1, s[2:3]
	global_load_u16 v2, v2, s[6:7]
	v_add_nc_u32_e32 v18, 0x80, v18
	s_waitcnt vmcnt(1)
	v_cmp_ne_u16_e32 vcc_lo, 0, v1
	s_waitcnt vmcnt(0)
	v_lshlrev_b32_e32 v2, 16, v2
	v_cndmask_b32_e64 v1, 0, 1.0, vcc_lo
	s_delay_alu instid0(VALU_DEP_1) | instskip(NEXT) | instid1(VALU_DEP_1)
	v_mul_f32_e32 v1, v1, v2
	v_mul_f32_e32 v1, s26, v1
	s_delay_alu instid0(VALU_DEP_1) | instskip(SKIP_1) | instid1(VALU_DEP_2)
	v_bfe_u32 v2, v1, 16, 1
	v_cmp_o_f32_e32 vcc_lo, v1, v1
	v_add3_u32 v2, v1, v2, 0x7fff
	s_delay_alu instid0(VALU_DEP_1) | instskip(NEXT) | instid1(VALU_DEP_1)
	v_lshrrev_b32_e32 v2, 16, v2
	v_cndmask_b32_e32 v1, 0x7fc0, v2, vcc_lo
	global_store_b16 v0, v1, s[4:5]
	s_or_b32 exec_lo, exec_lo, s31
	s_delay_alu instid0(SALU_CYCLE_1)
	s_mov_b32 s31, exec_lo
	v_cmpx_gt_i32_e64 s29, v18
	s_cbranch_execnz .LBB141_103
.LBB141_114:
	s_or_b32 exec_lo, exec_lo, s31
	s_delay_alu instid0(SALU_CYCLE_1)
	s_mov_b32 s31, exec_lo
	v_cmpx_gt_i32_e64 s29, v18
	s_cbranch_execz .LBB141_126
.LBB141_115:
	s_and_not1_b32 vcc_lo, exec_lo, s24
	s_cbranch_vccnz .LBB141_133
; %bb.116:
	v_dual_mov_b32 v0, 0 :: v_dual_mov_b32 v1, 0
	v_mov_b32_e32 v2, 0
	s_and_not1_b32 vcc_lo, exec_lo, s30
	s_mov_b32 s33, 0
	s_cbranch_vccnz .LBB141_134
; %bb.117:
	s_add_i32 s20, s28, 1
	v_dual_mov_b32 v1, 0 :: v_dual_mov_b32 v2, 0
	v_dual_mov_b32 v0, 0 :: v_dual_mov_b32 v3, v18
	s_and_b32 s34, s20, 30
	s_add_u32 s20, s0, 0xffffffec
	s_addc_u32 s21, s1, -1
	s_set_inst_prefetch_distance 0x1
	.p2align	6
.LBB141_118:                            ; =>This Inner Loop Header: Depth=1
	s_clause 0x2
	s_load_b128 s[36:39], s[20:21], 0x18
	s_load_b64 s[44:45], s[20:21], 0x28
	s_load_b128 s[40:43], s[20:21], 0xd8
	s_waitcnt lgkmcnt(0)
	v_mul_hi_u32 v4, s37, v3
	s_delay_alu instid0(VALU_DEP_1) | instskip(NEXT) | instid1(VALU_DEP_1)
	v_add_nc_u32_e32 v4, v3, v4
	v_lshrrev_b32_e32 v4, s38, v4
	s_delay_alu instid0(VALU_DEP_1)
	v_mul_hi_u32 v5, s44, v4
	v_mul_lo_u32 v6, v4, s36
	s_load_b64 s[36:37], s[20:21], 0xe8
	s_add_u32 s20, s20, 24
	s_addc_u32 s21, s21, 0
	s_add_i32 s34, s34, -2
	s_delay_alu instid0(SALU_CYCLE_1) | instskip(NEXT) | instid1(VALU_DEP_2)
	s_cmp_eq_u32 s34, 0
	v_add_nc_u32_e32 v5, v4, v5
	s_delay_alu instid0(VALU_DEP_2) | instskip(NEXT) | instid1(VALU_DEP_2)
	v_sub_nc_u32_e32 v6, v3, v6
	v_lshrrev_b32_e32 v3, s45, v5
	s_delay_alu instid0(VALU_DEP_2) | instskip(NEXT) | instid1(VALU_DEP_2)
	v_mul_lo_u32 v7, v6, s40
	v_mul_lo_u32 v5, v3, s39
	s_delay_alu instid0(VALU_DEP_1) | instskip(SKIP_2) | instid1(VALU_DEP_3)
	v_sub_nc_u32_e32 v4, v4, v5
	v_mul_lo_u32 v5, v6, s41
	v_mul_lo_u32 v6, v6, s42
	;; [unrolled: 1-line block ×3, first 2 shown]
	s_waitcnt lgkmcnt(0)
	v_mul_lo_u32 v9, v4, s36
	v_mul_lo_u32 v4, v4, s37
	s_delay_alu instid0(VALU_DEP_3) | instskip(NEXT) | instid1(VALU_DEP_3)
	v_add3_u32 v0, v7, v0, v8
	v_add3_u32 v2, v5, v2, v9
	s_delay_alu instid0(VALU_DEP_3)
	v_add3_u32 v1, v6, v1, v4
	s_cbranch_scc0 .LBB141_118
; %bb.119:
	s_set_inst_prefetch_distance 0x2
	s_bitcmp1_b32 s28, 0
	s_cselect_b32 s34, -1, 0
	s_delay_alu instid0(SALU_CYCLE_1)
	s_and_b32 vcc_lo, exec_lo, s34
	s_cbranch_vccnz .LBB141_134
; %bb.120:
	s_clause 0x3
	s_load_b64 s[34:35], s[20:21], 0x18
	s_load_b32 s38, s[20:21], 0x20
	s_load_b64 s[36:37], s[20:21], 0xd8
	s_load_b32 s20, s[20:21], 0xe0
	s_waitcnt lgkmcnt(0)
	v_mul_hi_u32 v4, s35, v3
	s_delay_alu instid0(VALU_DEP_1) | instskip(NEXT) | instid1(VALU_DEP_1)
	v_add_nc_u32_e32 v4, v3, v4
	v_lshrrev_b32_e32 v4, s38, v4
	s_delay_alu instid0(VALU_DEP_1) | instskip(NEXT) | instid1(VALU_DEP_1)
	v_mul_lo_u32 v4, v4, s34
	v_sub_nc_u32_e32 v7, v3, v4
	s_delay_alu instid0(VALU_DEP_1) | instskip(NEXT) | instid1(VALU_DEP_1)
	v_mad_u64_u32 v[3:4], null, v7, s36, v[0:1]
	v_mad_u64_u32 v[4:5], null, v7, s37, v[2:3]
	;; [unrolled: 1-line block ×3, first 2 shown]
	v_mov_b32_e32 v0, v3
	s_delay_alu instid0(VALU_DEP_2)
	v_dual_mov_b32 v2, v4 :: v_dual_mov_b32 v1, v5
	s_branch .LBB141_134
.LBB141_121:
	s_mov_b32 s33, -1
                                        ; implicit-def: $vgpr0
                                        ; implicit-def: $vgpr2
                                        ; implicit-def: $vgpr1
.LBB141_122:
	s_delay_alu instid0(SALU_CYCLE_1)
	s_and_not1_b32 vcc_lo, exec_lo, s33
	s_cbranch_vccnz .LBB141_125
; %bb.123:
	s_waitcnt lgkmcnt(0)
	v_mul_hi_u32 v0, s13, v18
	s_and_not1_b32 vcc_lo, exec_lo, s27
	s_delay_alu instid0(VALU_DEP_1) | instskip(NEXT) | instid1(VALU_DEP_1)
	v_add_nc_u32_e32 v0, v18, v0
	v_lshrrev_b32_e32 v3, s14, v0
	s_delay_alu instid0(VALU_DEP_1) | instskip(NEXT) | instid1(VALU_DEP_1)
	v_mul_lo_u32 v0, v3, s12
	v_sub_nc_u32_e32 v1, v18, v0
	s_delay_alu instid0(VALU_DEP_1)
	v_mul_lo_u32 v0, v1, s8
	v_mul_lo_u32 v2, v1, s9
	;; [unrolled: 1-line block ×3, first 2 shown]
	s_cbranch_vccnz .LBB141_125
; %bb.124:
	v_mul_hi_u32 v4, s18, v3
	s_delay_alu instid0(VALU_DEP_1) | instskip(NEXT) | instid1(VALU_DEP_1)
	v_add_nc_u32_e32 v4, v3, v4
	v_lshrrev_b32_e32 v4, s19, v4
	s_delay_alu instid0(VALU_DEP_1) | instskip(NEXT) | instid1(VALU_DEP_1)
	v_mul_lo_u32 v4, v4, s15
	v_sub_nc_u32_e32 v7, v3, v4
	s_delay_alu instid0(VALU_DEP_1) | instskip(NEXT) | instid1(VALU_DEP_1)
	v_mad_u64_u32 v[3:4], null, v7, s11, v[0:1]
	v_mad_u64_u32 v[4:5], null, v7, s16, v[2:3]
	;; [unrolled: 1-line block ×3, first 2 shown]
	v_mov_b32_e32 v0, v3
	s_delay_alu instid0(VALU_DEP_2)
	v_dual_mov_b32 v2, v4 :: v_dual_mov_b32 v1, v5
.LBB141_125:
	s_waitcnt lgkmcnt(0)
	global_load_u8 v1, v1, s[2:3]
	global_load_u16 v2, v2, s[6:7]
	v_add_nc_u32_e32 v18, 0x80, v18
	s_waitcnt vmcnt(1)
	v_cmp_ne_u16_e32 vcc_lo, 0, v1
	s_waitcnt vmcnt(0)
	v_lshlrev_b32_e32 v2, 16, v2
	v_cndmask_b32_e64 v1, 0, 1.0, vcc_lo
	s_delay_alu instid0(VALU_DEP_1) | instskip(NEXT) | instid1(VALU_DEP_1)
	v_mul_f32_e32 v1, v1, v2
	v_mul_f32_e32 v1, s26, v1
	s_delay_alu instid0(VALU_DEP_1) | instskip(SKIP_1) | instid1(VALU_DEP_2)
	v_bfe_u32 v2, v1, 16, 1
	v_cmp_o_f32_e32 vcc_lo, v1, v1
	v_add3_u32 v2, v1, v2, 0x7fff
	s_delay_alu instid0(VALU_DEP_1) | instskip(NEXT) | instid1(VALU_DEP_1)
	v_lshrrev_b32_e32 v2, 16, v2
	v_cndmask_b32_e32 v1, 0x7fc0, v2, vcc_lo
	global_store_b16 v0, v1, s[4:5]
	s_or_b32 exec_lo, exec_lo, s31
	s_delay_alu instid0(SALU_CYCLE_1)
	s_mov_b32 s31, exec_lo
	v_cmpx_gt_i32_e64 s29, v18
	s_cbranch_execnz .LBB141_115
.LBB141_126:
	s_or_b32 exec_lo, exec_lo, s31
	s_delay_alu instid0(SALU_CYCLE_1)
	s_mov_b32 s31, exec_lo
	v_cmpx_gt_i32_e64 s29, v18
	s_cbranch_execz .LBB141_138
.LBB141_127:
	s_and_not1_b32 vcc_lo, exec_lo, s24
	s_cbranch_vccnz .LBB141_145
; %bb.128:
	v_dual_mov_b32 v0, 0 :: v_dual_mov_b32 v1, 0
	v_mov_b32_e32 v2, 0
	s_and_not1_b32 vcc_lo, exec_lo, s30
	s_mov_b32 s33, 0
	s_cbranch_vccnz .LBB141_146
; %bb.129:
	s_add_i32 s20, s28, 1
	v_dual_mov_b32 v1, 0 :: v_dual_mov_b32 v2, 0
	v_dual_mov_b32 v0, 0 :: v_dual_mov_b32 v3, v18
	s_and_b32 s34, s20, 30
	s_add_u32 s20, s0, 0xffffffec
	s_addc_u32 s21, s1, -1
	s_set_inst_prefetch_distance 0x1
	.p2align	6
.LBB141_130:                            ; =>This Inner Loop Header: Depth=1
	s_clause 0x2
	s_load_b128 s[36:39], s[20:21], 0x18
	s_load_b64 s[44:45], s[20:21], 0x28
	s_load_b128 s[40:43], s[20:21], 0xd8
	s_waitcnt lgkmcnt(0)
	v_mul_hi_u32 v4, s37, v3
	s_delay_alu instid0(VALU_DEP_1) | instskip(NEXT) | instid1(VALU_DEP_1)
	v_add_nc_u32_e32 v4, v3, v4
	v_lshrrev_b32_e32 v4, s38, v4
	s_delay_alu instid0(VALU_DEP_1)
	v_mul_hi_u32 v5, s44, v4
	v_mul_lo_u32 v6, v4, s36
	s_load_b64 s[36:37], s[20:21], 0xe8
	s_add_u32 s20, s20, 24
	s_addc_u32 s21, s21, 0
	s_add_i32 s34, s34, -2
	s_delay_alu instid0(SALU_CYCLE_1) | instskip(NEXT) | instid1(VALU_DEP_2)
	s_cmp_eq_u32 s34, 0
	v_add_nc_u32_e32 v5, v4, v5
	s_delay_alu instid0(VALU_DEP_2) | instskip(NEXT) | instid1(VALU_DEP_2)
	v_sub_nc_u32_e32 v6, v3, v6
	v_lshrrev_b32_e32 v3, s45, v5
	s_delay_alu instid0(VALU_DEP_2) | instskip(NEXT) | instid1(VALU_DEP_2)
	v_mul_lo_u32 v7, v6, s40
	v_mul_lo_u32 v5, v3, s39
	s_delay_alu instid0(VALU_DEP_1) | instskip(SKIP_2) | instid1(VALU_DEP_3)
	v_sub_nc_u32_e32 v4, v4, v5
	v_mul_lo_u32 v5, v6, s41
	v_mul_lo_u32 v6, v6, s42
	;; [unrolled: 1-line block ×3, first 2 shown]
	s_waitcnt lgkmcnt(0)
	v_mul_lo_u32 v9, v4, s36
	v_mul_lo_u32 v4, v4, s37
	s_delay_alu instid0(VALU_DEP_3) | instskip(NEXT) | instid1(VALU_DEP_3)
	v_add3_u32 v0, v7, v0, v8
	v_add3_u32 v2, v5, v2, v9
	s_delay_alu instid0(VALU_DEP_3)
	v_add3_u32 v1, v6, v1, v4
	s_cbranch_scc0 .LBB141_130
; %bb.131:
	s_set_inst_prefetch_distance 0x2
	s_bitcmp1_b32 s28, 0
	s_cselect_b32 s34, -1, 0
	s_delay_alu instid0(SALU_CYCLE_1)
	s_and_b32 vcc_lo, exec_lo, s34
	s_cbranch_vccnz .LBB141_146
; %bb.132:
	s_clause 0x3
	s_load_b64 s[34:35], s[20:21], 0x18
	s_load_b32 s38, s[20:21], 0x20
	s_load_b64 s[36:37], s[20:21], 0xd8
	s_load_b32 s20, s[20:21], 0xe0
	s_waitcnt lgkmcnt(0)
	v_mul_hi_u32 v4, s35, v3
	s_delay_alu instid0(VALU_DEP_1) | instskip(NEXT) | instid1(VALU_DEP_1)
	v_add_nc_u32_e32 v4, v3, v4
	v_lshrrev_b32_e32 v4, s38, v4
	s_delay_alu instid0(VALU_DEP_1) | instskip(NEXT) | instid1(VALU_DEP_1)
	v_mul_lo_u32 v4, v4, s34
	v_sub_nc_u32_e32 v7, v3, v4
	s_delay_alu instid0(VALU_DEP_1) | instskip(NEXT) | instid1(VALU_DEP_1)
	v_mad_u64_u32 v[3:4], null, v7, s36, v[0:1]
	v_mad_u64_u32 v[4:5], null, v7, s37, v[2:3]
	v_mad_u64_u32 v[5:6], null, v7, s20, v[1:2]
	v_mov_b32_e32 v0, v3
	s_delay_alu instid0(VALU_DEP_2)
	v_dual_mov_b32 v2, v4 :: v_dual_mov_b32 v1, v5
	s_branch .LBB141_146
.LBB141_133:
	s_mov_b32 s33, -1
                                        ; implicit-def: $vgpr0
                                        ; implicit-def: $vgpr2
                                        ; implicit-def: $vgpr1
.LBB141_134:
	s_delay_alu instid0(SALU_CYCLE_1)
	s_and_not1_b32 vcc_lo, exec_lo, s33
	s_cbranch_vccnz .LBB141_137
; %bb.135:
	s_waitcnt lgkmcnt(0)
	v_mul_hi_u32 v0, s13, v18
	s_and_not1_b32 vcc_lo, exec_lo, s27
	s_delay_alu instid0(VALU_DEP_1) | instskip(NEXT) | instid1(VALU_DEP_1)
	v_add_nc_u32_e32 v0, v18, v0
	v_lshrrev_b32_e32 v3, s14, v0
	s_delay_alu instid0(VALU_DEP_1) | instskip(NEXT) | instid1(VALU_DEP_1)
	v_mul_lo_u32 v0, v3, s12
	v_sub_nc_u32_e32 v1, v18, v0
	s_delay_alu instid0(VALU_DEP_1)
	v_mul_lo_u32 v0, v1, s8
	v_mul_lo_u32 v2, v1, s9
	;; [unrolled: 1-line block ×3, first 2 shown]
	s_cbranch_vccnz .LBB141_137
; %bb.136:
	v_mul_hi_u32 v4, s18, v3
	s_delay_alu instid0(VALU_DEP_1) | instskip(NEXT) | instid1(VALU_DEP_1)
	v_add_nc_u32_e32 v4, v3, v4
	v_lshrrev_b32_e32 v4, s19, v4
	s_delay_alu instid0(VALU_DEP_1) | instskip(NEXT) | instid1(VALU_DEP_1)
	v_mul_lo_u32 v4, v4, s15
	v_sub_nc_u32_e32 v7, v3, v4
	s_delay_alu instid0(VALU_DEP_1) | instskip(NEXT) | instid1(VALU_DEP_1)
	v_mad_u64_u32 v[3:4], null, v7, s11, v[0:1]
	v_mad_u64_u32 v[4:5], null, v7, s16, v[2:3]
	;; [unrolled: 1-line block ×3, first 2 shown]
	v_mov_b32_e32 v0, v3
	s_delay_alu instid0(VALU_DEP_2)
	v_dual_mov_b32 v2, v4 :: v_dual_mov_b32 v1, v5
.LBB141_137:
	s_waitcnt lgkmcnt(0)
	global_load_u8 v1, v1, s[2:3]
	global_load_u16 v2, v2, s[6:7]
	v_add_nc_u32_e32 v18, 0x80, v18
	s_waitcnt vmcnt(1)
	v_cmp_ne_u16_e32 vcc_lo, 0, v1
	s_waitcnt vmcnt(0)
	v_lshlrev_b32_e32 v2, 16, v2
	v_cndmask_b32_e64 v1, 0, 1.0, vcc_lo
	s_delay_alu instid0(VALU_DEP_1) | instskip(NEXT) | instid1(VALU_DEP_1)
	v_mul_f32_e32 v1, v1, v2
	v_mul_f32_e32 v1, s26, v1
	s_delay_alu instid0(VALU_DEP_1) | instskip(SKIP_1) | instid1(VALU_DEP_2)
	v_bfe_u32 v2, v1, 16, 1
	v_cmp_o_f32_e32 vcc_lo, v1, v1
	v_add3_u32 v2, v1, v2, 0x7fff
	s_delay_alu instid0(VALU_DEP_1) | instskip(NEXT) | instid1(VALU_DEP_1)
	v_lshrrev_b32_e32 v2, 16, v2
	v_cndmask_b32_e32 v1, 0x7fc0, v2, vcc_lo
	global_store_b16 v0, v1, s[4:5]
	s_or_b32 exec_lo, exec_lo, s31
	s_delay_alu instid0(SALU_CYCLE_1)
	s_mov_b32 s31, exec_lo
	v_cmpx_gt_i32_e64 s29, v18
	s_cbranch_execnz .LBB141_127
.LBB141_138:
	s_or_b32 exec_lo, exec_lo, s31
	s_delay_alu instid0(SALU_CYCLE_1)
	s_mov_b32 s31, exec_lo
	v_cmpx_gt_i32_e64 s29, v18
	s_cbranch_execz .LBB141_150
.LBB141_139:
	s_and_not1_b32 vcc_lo, exec_lo, s24
	s_cbranch_vccnz .LBB141_157
; %bb.140:
	v_dual_mov_b32 v0, 0 :: v_dual_mov_b32 v1, 0
	v_mov_b32_e32 v2, 0
	s_and_not1_b32 vcc_lo, exec_lo, s30
	s_mov_b32 s33, 0
	s_cbranch_vccnz .LBB141_158
; %bb.141:
	s_add_i32 s20, s28, 1
	v_dual_mov_b32 v1, 0 :: v_dual_mov_b32 v2, 0
	v_dual_mov_b32 v0, 0 :: v_dual_mov_b32 v3, v18
	s_and_b32 s34, s20, 30
	s_add_u32 s20, s0, 0xffffffec
	s_addc_u32 s21, s1, -1
	s_set_inst_prefetch_distance 0x1
	.p2align	6
.LBB141_142:                            ; =>This Inner Loop Header: Depth=1
	s_clause 0x2
	s_load_b128 s[36:39], s[20:21], 0x18
	s_load_b64 s[44:45], s[20:21], 0x28
	s_load_b128 s[40:43], s[20:21], 0xd8
	s_waitcnt lgkmcnt(0)
	v_mul_hi_u32 v4, s37, v3
	s_delay_alu instid0(VALU_DEP_1) | instskip(NEXT) | instid1(VALU_DEP_1)
	v_add_nc_u32_e32 v4, v3, v4
	v_lshrrev_b32_e32 v4, s38, v4
	s_delay_alu instid0(VALU_DEP_1)
	v_mul_hi_u32 v5, s44, v4
	v_mul_lo_u32 v6, v4, s36
	s_load_b64 s[36:37], s[20:21], 0xe8
	s_add_u32 s20, s20, 24
	s_addc_u32 s21, s21, 0
	s_add_i32 s34, s34, -2
	s_delay_alu instid0(SALU_CYCLE_1) | instskip(NEXT) | instid1(VALU_DEP_2)
	s_cmp_eq_u32 s34, 0
	v_add_nc_u32_e32 v5, v4, v5
	s_delay_alu instid0(VALU_DEP_2) | instskip(NEXT) | instid1(VALU_DEP_2)
	v_sub_nc_u32_e32 v6, v3, v6
	v_lshrrev_b32_e32 v3, s45, v5
	s_delay_alu instid0(VALU_DEP_2) | instskip(NEXT) | instid1(VALU_DEP_2)
	v_mul_lo_u32 v7, v6, s40
	v_mul_lo_u32 v5, v3, s39
	s_delay_alu instid0(VALU_DEP_1) | instskip(SKIP_2) | instid1(VALU_DEP_3)
	v_sub_nc_u32_e32 v4, v4, v5
	v_mul_lo_u32 v5, v6, s41
	v_mul_lo_u32 v6, v6, s42
	;; [unrolled: 1-line block ×3, first 2 shown]
	s_waitcnt lgkmcnt(0)
	v_mul_lo_u32 v9, v4, s36
	v_mul_lo_u32 v4, v4, s37
	s_delay_alu instid0(VALU_DEP_3) | instskip(NEXT) | instid1(VALU_DEP_3)
	v_add3_u32 v0, v7, v0, v8
	v_add3_u32 v2, v5, v2, v9
	s_delay_alu instid0(VALU_DEP_3)
	v_add3_u32 v1, v6, v1, v4
	s_cbranch_scc0 .LBB141_142
; %bb.143:
	s_set_inst_prefetch_distance 0x2
	s_bitcmp1_b32 s28, 0
	s_cselect_b32 s34, -1, 0
	s_delay_alu instid0(SALU_CYCLE_1)
	s_and_b32 vcc_lo, exec_lo, s34
	s_cbranch_vccnz .LBB141_158
; %bb.144:
	s_clause 0x3
	s_load_b64 s[34:35], s[20:21], 0x18
	s_load_b32 s38, s[20:21], 0x20
	s_load_b64 s[36:37], s[20:21], 0xd8
	s_load_b32 s20, s[20:21], 0xe0
	s_waitcnt lgkmcnt(0)
	v_mul_hi_u32 v4, s35, v3
	s_delay_alu instid0(VALU_DEP_1) | instskip(NEXT) | instid1(VALU_DEP_1)
	v_add_nc_u32_e32 v4, v3, v4
	v_lshrrev_b32_e32 v4, s38, v4
	s_delay_alu instid0(VALU_DEP_1) | instskip(NEXT) | instid1(VALU_DEP_1)
	v_mul_lo_u32 v4, v4, s34
	v_sub_nc_u32_e32 v7, v3, v4
	s_delay_alu instid0(VALU_DEP_1) | instskip(NEXT) | instid1(VALU_DEP_1)
	v_mad_u64_u32 v[3:4], null, v7, s36, v[0:1]
	v_mad_u64_u32 v[4:5], null, v7, s37, v[2:3]
	;; [unrolled: 1-line block ×3, first 2 shown]
	v_mov_b32_e32 v0, v3
	s_delay_alu instid0(VALU_DEP_2)
	v_dual_mov_b32 v2, v4 :: v_dual_mov_b32 v1, v5
	s_branch .LBB141_158
.LBB141_145:
	s_mov_b32 s33, -1
                                        ; implicit-def: $vgpr0
                                        ; implicit-def: $vgpr2
                                        ; implicit-def: $vgpr1
.LBB141_146:
	s_delay_alu instid0(SALU_CYCLE_1)
	s_and_not1_b32 vcc_lo, exec_lo, s33
	s_cbranch_vccnz .LBB141_149
; %bb.147:
	s_waitcnt lgkmcnt(0)
	v_mul_hi_u32 v0, s13, v18
	s_and_not1_b32 vcc_lo, exec_lo, s27
	s_delay_alu instid0(VALU_DEP_1) | instskip(NEXT) | instid1(VALU_DEP_1)
	v_add_nc_u32_e32 v0, v18, v0
	v_lshrrev_b32_e32 v3, s14, v0
	s_delay_alu instid0(VALU_DEP_1) | instskip(NEXT) | instid1(VALU_DEP_1)
	v_mul_lo_u32 v0, v3, s12
	v_sub_nc_u32_e32 v1, v18, v0
	s_delay_alu instid0(VALU_DEP_1)
	v_mul_lo_u32 v0, v1, s8
	v_mul_lo_u32 v2, v1, s9
	;; [unrolled: 1-line block ×3, first 2 shown]
	s_cbranch_vccnz .LBB141_149
; %bb.148:
	v_mul_hi_u32 v4, s18, v3
	s_delay_alu instid0(VALU_DEP_1) | instskip(NEXT) | instid1(VALU_DEP_1)
	v_add_nc_u32_e32 v4, v3, v4
	v_lshrrev_b32_e32 v4, s19, v4
	s_delay_alu instid0(VALU_DEP_1) | instskip(NEXT) | instid1(VALU_DEP_1)
	v_mul_lo_u32 v4, v4, s15
	v_sub_nc_u32_e32 v7, v3, v4
	s_delay_alu instid0(VALU_DEP_1) | instskip(NEXT) | instid1(VALU_DEP_1)
	v_mad_u64_u32 v[3:4], null, v7, s11, v[0:1]
	v_mad_u64_u32 v[4:5], null, v7, s16, v[2:3]
	;; [unrolled: 1-line block ×3, first 2 shown]
	v_mov_b32_e32 v0, v3
	s_delay_alu instid0(VALU_DEP_2)
	v_dual_mov_b32 v2, v4 :: v_dual_mov_b32 v1, v5
.LBB141_149:
	s_waitcnt lgkmcnt(0)
	global_load_u8 v1, v1, s[2:3]
	global_load_u16 v2, v2, s[6:7]
	v_add_nc_u32_e32 v18, 0x80, v18
	s_waitcnt vmcnt(1)
	v_cmp_ne_u16_e32 vcc_lo, 0, v1
	s_waitcnt vmcnt(0)
	v_lshlrev_b32_e32 v2, 16, v2
	v_cndmask_b32_e64 v1, 0, 1.0, vcc_lo
	s_delay_alu instid0(VALU_DEP_1) | instskip(NEXT) | instid1(VALU_DEP_1)
	v_mul_f32_e32 v1, v1, v2
	v_mul_f32_e32 v1, s26, v1
	s_delay_alu instid0(VALU_DEP_1) | instskip(SKIP_1) | instid1(VALU_DEP_2)
	v_bfe_u32 v2, v1, 16, 1
	v_cmp_o_f32_e32 vcc_lo, v1, v1
	v_add3_u32 v2, v1, v2, 0x7fff
	s_delay_alu instid0(VALU_DEP_1) | instskip(NEXT) | instid1(VALU_DEP_1)
	v_lshrrev_b32_e32 v2, 16, v2
	v_cndmask_b32_e32 v1, 0x7fc0, v2, vcc_lo
	global_store_b16 v0, v1, s[4:5]
	s_or_b32 exec_lo, exec_lo, s31
	s_delay_alu instid0(SALU_CYCLE_1)
	s_mov_b32 s31, exec_lo
	v_cmpx_gt_i32_e64 s29, v18
	s_cbranch_execnz .LBB141_139
.LBB141_150:
	s_or_b32 exec_lo, exec_lo, s31
	s_delay_alu instid0(SALU_CYCLE_1)
	s_mov_b32 s31, exec_lo
	v_cmpx_gt_i32_e64 s29, v18
	s_cbranch_execz .LBB141_162
.LBB141_151:
	s_and_not1_b32 vcc_lo, exec_lo, s24
	s_cbranch_vccnz .LBB141_165
; %bb.152:
	v_dual_mov_b32 v0, 0 :: v_dual_mov_b32 v1, 0
	v_mov_b32_e32 v2, 0
	s_and_not1_b32 vcc_lo, exec_lo, s30
	s_mov_b32 s33, 0
	s_cbranch_vccnz .LBB141_166
; %bb.153:
	s_add_i32 s20, s28, 1
	v_dual_mov_b32 v1, 0 :: v_dual_mov_b32 v2, 0
	v_dual_mov_b32 v0, 0 :: v_dual_mov_b32 v3, v18
	s_and_b32 s34, s20, 30
	s_add_u32 s20, s0, 0xffffffec
	s_addc_u32 s21, s1, -1
	s_set_inst_prefetch_distance 0x1
	.p2align	6
.LBB141_154:                            ; =>This Inner Loop Header: Depth=1
	s_clause 0x2
	s_load_b128 s[36:39], s[20:21], 0x18
	s_load_b64 s[44:45], s[20:21], 0x28
	s_load_b128 s[40:43], s[20:21], 0xd8
	s_waitcnt lgkmcnt(0)
	v_mul_hi_u32 v4, s37, v3
	s_delay_alu instid0(VALU_DEP_1) | instskip(NEXT) | instid1(VALU_DEP_1)
	v_add_nc_u32_e32 v4, v3, v4
	v_lshrrev_b32_e32 v4, s38, v4
	s_delay_alu instid0(VALU_DEP_1)
	v_mul_hi_u32 v5, s44, v4
	v_mul_lo_u32 v6, v4, s36
	s_load_b64 s[36:37], s[20:21], 0xe8
	s_add_u32 s20, s20, 24
	s_addc_u32 s21, s21, 0
	s_add_i32 s34, s34, -2
	s_delay_alu instid0(SALU_CYCLE_1) | instskip(NEXT) | instid1(VALU_DEP_2)
	s_cmp_eq_u32 s34, 0
	v_add_nc_u32_e32 v5, v4, v5
	s_delay_alu instid0(VALU_DEP_2) | instskip(NEXT) | instid1(VALU_DEP_2)
	v_sub_nc_u32_e32 v6, v3, v6
	v_lshrrev_b32_e32 v3, s45, v5
	s_delay_alu instid0(VALU_DEP_2) | instskip(NEXT) | instid1(VALU_DEP_2)
	v_mul_lo_u32 v7, v6, s40
	v_mul_lo_u32 v5, v3, s39
	s_delay_alu instid0(VALU_DEP_1) | instskip(SKIP_2) | instid1(VALU_DEP_3)
	v_sub_nc_u32_e32 v4, v4, v5
	v_mul_lo_u32 v5, v6, s41
	v_mul_lo_u32 v6, v6, s42
	;; [unrolled: 1-line block ×3, first 2 shown]
	s_waitcnt lgkmcnt(0)
	v_mul_lo_u32 v9, v4, s36
	v_mul_lo_u32 v4, v4, s37
	s_delay_alu instid0(VALU_DEP_3) | instskip(NEXT) | instid1(VALU_DEP_3)
	v_add3_u32 v0, v7, v0, v8
	v_add3_u32 v2, v5, v2, v9
	s_delay_alu instid0(VALU_DEP_3)
	v_add3_u32 v1, v6, v1, v4
	s_cbranch_scc0 .LBB141_154
; %bb.155:
	s_set_inst_prefetch_distance 0x2
	s_bitcmp1_b32 s28, 0
	s_cselect_b32 s34, -1, 0
	s_delay_alu instid0(SALU_CYCLE_1)
	s_and_b32 vcc_lo, exec_lo, s34
	s_cbranch_vccnz .LBB141_166
; %bb.156:
	s_clause 0x3
	s_load_b64 s[34:35], s[20:21], 0x18
	s_load_b32 s38, s[20:21], 0x20
	s_load_b64 s[36:37], s[20:21], 0xd8
	s_load_b32 s20, s[20:21], 0xe0
	s_waitcnt lgkmcnt(0)
	v_mul_hi_u32 v4, s35, v3
	s_delay_alu instid0(VALU_DEP_1) | instskip(NEXT) | instid1(VALU_DEP_1)
	v_add_nc_u32_e32 v4, v3, v4
	v_lshrrev_b32_e32 v4, s38, v4
	s_delay_alu instid0(VALU_DEP_1) | instskip(NEXT) | instid1(VALU_DEP_1)
	v_mul_lo_u32 v4, v4, s34
	v_sub_nc_u32_e32 v7, v3, v4
	s_delay_alu instid0(VALU_DEP_1) | instskip(NEXT) | instid1(VALU_DEP_1)
	v_mad_u64_u32 v[3:4], null, v7, s36, v[0:1]
	v_mad_u64_u32 v[4:5], null, v7, s37, v[2:3]
	;; [unrolled: 1-line block ×3, first 2 shown]
	v_mov_b32_e32 v0, v3
	s_delay_alu instid0(VALU_DEP_2)
	v_dual_mov_b32 v2, v4 :: v_dual_mov_b32 v1, v5
	s_branch .LBB141_166
.LBB141_157:
	s_mov_b32 s33, -1
                                        ; implicit-def: $vgpr0
                                        ; implicit-def: $vgpr2
                                        ; implicit-def: $vgpr1
.LBB141_158:
	s_delay_alu instid0(SALU_CYCLE_1)
	s_and_not1_b32 vcc_lo, exec_lo, s33
	s_cbranch_vccnz .LBB141_161
; %bb.159:
	s_waitcnt lgkmcnt(0)
	v_mul_hi_u32 v0, s13, v18
	s_and_not1_b32 vcc_lo, exec_lo, s27
	s_delay_alu instid0(VALU_DEP_1) | instskip(NEXT) | instid1(VALU_DEP_1)
	v_add_nc_u32_e32 v0, v18, v0
	v_lshrrev_b32_e32 v3, s14, v0
	s_delay_alu instid0(VALU_DEP_1) | instskip(NEXT) | instid1(VALU_DEP_1)
	v_mul_lo_u32 v0, v3, s12
	v_sub_nc_u32_e32 v1, v18, v0
	s_delay_alu instid0(VALU_DEP_1)
	v_mul_lo_u32 v0, v1, s8
	v_mul_lo_u32 v2, v1, s9
	v_mul_lo_u32 v1, v1, s10
	s_cbranch_vccnz .LBB141_161
; %bb.160:
	v_mul_hi_u32 v4, s18, v3
	s_delay_alu instid0(VALU_DEP_1) | instskip(NEXT) | instid1(VALU_DEP_1)
	v_add_nc_u32_e32 v4, v3, v4
	v_lshrrev_b32_e32 v4, s19, v4
	s_delay_alu instid0(VALU_DEP_1) | instskip(NEXT) | instid1(VALU_DEP_1)
	v_mul_lo_u32 v4, v4, s15
	v_sub_nc_u32_e32 v7, v3, v4
	s_delay_alu instid0(VALU_DEP_1) | instskip(NEXT) | instid1(VALU_DEP_1)
	v_mad_u64_u32 v[3:4], null, v7, s11, v[0:1]
	v_mad_u64_u32 v[4:5], null, v7, s16, v[2:3]
	;; [unrolled: 1-line block ×3, first 2 shown]
	v_mov_b32_e32 v0, v3
	s_delay_alu instid0(VALU_DEP_2)
	v_dual_mov_b32 v2, v4 :: v_dual_mov_b32 v1, v5
.LBB141_161:
	s_waitcnt lgkmcnt(0)
	global_load_u8 v1, v1, s[2:3]
	global_load_u16 v2, v2, s[6:7]
	v_add_nc_u32_e32 v18, 0x80, v18
	s_waitcnt vmcnt(1)
	v_cmp_ne_u16_e32 vcc_lo, 0, v1
	s_waitcnt vmcnt(0)
	v_lshlrev_b32_e32 v2, 16, v2
	v_cndmask_b32_e64 v1, 0, 1.0, vcc_lo
	s_delay_alu instid0(VALU_DEP_1) | instskip(NEXT) | instid1(VALU_DEP_1)
	v_mul_f32_e32 v1, v1, v2
	v_mul_f32_e32 v1, s26, v1
	s_delay_alu instid0(VALU_DEP_1) | instskip(SKIP_1) | instid1(VALU_DEP_2)
	v_bfe_u32 v2, v1, 16, 1
	v_cmp_o_f32_e32 vcc_lo, v1, v1
	v_add3_u32 v2, v1, v2, 0x7fff
	s_delay_alu instid0(VALU_DEP_1) | instskip(NEXT) | instid1(VALU_DEP_1)
	v_lshrrev_b32_e32 v2, 16, v2
	v_cndmask_b32_e32 v1, 0x7fc0, v2, vcc_lo
	global_store_b16 v0, v1, s[4:5]
	s_or_b32 exec_lo, exec_lo, s31
	s_delay_alu instid0(SALU_CYCLE_1)
	s_mov_b32 s31, exec_lo
	v_cmpx_gt_i32_e64 s29, v18
	s_cbranch_execnz .LBB141_151
.LBB141_162:
	s_or_b32 exec_lo, exec_lo, s31
	v_cmp_gt_i32_e32 vcc_lo, s29, v18
	s_and_saveexec_b32 s29, vcc_lo
	s_cbranch_execnz .LBB141_170
.LBB141_163:
	s_or_b32 exec_lo, exec_lo, s29
                                        ; implicit-def: $vgpr24
                                        ; implicit-def: $vgpr18
	s_waitcnt lgkmcnt(0)
	s_and_not1_saveexec_b32 s2, s25
	s_cbranch_execnz .LBB141_9
.LBB141_164:
	s_nop 0
	s_sendmsg sendmsg(MSG_DEALLOC_VGPRS)
	s_endpgm
.LBB141_165:
	s_mov_b32 s33, -1
                                        ; implicit-def: $vgpr0
                                        ; implicit-def: $vgpr2
                                        ; implicit-def: $vgpr1
.LBB141_166:
	s_delay_alu instid0(SALU_CYCLE_1)
	s_and_not1_b32 vcc_lo, exec_lo, s33
	s_cbranch_vccnz .LBB141_169
; %bb.167:
	s_waitcnt lgkmcnt(0)
	v_mul_hi_u32 v0, s13, v18
	s_and_not1_b32 vcc_lo, exec_lo, s27
	s_delay_alu instid0(VALU_DEP_1) | instskip(NEXT) | instid1(VALU_DEP_1)
	v_add_nc_u32_e32 v0, v18, v0
	v_lshrrev_b32_e32 v3, s14, v0
	s_delay_alu instid0(VALU_DEP_1) | instskip(NEXT) | instid1(VALU_DEP_1)
	v_mul_lo_u32 v0, v3, s12
	v_sub_nc_u32_e32 v1, v18, v0
	s_delay_alu instid0(VALU_DEP_1)
	v_mul_lo_u32 v0, v1, s8
	v_mul_lo_u32 v2, v1, s9
	;; [unrolled: 1-line block ×3, first 2 shown]
	s_cbranch_vccnz .LBB141_169
; %bb.168:
	v_mul_hi_u32 v4, s18, v3
	s_delay_alu instid0(VALU_DEP_1) | instskip(NEXT) | instid1(VALU_DEP_1)
	v_add_nc_u32_e32 v4, v3, v4
	v_lshrrev_b32_e32 v4, s19, v4
	s_delay_alu instid0(VALU_DEP_1) | instskip(NEXT) | instid1(VALU_DEP_1)
	v_mul_lo_u32 v4, v4, s15
	v_sub_nc_u32_e32 v7, v3, v4
	s_delay_alu instid0(VALU_DEP_1) | instskip(NEXT) | instid1(VALU_DEP_1)
	v_mad_u64_u32 v[3:4], null, v7, s11, v[0:1]
	v_mad_u64_u32 v[4:5], null, v7, s16, v[2:3]
	v_mad_u64_u32 v[5:6], null, v7, s17, v[1:2]
	v_mov_b32_e32 v0, v3
	s_delay_alu instid0(VALU_DEP_2)
	v_dual_mov_b32 v2, v4 :: v_dual_mov_b32 v1, v5
.LBB141_169:
	s_waitcnt lgkmcnt(0)
	global_load_u8 v1, v1, s[2:3]
	global_load_u16 v2, v2, s[6:7]
	v_add_nc_u32_e32 v18, 0x80, v18
	s_waitcnt vmcnt(1)
	v_cmp_ne_u16_e32 vcc_lo, 0, v1
	s_waitcnt vmcnt(0)
	v_lshlrev_b32_e32 v2, 16, v2
	v_cndmask_b32_e64 v1, 0, 1.0, vcc_lo
	s_delay_alu instid0(VALU_DEP_1) | instskip(NEXT) | instid1(VALU_DEP_1)
	v_mul_f32_e32 v1, v1, v2
	v_mul_f32_e32 v1, s26, v1
	s_delay_alu instid0(VALU_DEP_1) | instskip(SKIP_1) | instid1(VALU_DEP_2)
	v_bfe_u32 v2, v1, 16, 1
	v_cmp_o_f32_e32 vcc_lo, v1, v1
	v_add3_u32 v2, v1, v2, 0x7fff
	s_delay_alu instid0(VALU_DEP_1) | instskip(NEXT) | instid1(VALU_DEP_1)
	v_lshrrev_b32_e32 v2, 16, v2
	v_cndmask_b32_e32 v1, 0x7fc0, v2, vcc_lo
	global_store_b16 v0, v1, s[4:5]
	s_or_b32 exec_lo, exec_lo, s31
	v_cmp_gt_i32_e32 vcc_lo, s29, v18
	s_and_saveexec_b32 s29, vcc_lo
	s_cbranch_execz .LBB141_163
.LBB141_170:
	s_and_not1_b32 vcc_lo, exec_lo, s24
	s_cbranch_vccnz .LBB141_176
; %bb.171:
	v_dual_mov_b32 v0, 0 :: v_dual_mov_b32 v1, 0
	v_mov_b32_e32 v2, 0
	s_and_not1_b32 vcc_lo, exec_lo, s30
	s_mov_b32 s30, 0
	s_cbranch_vccnz .LBB141_177
; %bb.172:
	s_add_i32 s20, s28, 1
	v_dual_mov_b32 v1, 0 :: v_dual_mov_b32 v2, 0
	v_dual_mov_b32 v0, 0 :: v_dual_mov_b32 v3, v18
	s_and_b32 s31, s20, 30
	s_add_u32 s20, s0, 0xffffffec
	s_addc_u32 s21, s1, -1
	s_set_inst_prefetch_distance 0x1
	.p2align	6
.LBB141_173:                            ; =>This Inner Loop Header: Depth=1
	s_clause 0x2
	s_load_b128 s[36:39], s[20:21], 0x18
	s_load_b64 s[34:35], s[20:21], 0x28
	s_load_b128 s[40:43], s[20:21], 0xd8
	s_waitcnt lgkmcnt(0)
	v_mul_hi_u32 v4, s37, v3
	s_delay_alu instid0(VALU_DEP_1) | instskip(NEXT) | instid1(VALU_DEP_1)
	v_add_nc_u32_e32 v4, v3, v4
	v_lshrrev_b32_e32 v4, s38, v4
	s_delay_alu instid0(VALU_DEP_1)
	v_mul_hi_u32 v5, s34, v4
	v_mul_lo_u32 v6, v4, s36
	s_load_b64 s[36:37], s[20:21], 0xe8
	s_add_u32 s20, s20, 24
	s_addc_u32 s21, s21, 0
	s_add_i32 s31, s31, -2
	s_delay_alu instid0(SALU_CYCLE_1) | instskip(NEXT) | instid1(VALU_DEP_2)
	s_cmp_eq_u32 s31, 0
	v_add_nc_u32_e32 v5, v4, v5
	s_delay_alu instid0(VALU_DEP_2) | instskip(NEXT) | instid1(VALU_DEP_2)
	v_sub_nc_u32_e32 v6, v3, v6
	v_lshrrev_b32_e32 v3, s35, v5
	s_delay_alu instid0(VALU_DEP_2) | instskip(NEXT) | instid1(VALU_DEP_2)
	v_mul_lo_u32 v7, v6, s40
	v_mul_lo_u32 v5, v3, s39
	s_delay_alu instid0(VALU_DEP_1) | instskip(SKIP_2) | instid1(VALU_DEP_3)
	v_sub_nc_u32_e32 v4, v4, v5
	v_mul_lo_u32 v5, v6, s41
	v_mul_lo_u32 v6, v6, s42
	;; [unrolled: 1-line block ×3, first 2 shown]
	s_waitcnt lgkmcnt(0)
	v_mul_lo_u32 v9, v4, s36
	v_mul_lo_u32 v4, v4, s37
	s_delay_alu instid0(VALU_DEP_3) | instskip(NEXT) | instid1(VALU_DEP_3)
	v_add3_u32 v0, v7, v0, v8
	v_add3_u32 v2, v5, v2, v9
	s_delay_alu instid0(VALU_DEP_3)
	v_add3_u32 v1, v6, v1, v4
	s_cbranch_scc0 .LBB141_173
; %bb.174:
	s_set_inst_prefetch_distance 0x2
	s_bitcmp1_b32 s28, 0
	s_cselect_b32 s28, -1, 0
	s_delay_alu instid0(SALU_CYCLE_1)
	s_and_b32 vcc_lo, exec_lo, s28
	s_cbranch_vccnz .LBB141_177
; %bb.175:
	s_clause 0x3
	s_load_b64 s[34:35], s[20:21], 0x18
	s_load_b32 s28, s[20:21], 0x20
	s_load_b64 s[36:37], s[20:21], 0xd8
	s_load_b32 s20, s[20:21], 0xe0
	s_waitcnt lgkmcnt(0)
	v_mul_hi_u32 v4, s35, v3
	s_delay_alu instid0(VALU_DEP_1) | instskip(NEXT) | instid1(VALU_DEP_1)
	v_add_nc_u32_e32 v4, v3, v4
	v_lshrrev_b32_e32 v4, s28, v4
	s_delay_alu instid0(VALU_DEP_1) | instskip(NEXT) | instid1(VALU_DEP_1)
	v_mul_lo_u32 v4, v4, s34
	v_sub_nc_u32_e32 v7, v3, v4
	s_delay_alu instid0(VALU_DEP_1) | instskip(NEXT) | instid1(VALU_DEP_1)
	v_mad_u64_u32 v[3:4], null, v7, s36, v[0:1]
	v_mad_u64_u32 v[4:5], null, v7, s37, v[2:3]
	;; [unrolled: 1-line block ×3, first 2 shown]
	v_mov_b32_e32 v0, v3
	s_delay_alu instid0(VALU_DEP_2)
	v_dual_mov_b32 v2, v4 :: v_dual_mov_b32 v1, v5
	s_branch .LBB141_177
.LBB141_176:
	s_mov_b32 s30, -1
                                        ; implicit-def: $vgpr0
                                        ; implicit-def: $vgpr2
                                        ; implicit-def: $vgpr1
.LBB141_177:
	s_delay_alu instid0(SALU_CYCLE_1)
	s_and_not1_b32 vcc_lo, exec_lo, s30
	s_cbranch_vccnz .LBB141_180
; %bb.178:
	s_waitcnt lgkmcnt(0)
	v_mul_hi_u32 v0, s13, v18
	s_and_not1_b32 vcc_lo, exec_lo, s27
	s_delay_alu instid0(VALU_DEP_1) | instskip(NEXT) | instid1(VALU_DEP_1)
	v_add_nc_u32_e32 v0, v18, v0
	v_lshrrev_b32_e32 v3, s14, v0
	s_delay_alu instid0(VALU_DEP_1) | instskip(NEXT) | instid1(VALU_DEP_1)
	v_mul_lo_u32 v0, v3, s12
	v_sub_nc_u32_e32 v1, v18, v0
	s_delay_alu instid0(VALU_DEP_1)
	v_mul_lo_u32 v0, v1, s8
	v_mul_lo_u32 v2, v1, s9
	;; [unrolled: 1-line block ×3, first 2 shown]
	s_cbranch_vccnz .LBB141_180
; %bb.179:
	v_mul_hi_u32 v4, s18, v3
	s_delay_alu instid0(VALU_DEP_1) | instskip(NEXT) | instid1(VALU_DEP_1)
	v_add_nc_u32_e32 v4, v3, v4
	v_lshrrev_b32_e32 v4, s19, v4
	s_delay_alu instid0(VALU_DEP_1) | instskip(NEXT) | instid1(VALU_DEP_1)
	v_mul_lo_u32 v4, v4, s15
	v_sub_nc_u32_e32 v7, v3, v4
	s_delay_alu instid0(VALU_DEP_1) | instskip(NEXT) | instid1(VALU_DEP_1)
	v_mad_u64_u32 v[3:4], null, v7, s11, v[0:1]
	v_mad_u64_u32 v[4:5], null, v7, s16, v[2:3]
	;; [unrolled: 1-line block ×3, first 2 shown]
	v_mov_b32_e32 v0, v3
	s_delay_alu instid0(VALU_DEP_2)
	v_dual_mov_b32 v2, v4 :: v_dual_mov_b32 v1, v5
.LBB141_180:
	s_waitcnt lgkmcnt(0)
	global_load_u8 v1, v1, s[2:3]
	global_load_u16 v2, v2, s[6:7]
	s_waitcnt vmcnt(1)
	v_cmp_ne_u16_e32 vcc_lo, 0, v1
	s_waitcnt vmcnt(0)
	v_lshlrev_b32_e32 v2, 16, v2
	v_cndmask_b32_e64 v1, 0, 1.0, vcc_lo
	s_delay_alu instid0(VALU_DEP_1) | instskip(NEXT) | instid1(VALU_DEP_1)
	v_mul_f32_e32 v1, v1, v2
	v_mul_f32_e32 v1, s26, v1
	s_delay_alu instid0(VALU_DEP_1) | instskip(SKIP_1) | instid1(VALU_DEP_2)
	v_bfe_u32 v2, v1, 16, 1
	v_cmp_o_f32_e32 vcc_lo, v1, v1
	v_add3_u32 v2, v1, v2, 0x7fff
	s_delay_alu instid0(VALU_DEP_1) | instskip(NEXT) | instid1(VALU_DEP_1)
	v_lshrrev_b32_e32 v2, 16, v2
	v_cndmask_b32_e32 v1, 0x7fc0, v2, vcc_lo
	global_store_b16 v0, v1, s[4:5]
	s_or_b32 exec_lo, exec_lo, s29
                                        ; implicit-def: $vgpr24
                                        ; implicit-def: $vgpr18
	s_and_not1_saveexec_b32 s2, s25
	s_cbranch_execz .LBB141_164
	s_branch .LBB141_9
	.section	.rodata,"a",@progbits
	.p2align	6, 0x0
	.amdhsa_kernel _ZN2at6native32elementwise_kernel_manual_unrollILi128ELi8EZNS0_22gpu_kernel_impl_nocastIZNS0_12_GLOBAL__N_119masked_scale_kernelIbN3c108BFloat16EfEEvRNS_6TensorERKS7_SA_T1_EUlS6_bE_EEvRNS_18TensorIteratorBaseERKT_EUlibE_EEviSB_
		.amdhsa_group_segment_fixed_size 0
		.amdhsa_private_segment_fixed_size 0
		.amdhsa_kernarg_size 432
		.amdhsa_user_sgpr_count 15
		.amdhsa_user_sgpr_dispatch_ptr 0
		.amdhsa_user_sgpr_queue_ptr 0
		.amdhsa_user_sgpr_kernarg_segment_ptr 1
		.amdhsa_user_sgpr_dispatch_id 0
		.amdhsa_user_sgpr_private_segment_size 0
		.amdhsa_wavefront_size32 1
		.amdhsa_uses_dynamic_stack 0
		.amdhsa_enable_private_segment 0
		.amdhsa_system_sgpr_workgroup_id_x 1
		.amdhsa_system_sgpr_workgroup_id_y 0
		.amdhsa_system_sgpr_workgroup_id_z 0
		.amdhsa_system_sgpr_workgroup_info 0
		.amdhsa_system_vgpr_workitem_id 0
		.amdhsa_next_free_vgpr 32
		.amdhsa_next_free_sgpr 46
		.amdhsa_reserve_vcc 1
		.amdhsa_float_round_mode_32 0
		.amdhsa_float_round_mode_16_64 0
		.amdhsa_float_denorm_mode_32 3
		.amdhsa_float_denorm_mode_16_64 3
		.amdhsa_dx10_clamp 1
		.amdhsa_ieee_mode 1
		.amdhsa_fp16_overflow 0
		.amdhsa_workgroup_processor_mode 1
		.amdhsa_memory_ordered 1
		.amdhsa_forward_progress 0
		.amdhsa_shared_vgpr_count 0
		.amdhsa_exception_fp_ieee_invalid_op 0
		.amdhsa_exception_fp_denorm_src 0
		.amdhsa_exception_fp_ieee_div_zero 0
		.amdhsa_exception_fp_ieee_overflow 0
		.amdhsa_exception_fp_ieee_underflow 0
		.amdhsa_exception_fp_ieee_inexact 0
		.amdhsa_exception_int_div_zero 0
	.end_amdhsa_kernel
	.section	.text._ZN2at6native32elementwise_kernel_manual_unrollILi128ELi8EZNS0_22gpu_kernel_impl_nocastIZNS0_12_GLOBAL__N_119masked_scale_kernelIbN3c108BFloat16EfEEvRNS_6TensorERKS7_SA_T1_EUlS6_bE_EEvRNS_18TensorIteratorBaseERKT_EUlibE_EEviSB_,"axG",@progbits,_ZN2at6native32elementwise_kernel_manual_unrollILi128ELi8EZNS0_22gpu_kernel_impl_nocastIZNS0_12_GLOBAL__N_119masked_scale_kernelIbN3c108BFloat16EfEEvRNS_6TensorERKS7_SA_T1_EUlS6_bE_EEvRNS_18TensorIteratorBaseERKT_EUlibE_EEviSB_,comdat
.Lfunc_end141:
	.size	_ZN2at6native32elementwise_kernel_manual_unrollILi128ELi8EZNS0_22gpu_kernel_impl_nocastIZNS0_12_GLOBAL__N_119masked_scale_kernelIbN3c108BFloat16EfEEvRNS_6TensorERKS7_SA_T1_EUlS6_bE_EEvRNS_18TensorIteratorBaseERKT_EUlibE_EEviSB_, .Lfunc_end141-_ZN2at6native32elementwise_kernel_manual_unrollILi128ELi8EZNS0_22gpu_kernel_impl_nocastIZNS0_12_GLOBAL__N_119masked_scale_kernelIbN3c108BFloat16EfEEvRNS_6TensorERKS7_SA_T1_EUlS6_bE_EEvRNS_18TensorIteratorBaseERKT_EUlibE_EEviSB_
                                        ; -- End function
	.section	.AMDGPU.csdata,"",@progbits
; Kernel info:
; codeLenInByte = 12540
; NumSgprs: 48
; NumVgprs: 32
; ScratchSize: 0
; MemoryBound: 0
; FloatMode: 240
; IeeeMode: 1
; LDSByteSize: 0 bytes/workgroup (compile time only)
; SGPRBlocks: 5
; VGPRBlocks: 3
; NumSGPRsForWavesPerEU: 48
; NumVGPRsForWavesPerEU: 32
; Occupancy: 16
; WaveLimiterHint : 1
; COMPUTE_PGM_RSRC2:SCRATCH_EN: 0
; COMPUTE_PGM_RSRC2:USER_SGPR: 15
; COMPUTE_PGM_RSRC2:TRAP_HANDLER: 0
; COMPUTE_PGM_RSRC2:TGID_X_EN: 1
; COMPUTE_PGM_RSRC2:TGID_Y_EN: 0
; COMPUTE_PGM_RSRC2:TGID_Z_EN: 0
; COMPUTE_PGM_RSRC2:TIDIG_COMP_CNT: 0
	.section	.text._ZN2at6native32elementwise_kernel_manual_unrollILi128ELi4EZNS0_15gpu_kernel_implIZNS0_12_GLOBAL__N_119masked_scale_kernelIbN3c108BFloat16EfEEvRNS_6TensorERKS7_SA_T1_EUlS6_bE_EEvRNS_18TensorIteratorBaseERKT_EUlibE_EEviSB_,"axG",@progbits,_ZN2at6native32elementwise_kernel_manual_unrollILi128ELi4EZNS0_15gpu_kernel_implIZNS0_12_GLOBAL__N_119masked_scale_kernelIbN3c108BFloat16EfEEvRNS_6TensorERKS7_SA_T1_EUlS6_bE_EEvRNS_18TensorIteratorBaseERKT_EUlibE_EEviSB_,comdat
	.globl	_ZN2at6native32elementwise_kernel_manual_unrollILi128ELi4EZNS0_15gpu_kernel_implIZNS0_12_GLOBAL__N_119masked_scale_kernelIbN3c108BFloat16EfEEvRNS_6TensorERKS7_SA_T1_EUlS6_bE_EEvRNS_18TensorIteratorBaseERKT_EUlibE_EEviSB_ ; -- Begin function _ZN2at6native32elementwise_kernel_manual_unrollILi128ELi4EZNS0_15gpu_kernel_implIZNS0_12_GLOBAL__N_119masked_scale_kernelIbN3c108BFloat16EfEEvRNS_6TensorERKS7_SA_T1_EUlS6_bE_EEvRNS_18TensorIteratorBaseERKT_EUlibE_EEviSB_
	.p2align	8
	.type	_ZN2at6native32elementwise_kernel_manual_unrollILi128ELi4EZNS0_15gpu_kernel_implIZNS0_12_GLOBAL__N_119masked_scale_kernelIbN3c108BFloat16EfEEvRNS_6TensorERKS7_SA_T1_EUlS6_bE_EEvRNS_18TensorIteratorBaseERKT_EUlibE_EEviSB_,@function
_ZN2at6native32elementwise_kernel_manual_unrollILi128ELi4EZNS0_15gpu_kernel_implIZNS0_12_GLOBAL__N_119masked_scale_kernelIbN3c108BFloat16EfEEvRNS_6TensorERKS7_SA_T1_EUlS6_bE_EEvRNS_18TensorIteratorBaseERKT_EUlibE_EEviSB_: ; @_ZN2at6native32elementwise_kernel_manual_unrollILi128ELi4EZNS0_15gpu_kernel_implIZNS0_12_GLOBAL__N_119masked_scale_kernelIbN3c108BFloat16EfEEvRNS_6TensorERKS7_SA_T1_EUlS6_bE_EEvRNS_18TensorIteratorBaseERKT_EUlibE_EEviSB_
; %bb.0:
	s_clause 0x4
	s_load_b32 s12, s[0:1], 0x30
	s_load_b32 s17, s[0:1], 0x0
	s_load_b128 s[4:7], s[0:1], 0x8
	s_load_b64 s[2:3], s[0:1], 0x18
	s_load_b128 s[8:11], s[0:1], 0x20
	v_lshl_or_b32 v2, s15, 9, v0
	s_mov_b32 s13, 0
	s_mov_b32 s16, 0
	s_mov_b32 s0, exec_lo
	s_delay_alu instid0(VALU_DEP_1) | instskip(SKIP_3) | instid1(VALU_DEP_1)
	v_or_b32_e32 v0, 0x180, v2
	s_waitcnt lgkmcnt(0)
	s_lshr_b32 s14, s12, 8
	s_lshr_b32 s1, s12, 16
	v_cmpx_le_i32_e64 s17, v0
	s_xor_b32 s15, exec_lo, s0
	s_cbranch_execz .LBB142_1544
; %bb.1:
	s_mov_b32 s23, -1
	s_mov_b32 s21, 0
	s_mov_b32 s19, 0
	;; [unrolled: 1-line block ×3, first 2 shown]
	s_mov_b32 s20, exec_lo
	v_cmpx_gt_i32_e64 s17, v2
	s_cbranch_execz .LBB142_380
; %bb.2:
	v_mul_lo_u32 v0, v2, s9
	v_and_b32_e64 v4, 0xff, s14
	s_delay_alu instid0(VALU_DEP_1) | instskip(NEXT) | instid1(VALU_DEP_3)
	v_cmp_gt_i16_e32 vcc_lo, 11, v4
	v_ashrrev_i32_e32 v1, 31, v0
	v_add_co_u32 v0, s0, s6, v0
	s_delay_alu instid0(VALU_DEP_1)
	v_add_co_ci_u32_e64 v1, s0, s7, v1, s0
	s_cbranch_vccnz .LBB142_9
; %bb.3:
	v_cmp_lt_i16_e32 vcc_lo, 25, v4
	s_cbranch_vccz .LBB142_18
; %bb.4:
	v_cmp_lt_i16_e32 vcc_lo, 28, v4
	s_cbranch_vccz .LBB142_28
	;; [unrolled: 3-line block ×4, first 2 shown]
; %bb.7:
	v_cmp_eq_u16_e32 vcc_lo, 46, v4
	s_cbranch_vccz .LBB142_37
; %bb.8:
	global_load_b32 v3, v[0:1], off
	s_mov_b32 s0, -1
	s_branch .LBB142_39
.LBB142_9:
	s_mov_b32 s0, 0
                                        ; implicit-def: $vgpr3
	s_cbranch_execnz .LBB142_105
.LBB142_10:
	s_and_not1_b32 vcc_lo, exec_lo, s0
	s_cbranch_vccnz .LBB142_152
.LBB142_11:
	v_mul_lo_u32 v0, v2, s10
	v_and_b32_e64 v4, 0xff, s1
	s_delay_alu instid0(VALU_DEP_1) | instskip(NEXT) | instid1(VALU_DEP_3)
	v_cmp_gt_i16_e32 vcc_lo, 11, v4
	v_ashrrev_i32_e32 v1, 31, v0
	v_add_co_u32 v0, s0, s2, v0
	s_delay_alu instid0(VALU_DEP_1)
	v_add_co_ci_u32_e64 v1, s0, s3, v1, s0
	s_cbranch_vccnz .LBB142_19
; %bb.12:
	v_cmp_lt_i16_e32 vcc_lo, 25, v4
	s_cbranch_vccz .LBB142_29
; %bb.13:
	v_cmp_lt_i16_e32 vcc_lo, 28, v4
	s_cbranch_vccz .LBB142_32
	;; [unrolled: 3-line block ×4, first 2 shown]
; %bb.16:
	v_cmp_eq_u16_e32 vcc_lo, 46, v4
	s_mov_b32 s22, 0
	s_cbranch_vccz .LBB142_153
; %bb.17:
	global_load_b32 v5, v[0:1], off
	s_mov_b32 s18, 0
	s_mov_b32 s0, -1
	s_waitcnt vmcnt(0)
	v_and_b32_e32 v5, 0x7fff7fff, v5
	s_delay_alu instid0(VALU_DEP_1)
	v_cmp_ne_u32_e32 vcc_lo, 0, v5
	s_and_b32 s16, vcc_lo, exec_lo
	s_branch .LBB142_155
.LBB142_18:
	s_mov_b32 s0, 0
                                        ; implicit-def: $vgpr3
	s_cbranch_execnz .LBB142_70
	s_branch .LBB142_104
.LBB142_19:
	s_mov_b32 s18, 0
	s_mov_b32 s0, 0
                                        ; implicit-def: $sgpr16
	s_cbranch_execnz .LBB142_218
.LBB142_20:
	s_and_not1_b32 vcc_lo, exec_lo, s0
	s_cbranch_vccnz .LBB142_266
.LBB142_21:
	v_cndmask_b32_e64 v0, 0, 1.0, s16
	s_waitcnt vmcnt(0)
	v_lshlrev_b32_e32 v1, 16, v3
	v_and_b32_e64 v4, 0xff, s12
	s_delay_alu instid0(VALU_DEP_2) | instskip(SKIP_1) | instid1(VALU_DEP_3)
	v_mul_f32_e32 v0, v1, v0
	v_mul_lo_u32 v1, v2, s8
	v_cmp_gt_i16_e32 vcc_lo, 11, v4
	s_delay_alu instid0(VALU_DEP_3) | instskip(SKIP_1) | instid1(VALU_DEP_3)
	v_mul_f32_e32 v3, s11, v0
	s_and_b32 vcc_lo, exec_lo, vcc_lo
	v_ashrrev_i32_e32 v5, 31, v1
	s_delay_alu instid0(VALU_DEP_2) | instskip(NEXT) | instid1(VALU_DEP_1)
	v_bfe_u32 v0, v3, 16, 1
	v_add3_u32 v0, v3, v0, 0x7fff
	s_delay_alu instid0(VALU_DEP_1) | instskip(SKIP_1) | instid1(VALU_DEP_1)
	v_lshrrev_b32_e32 v6, 16, v0
	v_add_co_u32 v0, s0, s4, v1
	v_add_co_ci_u32_e64 v1, s0, s5, v5, s0
	v_cmp_o_f32_e64 s0, v3, v3
	s_delay_alu instid0(VALU_DEP_1)
	v_cndmask_b32_e64 v3, 0x7fc0, v6, s0
	s_cbranch_vccnz .LBB142_30
; %bb.22:
	v_cmp_lt_i16_e32 vcc_lo, 25, v4
	s_cbranch_vccz .LBB142_33
; %bb.23:
	v_cmp_lt_i16_e32 vcc_lo, 28, v4
	s_cbranch_vccz .LBB142_36
	;; [unrolled: 3-line block ×4, first 2 shown]
; %bb.26:
	v_cmp_eq_u16_e32 vcc_lo, 46, v4
	s_mov_b32 s18, 0
	s_mov_b32 s0, -1
	s_mov_b32 s16, 0
	s_cbranch_vccz .LBB142_268
; %bb.27:
	v_and_b32_e32 v5, 0xffff, v3
	s_mov_b32 s16, -1
	s_mov_b32 s0, 0
	global_store_b32 v[0:1], v5, off
	s_branch .LBB142_268
.LBB142_28:
	s_mov_b32 s16, -1
	s_mov_b32 s0, 0
                                        ; implicit-def: $vgpr3
	s_branch .LBB142_51
.LBB142_29:
	s_mov_b32 s22, -1
	s_mov_b32 s18, 0
	s_mov_b32 s0, 0
                                        ; implicit-def: $sgpr16
	s_branch .LBB142_182
.LBB142_30:
	s_mov_b32 s18, -1
	s_mov_b32 s0, 0
	s_mov_b32 s16, 0
	s_branch .LBB142_337
.LBB142_31:
	s_mov_b32 s16, -1
	s_mov_b32 s0, 0
                                        ; implicit-def: $vgpr3
	s_branch .LBB142_46
.LBB142_32:
	s_mov_b32 s22, -1
	s_mov_b32 s18, 0
	s_mov_b32 s0, 0
                                        ; implicit-def: $sgpr16
	s_branch .LBB142_163
.LBB142_33:
	s_mov_b32 s18, -1
	s_mov_b32 s0, 0
	s_mov_b32 s16, 0
	s_branch .LBB142_295
.LBB142_34:
	s_mov_b32 s16, -1
	s_branch .LBB142_38
.LBB142_35:
	s_mov_b32 s22, -1
	s_mov_b32 s18, 0
	s_mov_b32 s0, 0
                                        ; implicit-def: $sgpr16
	s_branch .LBB142_158
.LBB142_36:
	s_mov_b32 s18, -1
	s_mov_b32 s0, 0
	s_mov_b32 s16, 0
	s_branch .LBB142_278
.LBB142_37:
	s_mov_b32 s19, -1
.LBB142_38:
	s_mov_b32 s0, 0
                                        ; implicit-def: $vgpr3
.LBB142_39:
	s_and_b32 vcc_lo, exec_lo, s16
	s_cbranch_vccz .LBB142_45
; %bb.40:
	v_cmp_eq_u16_e32 vcc_lo, 44, v4
	s_cbranch_vccz .LBB142_44
; %bb.41:
	global_load_u8 v3, v[0:1], off
	s_mov_b32 s19, 0
	s_mov_b32 s0, -1
	s_waitcnt vmcnt(0)
	v_lshlrev_b32_e32 v5, 23, v3
	v_cmp_ne_u32_e32 vcc_lo, 0xff, v3
	s_delay_alu instid0(VALU_DEP_2) | instskip(SKIP_1) | instid1(VALU_DEP_2)
	v_cndmask_b32_e32 v5, 0x7f800001, v5, vcc_lo
	v_cmp_ne_u32_e32 vcc_lo, 0, v3
	v_cndmask_b32_e32 v3, 0x400000, v5, vcc_lo
	s_delay_alu instid0(VALU_DEP_1) | instskip(SKIP_1) | instid1(VALU_DEP_2)
	v_add_nc_u32_e32 v5, 0x7fff, v3
	v_cmp_o_f32_e32 vcc_lo, v3, v3
	v_lshrrev_b32_e32 v5, 16, v5
	s_delay_alu instid0(VALU_DEP_1)
	v_cndmask_b32_e32 v3, 0x7fc0, v5, vcc_lo
	s_branch .LBB142_45
.LBB142_42:
	s_mov_b32 s22, -1
	s_mov_b32 s18, 0
	s_branch .LBB142_154
.LBB142_43:
	s_mov_b32 s18, -1
	s_mov_b32 s0, 0
	s_mov_b32 s16, 0
	s_branch .LBB142_274
.LBB142_44:
	s_mov_b32 s19, -1
                                        ; implicit-def: $vgpr3
.LBB142_45:
	s_mov_b32 s16, 0
.LBB142_46:
	s_delay_alu instid0(SALU_CYCLE_1)
	s_and_b32 vcc_lo, exec_lo, s16
	s_cbranch_vccz .LBB142_50
; %bb.47:
	v_cmp_eq_u16_e32 vcc_lo, 29, v4
	s_cbranch_vccz .LBB142_49
; %bb.48:
	global_load_b64 v[5:6], v[0:1], off
	s_mov_b32 s0, -1
	s_mov_b32 s19, 0
	s_mov_b32 s16, 0
	s_waitcnt vmcnt(0)
	v_clz_i32_u32_e32 v3, v6
	s_delay_alu instid0(VALU_DEP_1) | instskip(NEXT) | instid1(VALU_DEP_1)
	v_min_u32_e32 v3, 32, v3
	v_lshlrev_b64 v[5:6], v3, v[5:6]
	v_sub_nc_u32_e32 v3, 32, v3
	s_delay_alu instid0(VALU_DEP_2) | instskip(NEXT) | instid1(VALU_DEP_1)
	v_min_u32_e32 v5, 1, v5
	v_or_b32_e32 v5, v6, v5
	s_delay_alu instid0(VALU_DEP_1) | instskip(NEXT) | instid1(VALU_DEP_1)
	v_cvt_f32_u32_e32 v5, v5
	v_ldexp_f32 v3, v5, v3
	s_delay_alu instid0(VALU_DEP_1) | instskip(NEXT) | instid1(VALU_DEP_1)
	v_bfe_u32 v5, v3, 16, 1
	v_add3_u32 v3, v3, v5, 0x7fff
	s_delay_alu instid0(VALU_DEP_1)
	v_lshrrev_b32_e32 v3, 16, v3
	s_branch .LBB142_51
.LBB142_49:
	s_mov_b32 s19, -1
                                        ; implicit-def: $vgpr3
.LBB142_50:
	s_mov_b32 s16, 0
.LBB142_51:
	s_delay_alu instid0(SALU_CYCLE_1)
	s_and_b32 vcc_lo, exec_lo, s16
	s_cbranch_vccz .LBB142_69
; %bb.52:
	v_cmp_gt_i16_e32 vcc_lo, 27, v4
	s_cbranch_vccnz .LBB142_55
; %bb.53:
	v_cmp_lt_i16_e32 vcc_lo, 27, v4
	s_cbranch_vccz .LBB142_56
; %bb.54:
	global_load_b32 v3, v[0:1], off
	s_mov_b32 s0, 0
	s_waitcnt vmcnt(0)
	v_cvt_f32_u32_e32 v3, v3
	s_delay_alu instid0(VALU_DEP_1) | instskip(NEXT) | instid1(VALU_DEP_1)
	v_bfe_u32 v5, v3, 16, 1
	v_add3_u32 v3, v3, v5, 0x7fff
	s_delay_alu instid0(VALU_DEP_1)
	v_lshrrev_b32_e32 v3, 16, v3
	s_branch .LBB142_57
.LBB142_55:
	s_mov_b32 s0, -1
                                        ; implicit-def: $vgpr3
	s_branch .LBB142_60
.LBB142_56:
	s_mov_b32 s0, -1
                                        ; implicit-def: $vgpr3
.LBB142_57:
	s_delay_alu instid0(SALU_CYCLE_1)
	s_and_not1_b32 vcc_lo, exec_lo, s0
	s_cbranch_vccnz .LBB142_59
; %bb.58:
	global_load_u16 v3, v[0:1], off
	s_waitcnt vmcnt(0)
	v_cvt_f32_u32_e32 v3, v3
	s_delay_alu instid0(VALU_DEP_1) | instskip(NEXT) | instid1(VALU_DEP_1)
	v_bfe_u32 v5, v3, 16, 1
	v_add3_u32 v3, v3, v5, 0x7fff
	s_delay_alu instid0(VALU_DEP_1)
	v_lshrrev_b32_e32 v3, 16, v3
.LBB142_59:
	s_mov_b32 s0, 0
.LBB142_60:
	s_delay_alu instid0(SALU_CYCLE_1)
	s_and_not1_b32 vcc_lo, exec_lo, s0
	s_cbranch_vccnz .LBB142_68
; %bb.61:
	global_load_u8 v3, v[0:1], off
	s_mov_b32 s0, 0
	s_mov_b32 s18, exec_lo
                                        ; implicit-def: $sgpr16
	s_waitcnt vmcnt(0)
	v_cmpx_lt_i16_e32 0x7f, v3
	s_xor_b32 s18, exec_lo, s18
	s_cbranch_execz .LBB142_81
; %bb.62:
	s_mov_b32 s0, -1
	s_mov_b32 s22, exec_lo
                                        ; implicit-def: $sgpr16
	v_cmpx_eq_u16_e32 0x80, v3
; %bb.63:
	s_mov_b32 s16, 0x7f800001
	s_xor_b32 s0, exec_lo, -1
; %bb.64:
	s_or_b32 exec_lo, exec_lo, s22
	s_delay_alu instid0(SALU_CYCLE_1)
	s_and_b32 s0, s0, exec_lo
	s_or_saveexec_b32 s18, s18
	v_mov_b32_e32 v5, s16
	s_xor_b32 exec_lo, exec_lo, s18
	s_cbranch_execnz .LBB142_82
.LBB142_65:
	s_or_b32 exec_lo, exec_lo, s18
	s_and_saveexec_b32 s16, s0
	s_cbranch_execz .LBB142_67
.LBB142_66:
	v_and_b32_e32 v5, 0xffff, v3
	v_lshlrev_b32_e32 v3, 24, v3
	s_delay_alu instid0(VALU_DEP_2) | instskip(NEXT) | instid1(VALU_DEP_2)
	v_and_b32_e32 v6, 7, v5
	v_and_b32_e32 v3, 0x80000000, v3
	s_delay_alu instid0(VALU_DEP_2) | instskip(NEXT) | instid1(VALU_DEP_1)
	v_clz_i32_u32_e32 v7, v6
	v_min_u32_e32 v7, 32, v7
	s_delay_alu instid0(VALU_DEP_1) | instskip(SKIP_1) | instid1(VALU_DEP_2)
	v_subrev_nc_u32_e32 v8, 28, v7
	v_sub_nc_u32_e32 v7, 29, v7
	v_lshlrev_b32_e32 v8, v8, v5
	v_bfe_u32 v5, v5, 3, 4
	s_delay_alu instid0(VALU_DEP_2) | instskip(NEXT) | instid1(VALU_DEP_2)
	v_and_b32_e32 v8, 7, v8
	v_cmp_eq_u32_e32 vcc_lo, 0, v5
	s_delay_alu instid0(VALU_DEP_2) | instskip(NEXT) | instid1(VALU_DEP_1)
	v_dual_cndmask_b32 v5, v5, v7 :: v_dual_cndmask_b32 v6, v6, v8
	v_lshl_add_u32 v5, v5, 23, 0x3b800000
	s_delay_alu instid0(VALU_DEP_2) | instskip(NEXT) | instid1(VALU_DEP_1)
	v_lshlrev_b32_e32 v6, 20, v6
	v_or3_b32 v5, v3, v5, v6
.LBB142_67:
	s_or_b32 exec_lo, exec_lo, s16
	s_delay_alu instid0(VALU_DEP_1) | instskip(SKIP_1) | instid1(VALU_DEP_2)
	v_bfe_u32 v3, v5, 16, 1
	v_cmp_o_f32_e32 vcc_lo, v5, v5
	v_add3_u32 v3, v5, v3, 0x7fff
	s_delay_alu instid0(VALU_DEP_1) | instskip(NEXT) | instid1(VALU_DEP_1)
	v_lshrrev_b32_e32 v3, 16, v3
	v_cndmask_b32_e32 v3, 0x7fc0, v3, vcc_lo
.LBB142_68:
	s_mov_b32 s0, -1
.LBB142_69:
	s_branch .LBB142_104
.LBB142_70:
	v_cmp_lt_i16_e32 vcc_lo, 22, v4
	s_cbranch_vccz .LBB142_80
; %bb.71:
	v_cmp_gt_i16_e32 vcc_lo, 24, v4
	s_cbranch_vccnz .LBB142_83
; %bb.72:
	v_cmp_lt_i16_e32 vcc_lo, 24, v4
	s_cbranch_vccz .LBB142_84
; %bb.73:
	global_load_u8 v3, v[0:1], off
	s_mov_b32 s0, 0
	s_mov_b32 s18, exec_lo
                                        ; implicit-def: $sgpr16
	s_waitcnt vmcnt(0)
	v_cmpx_lt_i16_e32 0x7f, v3
	s_xor_b32 s18, exec_lo, s18
	s_cbranch_execz .LBB142_96
; %bb.74:
	s_mov_b32 s0, -1
	s_mov_b32 s22, exec_lo
                                        ; implicit-def: $sgpr16
	v_cmpx_eq_u16_e32 0x80, v3
; %bb.75:
	s_mov_b32 s16, 0x7f800001
	s_xor_b32 s0, exec_lo, -1
; %bb.76:
	s_or_b32 exec_lo, exec_lo, s22
	s_delay_alu instid0(SALU_CYCLE_1)
	s_and_b32 s0, s0, exec_lo
	s_or_saveexec_b32 s18, s18
	v_mov_b32_e32 v5, s16
	s_xor_b32 exec_lo, exec_lo, s18
	s_cbranch_execnz .LBB142_97
.LBB142_77:
	s_or_b32 exec_lo, exec_lo, s18
	s_and_saveexec_b32 s16, s0
	s_cbranch_execz .LBB142_79
.LBB142_78:
	v_and_b32_e32 v5, 0xffff, v3
	v_lshlrev_b32_e32 v3, 24, v3
	s_delay_alu instid0(VALU_DEP_2) | instskip(NEXT) | instid1(VALU_DEP_2)
	v_and_b32_e32 v6, 3, v5
	v_and_b32_e32 v3, 0x80000000, v3
	s_delay_alu instid0(VALU_DEP_2) | instskip(NEXT) | instid1(VALU_DEP_1)
	v_clz_i32_u32_e32 v7, v6
	v_min_u32_e32 v7, 32, v7
	s_delay_alu instid0(VALU_DEP_1) | instskip(SKIP_1) | instid1(VALU_DEP_2)
	v_subrev_nc_u32_e32 v8, 29, v7
	v_sub_nc_u32_e32 v7, 30, v7
	v_lshlrev_b32_e32 v8, v8, v5
	v_bfe_u32 v5, v5, 2, 5
	s_delay_alu instid0(VALU_DEP_2) | instskip(NEXT) | instid1(VALU_DEP_2)
	v_and_b32_e32 v8, 3, v8
	v_cmp_eq_u32_e32 vcc_lo, 0, v5
	s_delay_alu instid0(VALU_DEP_2) | instskip(NEXT) | instid1(VALU_DEP_1)
	v_dual_cndmask_b32 v5, v5, v7 :: v_dual_cndmask_b32 v6, v6, v8
	v_lshl_add_u32 v5, v5, 23, 0x37800000
	s_delay_alu instid0(VALU_DEP_2) | instskip(NEXT) | instid1(VALU_DEP_1)
	v_lshlrev_b32_e32 v6, 21, v6
	v_or3_b32 v5, v3, v5, v6
.LBB142_79:
	s_or_b32 exec_lo, exec_lo, s16
	s_delay_alu instid0(VALU_DEP_1) | instskip(SKIP_2) | instid1(VALU_DEP_2)
	v_bfe_u32 v3, v5, 16, 1
	v_cmp_o_f32_e32 vcc_lo, v5, v5
	s_mov_b32 s0, 0
	v_add3_u32 v3, v5, v3, 0x7fff
	s_delay_alu instid0(VALU_DEP_1) | instskip(NEXT) | instid1(VALU_DEP_1)
	v_lshrrev_b32_e32 v3, 16, v3
	v_cndmask_b32_e32 v3, 0x7fc0, v3, vcc_lo
	s_branch .LBB142_85
.LBB142_80:
	s_mov_b32 s16, -1
                                        ; implicit-def: $vgpr3
	s_branch .LBB142_91
.LBB142_81:
	s_or_saveexec_b32 s18, s18
	v_mov_b32_e32 v5, s16
	s_xor_b32 exec_lo, exec_lo, s18
	s_cbranch_execz .LBB142_65
.LBB142_82:
	v_cmp_ne_u16_e32 vcc_lo, 0, v3
	v_mov_b32_e32 v5, 0
	s_and_not1_b32 s0, s0, exec_lo
	s_and_b32 s16, vcc_lo, exec_lo
	s_delay_alu instid0(SALU_CYCLE_1)
	s_or_b32 s0, s0, s16
	s_or_b32 exec_lo, exec_lo, s18
	s_and_saveexec_b32 s16, s0
	s_cbranch_execnz .LBB142_66
	s_branch .LBB142_67
.LBB142_83:
	s_mov_b32 s0, -1
                                        ; implicit-def: $vgpr3
	s_branch .LBB142_88
.LBB142_84:
	s_mov_b32 s0, -1
                                        ; implicit-def: $vgpr3
.LBB142_85:
	s_delay_alu instid0(SALU_CYCLE_1)
	s_and_b32 vcc_lo, exec_lo, s0
	s_cbranch_vccz .LBB142_87
; %bb.86:
	global_load_u8 v3, v[0:1], off
	s_waitcnt vmcnt(0)
	v_lshlrev_b32_e32 v3, 24, v3
	s_delay_alu instid0(VALU_DEP_1) | instskip(NEXT) | instid1(VALU_DEP_1)
	v_and_b32_e32 v5, 0x7f000000, v3
	v_clz_i32_u32_e32 v6, v5
	v_cmp_ne_u32_e32 vcc_lo, 0, v5
	v_add_nc_u32_e32 v8, 0x1000000, v5
	s_delay_alu instid0(VALU_DEP_3) | instskip(NEXT) | instid1(VALU_DEP_1)
	v_min_u32_e32 v6, 32, v6
	v_sub_nc_u32_e64 v6, v6, 4 clamp
	s_delay_alu instid0(VALU_DEP_1) | instskip(SKIP_1) | instid1(VALU_DEP_2)
	v_lshlrev_b32_e32 v7, v6, v5
	v_lshlrev_b32_e32 v6, 23, v6
	v_lshrrev_b32_e32 v7, 4, v7
	s_delay_alu instid0(VALU_DEP_1) | instskip(SKIP_1) | instid1(VALU_DEP_2)
	v_sub_nc_u32_e32 v6, v7, v6
	v_ashrrev_i32_e32 v7, 8, v8
	v_add_nc_u32_e32 v6, 0x3c000000, v6
	s_delay_alu instid0(VALU_DEP_1) | instskip(NEXT) | instid1(VALU_DEP_1)
	v_and_or_b32 v6, 0x7f800000, v7, v6
	v_cndmask_b32_e32 v5, 0, v6, vcc_lo
	s_delay_alu instid0(VALU_DEP_1) | instskip(SKIP_1) | instid1(VALU_DEP_2)
	v_and_or_b32 v3, 0x80000000, v3, v5
	v_bfe_u32 v5, v5, 16, 1
	v_cmp_o_f32_e32 vcc_lo, v3, v3
	s_delay_alu instid0(VALU_DEP_2) | instskip(NEXT) | instid1(VALU_DEP_1)
	v_add3_u32 v5, v3, v5, 0x7fff
	v_lshrrev_b32_e32 v5, 16, v5
	s_delay_alu instid0(VALU_DEP_1)
	v_cndmask_b32_e32 v3, 0x7fc0, v5, vcc_lo
.LBB142_87:
	s_mov_b32 s0, 0
.LBB142_88:
	s_delay_alu instid0(SALU_CYCLE_1)
	s_and_not1_b32 vcc_lo, exec_lo, s0
	s_cbranch_vccnz .LBB142_90
; %bb.89:
	global_load_u8 v3, v[0:1], off
	s_waitcnt vmcnt(0)
	v_lshlrev_b32_e32 v5, 25, v3
	v_lshlrev_b16 v3, 8, v3
	s_delay_alu instid0(VALU_DEP_2) | instskip(NEXT) | instid1(VALU_DEP_2)
	v_lshrrev_b32_e32 v6, 4, v5
	v_and_or_b32 v7, 0x7f00, v3, 0.5
	v_bfe_i32 v3, v3, 0, 16
	s_delay_alu instid0(VALU_DEP_3) | instskip(NEXT) | instid1(VALU_DEP_1)
	v_or_b32_e32 v6, 0x70000000, v6
	v_dual_add_f32 v7, -0.5, v7 :: v_dual_mul_f32 v6, 0x7800000, v6
	v_cmp_gt_u32_e32 vcc_lo, 0x8000000, v5
	s_delay_alu instid0(VALU_DEP_2) | instskip(NEXT) | instid1(VALU_DEP_1)
	v_cndmask_b32_e32 v5, v6, v7, vcc_lo
	v_and_or_b32 v3, 0x80000000, v3, v5
	v_bfe_u32 v5, v5, 16, 1
	s_delay_alu instid0(VALU_DEP_2) | instskip(NEXT) | instid1(VALU_DEP_2)
	v_cmp_o_f32_e32 vcc_lo, v3, v3
	v_add3_u32 v5, v3, v5, 0x7fff
	s_delay_alu instid0(VALU_DEP_1) | instskip(NEXT) | instid1(VALU_DEP_1)
	v_lshrrev_b32_e32 v5, 16, v5
	v_cndmask_b32_e32 v3, 0x7fc0, v5, vcc_lo
.LBB142_90:
	s_mov_b32 s16, 0
	s_mov_b32 s0, -1
.LBB142_91:
	s_and_not1_b32 vcc_lo, exec_lo, s16
	s_cbranch_vccnz .LBB142_104
; %bb.92:
	v_cmp_lt_i16_e32 vcc_lo, 14, v4
	s_cbranch_vccz .LBB142_95
; %bb.93:
	v_cmp_eq_u16_e32 vcc_lo, 15, v4
	s_cbranch_vccz .LBB142_98
; %bb.94:
	global_load_u16 v3, v[0:1], off
	s_mov_b32 s0, -1
	s_mov_b32 s19, 0
	s_branch .LBB142_99
.LBB142_95:
	s_mov_b32 s16, -1
                                        ; implicit-def: $vgpr3
	s_branch .LBB142_100
.LBB142_96:
	s_or_saveexec_b32 s18, s18
	v_mov_b32_e32 v5, s16
	s_xor_b32 exec_lo, exec_lo, s18
	s_cbranch_execz .LBB142_77
.LBB142_97:
	v_cmp_ne_u16_e32 vcc_lo, 0, v3
	v_mov_b32_e32 v5, 0
	s_and_not1_b32 s0, s0, exec_lo
	s_and_b32 s16, vcc_lo, exec_lo
	s_delay_alu instid0(SALU_CYCLE_1)
	s_or_b32 s0, s0, s16
	s_or_b32 exec_lo, exec_lo, s18
	s_and_saveexec_b32 s16, s0
	s_cbranch_execnz .LBB142_78
	s_branch .LBB142_79
.LBB142_98:
	s_mov_b32 s19, -1
                                        ; implicit-def: $vgpr3
.LBB142_99:
	s_mov_b32 s16, 0
.LBB142_100:
	s_delay_alu instid0(SALU_CYCLE_1)
	s_and_b32 vcc_lo, exec_lo, s16
	s_cbranch_vccz .LBB142_104
; %bb.101:
	v_cmp_eq_u16_e32 vcc_lo, 11, v4
	s_cbranch_vccz .LBB142_103
; %bb.102:
	global_load_u8 v3, v[0:1], off
	s_mov_b32 s19, 0
	s_mov_b32 s0, -1
	s_waitcnt vmcnt(0)
	v_cmp_ne_u16_e32 vcc_lo, 0, v3
	v_cndmask_b32_e64 v3, 0, 1.0, vcc_lo
	s_delay_alu instid0(VALU_DEP_1)
	v_lshrrev_b32_e32 v3, 16, v3
	s_branch .LBB142_104
.LBB142_103:
	s_mov_b32 s19, -1
                                        ; implicit-def: $vgpr3
.LBB142_104:
	s_branch .LBB142_10
.LBB142_105:
	v_cmp_gt_i16_e32 vcc_lo, 5, v4
	s_cbranch_vccnz .LBB142_110
; %bb.106:
	v_cmp_gt_i16_e32 vcc_lo, 8, v4
	s_cbranch_vccnz .LBB142_111
; %bb.107:
	;; [unrolled: 3-line block ×3, first 2 shown]
	v_cmp_lt_i16_e32 vcc_lo, 9, v4
	s_cbranch_vccz .LBB142_113
; %bb.109:
	global_load_b64 v[5:6], v[0:1], off
	s_mov_b32 s0, 0
	s_waitcnt vmcnt(0)
	v_cvt_f32_f64_e32 v3, v[5:6]
	s_delay_alu instid0(VALU_DEP_1) | instskip(SKIP_1) | instid1(VALU_DEP_2)
	v_bfe_u32 v5, v3, 16, 1
	v_cmp_o_f32_e32 vcc_lo, v3, v3
	v_add3_u32 v5, v3, v5, 0x7fff
	s_delay_alu instid0(VALU_DEP_1) | instskip(NEXT) | instid1(VALU_DEP_1)
	v_lshrrev_b32_e32 v5, 16, v5
	v_cndmask_b32_e32 v3, 0x7fc0, v5, vcc_lo
	s_branch .LBB142_114
.LBB142_110:
                                        ; implicit-def: $vgpr3
	s_branch .LBB142_132
.LBB142_111:
	s_mov_b32 s0, -1
                                        ; implicit-def: $vgpr3
	s_branch .LBB142_120
.LBB142_112:
	s_mov_b32 s0, -1
                                        ; implicit-def: $vgpr3
	s_branch .LBB142_117
.LBB142_113:
	s_mov_b32 s0, -1
                                        ; implicit-def: $vgpr3
.LBB142_114:
	s_delay_alu instid0(SALU_CYCLE_1)
	s_and_not1_b32 vcc_lo, exec_lo, s0
	s_cbranch_vccnz .LBB142_116
; %bb.115:
	global_load_b32 v3, v[0:1], off
	s_waitcnt vmcnt(0)
	v_bfe_u32 v5, v3, 16, 1
	v_cmp_o_f32_e32 vcc_lo, v3, v3
	s_delay_alu instid0(VALU_DEP_2) | instskip(NEXT) | instid1(VALU_DEP_1)
	v_add3_u32 v5, v3, v5, 0x7fff
	v_lshrrev_b32_e32 v5, 16, v5
	s_delay_alu instid0(VALU_DEP_1)
	v_cndmask_b32_e32 v3, 0x7fc0, v5, vcc_lo
.LBB142_116:
	s_mov_b32 s0, 0
.LBB142_117:
	s_delay_alu instid0(SALU_CYCLE_1)
	s_and_not1_b32 vcc_lo, exec_lo, s0
	s_cbranch_vccnz .LBB142_119
; %bb.118:
	global_load_b32 v3, v[0:1], off
	s_waitcnt vmcnt(0)
	v_cvt_f32_f16_e32 v5, v3
	v_cmp_o_f16_e32 vcc_lo, v3, v3
	s_delay_alu instid0(VALU_DEP_2) | instskip(NEXT) | instid1(VALU_DEP_1)
	v_bfe_u32 v6, v5, 16, 1
	v_add3_u32 v5, v5, v6, 0x7fff
	s_delay_alu instid0(VALU_DEP_1) | instskip(NEXT) | instid1(VALU_DEP_1)
	v_lshrrev_b32_e32 v5, 16, v5
	v_cndmask_b32_e32 v3, 0x7fc0, v5, vcc_lo
.LBB142_119:
	s_mov_b32 s0, 0
.LBB142_120:
	s_delay_alu instid0(SALU_CYCLE_1)
	s_and_not1_b32 vcc_lo, exec_lo, s0
	s_cbranch_vccnz .LBB142_131
; %bb.121:
	v_cmp_gt_i16_e32 vcc_lo, 6, v4
	s_cbranch_vccnz .LBB142_124
; %bb.122:
	v_cmp_lt_i16_e32 vcc_lo, 6, v4
	s_cbranch_vccz .LBB142_125
; %bb.123:
	global_load_b64 v[5:6], v[0:1], off
	s_mov_b32 s0, 0
	s_waitcnt vmcnt(0)
	v_cvt_f32_f64_e32 v3, v[5:6]
	s_delay_alu instid0(VALU_DEP_1) | instskip(SKIP_1) | instid1(VALU_DEP_2)
	v_bfe_u32 v5, v3, 16, 1
	v_cmp_o_f32_e32 vcc_lo, v3, v3
	v_add3_u32 v5, v3, v5, 0x7fff
	s_delay_alu instid0(VALU_DEP_1) | instskip(NEXT) | instid1(VALU_DEP_1)
	v_lshrrev_b32_e32 v5, 16, v5
	v_cndmask_b32_e32 v3, 0x7fc0, v5, vcc_lo
	s_branch .LBB142_126
.LBB142_124:
	s_mov_b32 s0, -1
                                        ; implicit-def: $vgpr3
	s_branch .LBB142_129
.LBB142_125:
	s_mov_b32 s0, -1
                                        ; implicit-def: $vgpr3
.LBB142_126:
	s_delay_alu instid0(SALU_CYCLE_1)
	s_and_not1_b32 vcc_lo, exec_lo, s0
	s_cbranch_vccnz .LBB142_128
; %bb.127:
	global_load_b32 v3, v[0:1], off
	s_waitcnt vmcnt(0)
	v_bfe_u32 v5, v3, 16, 1
	v_cmp_o_f32_e32 vcc_lo, v3, v3
	s_delay_alu instid0(VALU_DEP_2) | instskip(NEXT) | instid1(VALU_DEP_1)
	v_add3_u32 v5, v3, v5, 0x7fff
	v_lshrrev_b32_e32 v5, 16, v5
	s_delay_alu instid0(VALU_DEP_1)
	v_cndmask_b32_e32 v3, 0x7fc0, v5, vcc_lo
.LBB142_128:
	s_mov_b32 s0, 0
.LBB142_129:
	s_delay_alu instid0(SALU_CYCLE_1)
	s_and_not1_b32 vcc_lo, exec_lo, s0
	s_cbranch_vccnz .LBB142_131
; %bb.130:
	global_load_u16 v3, v[0:1], off
	s_waitcnt vmcnt(0)
	v_cvt_f32_f16_e32 v5, v3
	v_cmp_o_f16_e32 vcc_lo, v3, v3
	s_delay_alu instid0(VALU_DEP_2) | instskip(NEXT) | instid1(VALU_DEP_1)
	v_bfe_u32 v6, v5, 16, 1
	v_add3_u32 v5, v5, v6, 0x7fff
	s_delay_alu instid0(VALU_DEP_1) | instskip(NEXT) | instid1(VALU_DEP_1)
	v_lshrrev_b32_e32 v5, 16, v5
	v_cndmask_b32_e32 v3, 0x7fc0, v5, vcc_lo
.LBB142_131:
	s_cbranch_execnz .LBB142_151
.LBB142_132:
	v_cmp_gt_i16_e32 vcc_lo, 2, v4
	s_cbranch_vccnz .LBB142_136
; %bb.133:
	v_cmp_gt_i16_e32 vcc_lo, 3, v4
	s_cbranch_vccnz .LBB142_137
; %bb.134:
	v_cmp_lt_i16_e32 vcc_lo, 3, v4
	s_cbranch_vccz .LBB142_138
; %bb.135:
	global_load_b64 v[5:6], v[0:1], off
	s_mov_b32 s0, 0
	s_waitcnt vmcnt(0)
	v_xor_b32_e32 v3, v5, v6
	v_cls_i32_e32 v7, v6
	s_delay_alu instid0(VALU_DEP_2) | instskip(NEXT) | instid1(VALU_DEP_2)
	v_ashrrev_i32_e32 v3, 31, v3
	v_add_nc_u32_e32 v7, -1, v7
	s_delay_alu instid0(VALU_DEP_2) | instskip(NEXT) | instid1(VALU_DEP_1)
	v_add_nc_u32_e32 v3, 32, v3
	v_min_u32_e32 v3, v7, v3
	s_delay_alu instid0(VALU_DEP_1) | instskip(SKIP_1) | instid1(VALU_DEP_2)
	v_lshlrev_b64 v[5:6], v3, v[5:6]
	v_sub_nc_u32_e32 v3, 32, v3
	v_min_u32_e32 v5, 1, v5
	s_delay_alu instid0(VALU_DEP_1) | instskip(NEXT) | instid1(VALU_DEP_1)
	v_or_b32_e32 v5, v6, v5
	v_cvt_f32_i32_e32 v5, v5
	s_delay_alu instid0(VALU_DEP_1) | instskip(NEXT) | instid1(VALU_DEP_1)
	v_ldexp_f32 v3, v5, v3
	v_bfe_u32 v5, v3, 16, 1
	s_delay_alu instid0(VALU_DEP_1) | instskip(NEXT) | instid1(VALU_DEP_1)
	v_add3_u32 v3, v3, v5, 0x7fff
	v_lshrrev_b32_e32 v3, 16, v3
	s_branch .LBB142_139
.LBB142_136:
	s_mov_b32 s0, -1
                                        ; implicit-def: $vgpr3
	s_branch .LBB142_145
.LBB142_137:
	s_mov_b32 s0, -1
                                        ; implicit-def: $vgpr3
	s_branch .LBB142_142
.LBB142_138:
	s_mov_b32 s0, -1
                                        ; implicit-def: $vgpr3
.LBB142_139:
	s_delay_alu instid0(SALU_CYCLE_1)
	s_and_not1_b32 vcc_lo, exec_lo, s0
	s_cbranch_vccnz .LBB142_141
; %bb.140:
	global_load_b32 v3, v[0:1], off
	s_waitcnt vmcnt(0)
	v_cvt_f32_i32_e32 v3, v3
	s_delay_alu instid0(VALU_DEP_1) | instskip(NEXT) | instid1(VALU_DEP_1)
	v_bfe_u32 v5, v3, 16, 1
	v_add3_u32 v3, v3, v5, 0x7fff
	s_delay_alu instid0(VALU_DEP_1)
	v_lshrrev_b32_e32 v3, 16, v3
.LBB142_141:
	s_mov_b32 s0, 0
.LBB142_142:
	s_delay_alu instid0(SALU_CYCLE_1)
	s_and_not1_b32 vcc_lo, exec_lo, s0
	s_cbranch_vccnz .LBB142_144
; %bb.143:
	global_load_i16 v3, v[0:1], off
	s_waitcnt vmcnt(0)
	v_cvt_f32_i32_e32 v3, v3
	s_delay_alu instid0(VALU_DEP_1) | instskip(NEXT) | instid1(VALU_DEP_1)
	v_bfe_u32 v5, v3, 16, 1
	v_add3_u32 v3, v3, v5, 0x7fff
	s_delay_alu instid0(VALU_DEP_1)
	v_lshrrev_b32_e32 v3, 16, v3
.LBB142_144:
	s_mov_b32 s0, 0
.LBB142_145:
	s_delay_alu instid0(SALU_CYCLE_1)
	s_and_not1_b32 vcc_lo, exec_lo, s0
	s_cbranch_vccnz .LBB142_151
; %bb.146:
	v_cmp_lt_i16_e32 vcc_lo, 0, v4
	s_mov_b32 s0, 0
	s_cbranch_vccz .LBB142_148
; %bb.147:
	global_load_i8 v3, v[0:1], off
	s_waitcnt vmcnt(0)
	v_cvt_f32_i32_e32 v3, v3
	s_delay_alu instid0(VALU_DEP_1) | instskip(NEXT) | instid1(VALU_DEP_1)
	v_bfe_u32 v4, v3, 16, 1
	v_add3_u32 v3, v3, v4, 0x7fff
	s_delay_alu instid0(VALU_DEP_1)
	v_lshrrev_b32_e32 v3, 16, v3
	s_branch .LBB142_149
.LBB142_148:
	s_mov_b32 s0, -1
                                        ; implicit-def: $vgpr3
.LBB142_149:
	s_delay_alu instid0(SALU_CYCLE_1)
	s_and_not1_b32 vcc_lo, exec_lo, s0
	s_cbranch_vccnz .LBB142_151
; %bb.150:
	global_load_u8 v0, v[0:1], off
	s_waitcnt vmcnt(0)
	v_cvt_f32_ubyte0_e32 v0, v0
	s_delay_alu instid0(VALU_DEP_1) | instskip(NEXT) | instid1(VALU_DEP_1)
	v_bfe_u32 v1, v0, 16, 1
	v_add3_u32 v0, v0, v1, 0x7fff
	s_delay_alu instid0(VALU_DEP_1)
	v_lshrrev_b32_e32 v3, 16, v0
.LBB142_151:
	s_branch .LBB142_11
.LBB142_152:
	s_mov_b32 s0, 0
	s_mov_b32 s18, 0
	s_branch .LBB142_378
.LBB142_153:
	s_mov_b32 s18, -1
.LBB142_154:
	s_mov_b32 s0, 0
                                        ; implicit-def: $sgpr16
.LBB142_155:
	s_and_b32 vcc_lo, exec_lo, s22
	s_cbranch_vccz .LBB142_157
; %bb.156:
	v_cmp_eq_u16_e64 s0, 44, v4
	s_mov_b32 s18, -1
	s_or_b32 s16, s16, exec_lo
.LBB142_157:
	s_mov_b32 s22, 0
.LBB142_158:
	s_delay_alu instid0(SALU_CYCLE_1)
	s_and_b32 vcc_lo, exec_lo, s22
	s_cbranch_vccz .LBB142_162
; %bb.159:
	v_cmp_eq_u16_e32 vcc_lo, 29, v4
	s_cbranch_vccz .LBB142_161
; %bb.160:
	global_load_b64 v[5:6], v[0:1], off
	s_mov_b32 s0, -1
	s_mov_b32 s18, 0
	s_mov_b32 s22, 0
	s_waitcnt vmcnt(0)
	v_cmp_ne_u64_e32 vcc_lo, 0, v[5:6]
	s_and_b32 s16, vcc_lo, exec_lo
	s_branch .LBB142_163
.LBB142_161:
	s_mov_b32 s18, -1
                                        ; implicit-def: $sgpr16
.LBB142_162:
	s_mov_b32 s22, 0
.LBB142_163:
	s_delay_alu instid0(SALU_CYCLE_1)
	s_and_b32 vcc_lo, exec_lo, s22
	s_cbranch_vccz .LBB142_181
; %bb.164:
	v_cmp_gt_i16_e32 vcc_lo, 27, v4
	s_cbranch_vccnz .LBB142_167
; %bb.165:
	v_cmp_lt_i16_e32 vcc_lo, 27, v4
	s_cbranch_vccz .LBB142_168
; %bb.166:
	global_load_b32 v5, v[0:1], off
	s_mov_b32 s0, 0
	s_waitcnt vmcnt(0)
	v_cmp_ne_u32_e32 vcc_lo, 0, v5
	s_and_b32 s16, vcc_lo, exec_lo
	s_branch .LBB142_169
.LBB142_167:
	s_mov_b32 s0, -1
                                        ; implicit-def: $sgpr16
	s_branch .LBB142_172
.LBB142_168:
	s_mov_b32 s0, -1
                                        ; implicit-def: $sgpr16
.LBB142_169:
	s_delay_alu instid0(SALU_CYCLE_1)
	s_and_not1_b32 vcc_lo, exec_lo, s0
	s_cbranch_vccnz .LBB142_171
; %bb.170:
	global_load_u16 v5, v[0:1], off
	s_and_not1_b32 s0, s16, exec_lo
	s_waitcnt vmcnt(0)
	v_cmp_ne_u16_e32 vcc_lo, 0, v5
	s_and_b32 s16, vcc_lo, exec_lo
	s_delay_alu instid0(SALU_CYCLE_1)
	s_or_b32 s16, s0, s16
.LBB142_171:
	s_mov_b32 s0, 0
.LBB142_172:
	s_delay_alu instid0(SALU_CYCLE_1)
	s_and_not1_b32 vcc_lo, exec_lo, s0
	s_cbranch_vccnz .LBB142_180
; %bb.173:
	global_load_u8 v5, v[0:1], off
	s_mov_b32 s0, 0
	s_mov_b32 s22, exec_lo
                                        ; implicit-def: $sgpr16
	s_waitcnt vmcnt(0)
	v_cmpx_lt_i16_e32 0x7f, v5
	s_xor_b32 s22, exec_lo, s22
	s_cbranch_execz .LBB142_194
; %bb.174:
	s_mov_b32 s0, -1
	s_mov_b32 s23, exec_lo
                                        ; implicit-def: $sgpr16
	v_cmpx_eq_u16_e32 0x80, v5
; %bb.175:
	s_mov_b32 s16, -1
	s_xor_b32 s0, exec_lo, -1
; %bb.176:
	s_or_b32 exec_lo, exec_lo, s23
	s_delay_alu instid0(SALU_CYCLE_1)
	s_and_b32 s0, s0, exec_lo
	s_and_not1_saveexec_b32 s22, s22
	s_cbranch_execnz .LBB142_195
.LBB142_177:
	s_or_b32 exec_lo, exec_lo, s22
	s_and_saveexec_b32 s22, s0
	s_cbranch_execz .LBB142_179
.LBB142_178:
	v_and_b32_e32 v5, 0xffff, v5
	s_and_not1_b32 s0, s16, exec_lo
	s_delay_alu instid0(VALU_DEP_1) | instskip(NEXT) | instid1(VALU_DEP_1)
	v_and_b32_e32 v6, 7, v5
	v_clz_i32_u32_e32 v7, v6
	s_delay_alu instid0(VALU_DEP_1) | instskip(NEXT) | instid1(VALU_DEP_1)
	v_min_u32_e32 v7, 32, v7
	v_subrev_nc_u32_e32 v8, 28, v7
	v_sub_nc_u32_e32 v7, 29, v7
	s_delay_alu instid0(VALU_DEP_2) | instskip(SKIP_1) | instid1(VALU_DEP_2)
	v_lshlrev_b32_e32 v8, v8, v5
	v_bfe_u32 v5, v5, 3, 4
	v_and_b32_e32 v8, 7, v8
	s_delay_alu instid0(VALU_DEP_2) | instskip(NEXT) | instid1(VALU_DEP_2)
	v_cmp_eq_u32_e32 vcc_lo, 0, v5
	v_dual_cndmask_b32 v5, v5, v7 :: v_dual_cndmask_b32 v6, v6, v8
	s_delay_alu instid0(VALU_DEP_1) | instskip(NEXT) | instid1(VALU_DEP_2)
	v_lshl_add_u32 v5, v5, 23, 0x3b800000
	v_lshlrev_b32_e32 v6, 20, v6
	s_delay_alu instid0(VALU_DEP_1) | instskip(NEXT) | instid1(VALU_DEP_1)
	v_and_or_b32 v5, 0x7f800000, v5, v6
	v_cmp_ne_u32_e32 vcc_lo, 0, v5
	s_and_b32 s16, vcc_lo, exec_lo
	s_delay_alu instid0(SALU_CYCLE_1)
	s_or_b32 s16, s0, s16
.LBB142_179:
	s_or_b32 exec_lo, exec_lo, s22
.LBB142_180:
	s_mov_b32 s0, -1
.LBB142_181:
	s_mov_b32 s22, 0
.LBB142_182:
	s_delay_alu instid0(SALU_CYCLE_1)
	s_and_b32 vcc_lo, exec_lo, s22
	s_cbranch_vccz .LBB142_217
; %bb.183:
	v_cmp_lt_i16_e32 vcc_lo, 22, v4
	s_cbranch_vccz .LBB142_193
; %bb.184:
	v_cmp_gt_i16_e32 vcc_lo, 24, v4
	s_cbranch_vccnz .LBB142_196
; %bb.185:
	v_cmp_lt_i16_e32 vcc_lo, 24, v4
	s_cbranch_vccz .LBB142_197
; %bb.186:
	global_load_u8 v5, v[0:1], off
	s_mov_b32 s0, 0
	s_mov_b32 s22, exec_lo
                                        ; implicit-def: $sgpr16
	s_waitcnt vmcnt(0)
	v_cmpx_lt_i16_e32 0x7f, v5
	s_xor_b32 s22, exec_lo, s22
	s_cbranch_execz .LBB142_209
; %bb.187:
	s_mov_b32 s0, -1
	s_mov_b32 s23, exec_lo
                                        ; implicit-def: $sgpr16
	v_cmpx_eq_u16_e32 0x80, v5
; %bb.188:
	s_mov_b32 s16, -1
	s_xor_b32 s0, exec_lo, -1
; %bb.189:
	s_or_b32 exec_lo, exec_lo, s23
	s_delay_alu instid0(SALU_CYCLE_1)
	s_and_b32 s0, s0, exec_lo
	s_and_not1_saveexec_b32 s22, s22
	s_cbranch_execnz .LBB142_210
.LBB142_190:
	s_or_b32 exec_lo, exec_lo, s22
	s_and_saveexec_b32 s22, s0
	s_cbranch_execz .LBB142_192
.LBB142_191:
	v_and_b32_e32 v5, 0xffff, v5
	s_and_not1_b32 s0, s16, exec_lo
	s_delay_alu instid0(VALU_DEP_1) | instskip(NEXT) | instid1(VALU_DEP_1)
	v_and_b32_e32 v6, 3, v5
	v_clz_i32_u32_e32 v7, v6
	s_delay_alu instid0(VALU_DEP_1) | instskip(NEXT) | instid1(VALU_DEP_1)
	v_min_u32_e32 v7, 32, v7
	v_subrev_nc_u32_e32 v8, 29, v7
	v_sub_nc_u32_e32 v7, 30, v7
	s_delay_alu instid0(VALU_DEP_2) | instskip(SKIP_1) | instid1(VALU_DEP_2)
	v_lshlrev_b32_e32 v8, v8, v5
	v_bfe_u32 v5, v5, 2, 5
	v_and_b32_e32 v8, 3, v8
	s_delay_alu instid0(VALU_DEP_2) | instskip(NEXT) | instid1(VALU_DEP_2)
	v_cmp_eq_u32_e32 vcc_lo, 0, v5
	v_dual_cndmask_b32 v5, v5, v7 :: v_dual_cndmask_b32 v6, v6, v8
	s_delay_alu instid0(VALU_DEP_1) | instskip(NEXT) | instid1(VALU_DEP_2)
	v_lshl_add_u32 v5, v5, 23, 0x37800000
	v_lshlrev_b32_e32 v6, 21, v6
	s_delay_alu instid0(VALU_DEP_1) | instskip(NEXT) | instid1(VALU_DEP_1)
	v_and_or_b32 v5, 0x7f800000, v5, v6
	v_cmp_ne_u32_e32 vcc_lo, 0, v5
	s_and_b32 s16, vcc_lo, exec_lo
	s_delay_alu instid0(SALU_CYCLE_1)
	s_or_b32 s16, s0, s16
.LBB142_192:
	s_or_b32 exec_lo, exec_lo, s22
	s_mov_b32 s0, 0
	s_branch .LBB142_198
.LBB142_193:
	s_mov_b32 s22, -1
                                        ; implicit-def: $sgpr16
	s_branch .LBB142_204
.LBB142_194:
	s_and_not1_saveexec_b32 s22, s22
	s_cbranch_execz .LBB142_177
.LBB142_195:
	v_cmp_ne_u16_e32 vcc_lo, 0, v5
	s_and_not1_b32 s0, s0, exec_lo
	s_and_not1_b32 s16, s16, exec_lo
	s_and_b32 s23, vcc_lo, exec_lo
	s_delay_alu instid0(SALU_CYCLE_1)
	s_or_b32 s0, s0, s23
	s_or_b32 exec_lo, exec_lo, s22
	s_and_saveexec_b32 s22, s0
	s_cbranch_execnz .LBB142_178
	s_branch .LBB142_179
.LBB142_196:
	s_mov_b32 s0, -1
                                        ; implicit-def: $sgpr16
	s_branch .LBB142_201
.LBB142_197:
	s_mov_b32 s0, -1
                                        ; implicit-def: $sgpr16
.LBB142_198:
	s_delay_alu instid0(SALU_CYCLE_1)
	s_and_b32 vcc_lo, exec_lo, s0
	s_cbranch_vccz .LBB142_200
; %bb.199:
	global_load_u8 v5, v[0:1], off
	s_and_not1_b32 s16, s16, exec_lo
	s_waitcnt vmcnt(0)
	v_lshlrev_b32_e32 v5, 24, v5
	s_delay_alu instid0(VALU_DEP_1) | instskip(NEXT) | instid1(VALU_DEP_1)
	v_and_b32_e32 v5, 0x7f000000, v5
	v_clz_i32_u32_e32 v6, v5
	v_add_nc_u32_e32 v8, 0x1000000, v5
	v_cmp_ne_u32_e32 vcc_lo, 0, v5
	s_delay_alu instid0(VALU_DEP_3) | instskip(NEXT) | instid1(VALU_DEP_3)
	v_min_u32_e32 v6, 32, v6
	v_ashrrev_i32_e32 v8, 8, v8
	s_delay_alu instid0(VALU_DEP_2) | instskip(NEXT) | instid1(VALU_DEP_1)
	v_sub_nc_u32_e64 v6, v6, 4 clamp
	v_lshlrev_b32_e32 v7, v6, v5
	v_lshlrev_b32_e32 v6, 23, v6
	s_delay_alu instid0(VALU_DEP_2) | instskip(NEXT) | instid1(VALU_DEP_1)
	v_lshrrev_b32_e32 v7, 4, v7
	v_sub_nc_u32_e32 v6, v7, v6
	v_and_b32_e32 v7, 0x7f800000, v8
	s_delay_alu instid0(VALU_DEP_2) | instskip(NEXT) | instid1(VALU_DEP_1)
	v_add_nc_u32_e32 v6, 0x3c000000, v6
	v_and_or_b32 v6, 0x7ff00000, v6, v7
	s_delay_alu instid0(VALU_DEP_1) | instskip(NEXT) | instid1(VALU_DEP_1)
	v_cmp_ne_u32_e64 s0, 0, v6
	s_and_b32 s0, vcc_lo, s0
	s_delay_alu instid0(SALU_CYCLE_1) | instskip(NEXT) | instid1(SALU_CYCLE_1)
	s_and_b32 s0, s0, exec_lo
	s_or_b32 s16, s16, s0
.LBB142_200:
	s_mov_b32 s0, 0
.LBB142_201:
	s_delay_alu instid0(SALU_CYCLE_1)
	s_and_not1_b32 vcc_lo, exec_lo, s0
	s_cbranch_vccnz .LBB142_203
; %bb.202:
	global_load_u8 v5, v[0:1], off
	s_and_not1_b32 s0, s16, exec_lo
	s_waitcnt vmcnt(0)
	v_lshlrev_b32_e32 v6, 25, v5
	v_lshlrev_b32_e32 v5, 8, v5
	s_delay_alu instid0(VALU_DEP_2) | instskip(NEXT) | instid1(VALU_DEP_2)
	v_lshrrev_b32_e32 v7, 4, v6
	v_and_or_b32 v5, 0x7f00, v5, 0.5
	s_delay_alu instid0(VALU_DEP_2) | instskip(NEXT) | instid1(VALU_DEP_2)
	v_or_b32_e32 v7, 0x70000000, v7
	v_add_f32_e32 v5, -0.5, v5
	s_delay_alu instid0(VALU_DEP_2) | instskip(SKIP_1) | instid1(VALU_DEP_2)
	v_mul_f32_e32 v7, 0x7800000, v7
	v_cmp_gt_u32_e32 vcc_lo, 0x8000000, v6
	v_cndmask_b32_e32 v5, v7, v5, vcc_lo
	s_delay_alu instid0(VALU_DEP_1) | instskip(SKIP_1) | instid1(SALU_CYCLE_1)
	v_cmp_neq_f32_e32 vcc_lo, 0, v5
	s_and_b32 s16, vcc_lo, exec_lo
	s_or_b32 s16, s0, s16
.LBB142_203:
	s_mov_b32 s22, 0
	s_mov_b32 s0, -1
.LBB142_204:
	s_and_not1_b32 vcc_lo, exec_lo, s22
	s_cbranch_vccnz .LBB142_217
; %bb.205:
	v_cmp_lt_i16_e32 vcc_lo, 14, v4
	s_cbranch_vccz .LBB142_208
; %bb.206:
	v_cmp_eq_u16_e32 vcc_lo, 15, v4
	s_cbranch_vccz .LBB142_211
; %bb.207:
	global_load_u16 v5, v[0:1], off
	s_mov_b32 s18, 0
	s_mov_b32 s0, -1
	s_waitcnt vmcnt(0)
	v_and_b32_e32 v5, 0x7fff, v5
	s_delay_alu instid0(VALU_DEP_1)
	v_cmp_ne_u16_e32 vcc_lo, 0, v5
	s_and_b32 s16, vcc_lo, exec_lo
	s_branch .LBB142_212
.LBB142_208:
	s_mov_b32 s22, -1
                                        ; implicit-def: $sgpr16
	s_branch .LBB142_213
.LBB142_209:
	s_and_not1_saveexec_b32 s22, s22
	s_cbranch_execz .LBB142_190
.LBB142_210:
	v_cmp_ne_u16_e32 vcc_lo, 0, v5
	s_and_not1_b32 s0, s0, exec_lo
	s_and_not1_b32 s16, s16, exec_lo
	s_and_b32 s23, vcc_lo, exec_lo
	s_delay_alu instid0(SALU_CYCLE_1)
	s_or_b32 s0, s0, s23
	s_or_b32 exec_lo, exec_lo, s22
	s_and_saveexec_b32 s22, s0
	s_cbranch_execnz .LBB142_191
	s_branch .LBB142_192
.LBB142_211:
	s_mov_b32 s18, -1
                                        ; implicit-def: $sgpr16
.LBB142_212:
	s_mov_b32 s22, 0
.LBB142_213:
	s_delay_alu instid0(SALU_CYCLE_1)
	s_and_b32 vcc_lo, exec_lo, s22
	s_cbranch_vccz .LBB142_217
; %bb.214:
	v_cmp_eq_u16_e32 vcc_lo, 11, v4
	s_cbranch_vccz .LBB142_216
; %bb.215:
	global_load_u8 v5, v[0:1], off
	s_mov_b32 s18, 0
	s_mov_b32 s0, -1
	s_waitcnt vmcnt(0)
	v_cmp_ne_u16_e32 vcc_lo, 0, v5
	s_and_b32 s16, vcc_lo, exec_lo
	s_branch .LBB142_217
.LBB142_216:
	s_mov_b32 s18, -1
                                        ; implicit-def: $sgpr16
.LBB142_217:
	s_branch .LBB142_20
.LBB142_218:
	v_cmp_gt_i16_e32 vcc_lo, 5, v4
	s_cbranch_vccnz .LBB142_223
; %bb.219:
	v_cmp_gt_i16_e32 vcc_lo, 8, v4
	s_cbranch_vccnz .LBB142_224
; %bb.220:
	;; [unrolled: 3-line block ×3, first 2 shown]
	v_cmp_lt_i16_e32 vcc_lo, 9, v4
	s_cbranch_vccz .LBB142_226
; %bb.222:
	global_load_b128 v[5:8], v[0:1], off
	s_waitcnt vmcnt(0)
	v_cmp_neq_f64_e32 vcc_lo, 0, v[5:6]
	v_cmp_neq_f64_e64 s0, 0, v[7:8]
	s_delay_alu instid0(VALU_DEP_1)
	s_or_b32 s16, vcc_lo, s0
	s_mov_b32 s0, 0
	s_and_b32 s16, s16, exec_lo
	s_branch .LBB142_227
.LBB142_223:
	s_mov_b32 s0, -1
                                        ; implicit-def: $sgpr16
	s_branch .LBB142_245
.LBB142_224:
	s_mov_b32 s0, -1
                                        ; implicit-def: $sgpr16
	s_branch .LBB142_233
.LBB142_225:
	s_mov_b32 s0, -1
                                        ; implicit-def: $sgpr16
	s_branch .LBB142_230
.LBB142_226:
	s_mov_b32 s0, -1
                                        ; implicit-def: $sgpr16
.LBB142_227:
	s_delay_alu instid0(SALU_CYCLE_1)
	s_and_not1_b32 vcc_lo, exec_lo, s0
	s_cbranch_vccnz .LBB142_229
; %bb.228:
	global_load_b64 v[5:6], v[0:1], off
	s_and_not1_b32 s0, s16, exec_lo
	s_waitcnt vmcnt(0)
	v_or_b32_e32 v5, v5, v6
	s_delay_alu instid0(VALU_DEP_1) | instskip(NEXT) | instid1(VALU_DEP_1)
	v_and_b32_e32 v5, 0x7fffffff, v5
	v_cmp_ne_u32_e32 vcc_lo, 0, v5
	s_and_b32 s16, vcc_lo, exec_lo
	s_delay_alu instid0(SALU_CYCLE_1)
	s_or_b32 s16, s0, s16
.LBB142_229:
	s_mov_b32 s0, 0
.LBB142_230:
	s_delay_alu instid0(SALU_CYCLE_1)
	s_and_not1_b32 vcc_lo, exec_lo, s0
	s_cbranch_vccnz .LBB142_232
; %bb.231:
	global_load_b32 v5, v[0:1], off
	s_and_not1_b32 s0, s16, exec_lo
	s_waitcnt vmcnt(0)
	v_and_b32_e32 v5, 0x7fff7fff, v5
	s_delay_alu instid0(VALU_DEP_1) | instskip(SKIP_1) | instid1(SALU_CYCLE_1)
	v_cmp_ne_u32_e32 vcc_lo, 0, v5
	s_and_b32 s16, vcc_lo, exec_lo
	s_or_b32 s16, s0, s16
.LBB142_232:
	s_mov_b32 s0, 0
.LBB142_233:
	s_delay_alu instid0(SALU_CYCLE_1)
	s_and_not1_b32 vcc_lo, exec_lo, s0
	s_cbranch_vccnz .LBB142_244
; %bb.234:
	v_cmp_gt_i16_e32 vcc_lo, 6, v4
	s_cbranch_vccnz .LBB142_237
; %bb.235:
	v_cmp_lt_i16_e32 vcc_lo, 6, v4
	s_cbranch_vccz .LBB142_238
; %bb.236:
	global_load_b64 v[5:6], v[0:1], off
	s_mov_b32 s0, 0
	s_waitcnt vmcnt(0)
	v_cmp_neq_f64_e32 vcc_lo, 0, v[5:6]
	s_and_b32 s16, vcc_lo, exec_lo
	s_branch .LBB142_239
.LBB142_237:
	s_mov_b32 s0, -1
                                        ; implicit-def: $sgpr16
	s_branch .LBB142_242
.LBB142_238:
	s_mov_b32 s0, -1
                                        ; implicit-def: $sgpr16
.LBB142_239:
	s_delay_alu instid0(SALU_CYCLE_1)
	s_and_not1_b32 vcc_lo, exec_lo, s0
	s_cbranch_vccnz .LBB142_241
; %bb.240:
	global_load_b32 v5, v[0:1], off
	s_and_not1_b32 s0, s16, exec_lo
	s_waitcnt vmcnt(0)
	v_cmp_neq_f32_e32 vcc_lo, 0, v5
	s_and_b32 s16, vcc_lo, exec_lo
	s_delay_alu instid0(SALU_CYCLE_1)
	s_or_b32 s16, s0, s16
.LBB142_241:
	s_mov_b32 s0, 0
.LBB142_242:
	s_delay_alu instid0(SALU_CYCLE_1)
	s_and_not1_b32 vcc_lo, exec_lo, s0
	s_cbranch_vccnz .LBB142_244
; %bb.243:
	global_load_u16 v5, v[0:1], off
	s_and_not1_b32 s0, s16, exec_lo
	s_waitcnt vmcnt(0)
	v_and_b32_e32 v5, 0x7fff, v5
	s_delay_alu instid0(VALU_DEP_1) | instskip(SKIP_1) | instid1(SALU_CYCLE_1)
	v_cmp_ne_u16_e32 vcc_lo, 0, v5
	s_and_b32 s16, vcc_lo, exec_lo
	s_or_b32 s16, s0, s16
.LBB142_244:
	s_mov_b32 s0, 0
.LBB142_245:
	s_delay_alu instid0(SALU_CYCLE_1)
	s_and_not1_b32 vcc_lo, exec_lo, s0
	s_cbranch_vccnz .LBB142_265
; %bb.246:
	v_cmp_gt_i16_e32 vcc_lo, 2, v4
	s_cbranch_vccnz .LBB142_250
; %bb.247:
	v_cmp_gt_i16_e32 vcc_lo, 3, v4
	s_cbranch_vccnz .LBB142_251
; %bb.248:
	v_cmp_lt_i16_e32 vcc_lo, 3, v4
	s_cbranch_vccz .LBB142_252
; %bb.249:
	global_load_b64 v[5:6], v[0:1], off
	s_mov_b32 s0, 0
	s_waitcnt vmcnt(0)
	v_cmp_ne_u64_e32 vcc_lo, 0, v[5:6]
	s_and_b32 s16, vcc_lo, exec_lo
	s_branch .LBB142_253
.LBB142_250:
	s_mov_b32 s0, -1
                                        ; implicit-def: $sgpr16
	s_branch .LBB142_259
.LBB142_251:
	s_mov_b32 s0, -1
                                        ; implicit-def: $sgpr16
	s_branch .LBB142_256
.LBB142_252:
	s_mov_b32 s0, -1
                                        ; implicit-def: $sgpr16
.LBB142_253:
	s_delay_alu instid0(SALU_CYCLE_1)
	s_and_not1_b32 vcc_lo, exec_lo, s0
	s_cbranch_vccnz .LBB142_255
; %bb.254:
	global_load_b32 v5, v[0:1], off
	s_and_not1_b32 s0, s16, exec_lo
	s_waitcnt vmcnt(0)
	v_cmp_ne_u32_e32 vcc_lo, 0, v5
	s_and_b32 s16, vcc_lo, exec_lo
	s_delay_alu instid0(SALU_CYCLE_1)
	s_or_b32 s16, s0, s16
.LBB142_255:
	s_mov_b32 s0, 0
.LBB142_256:
	s_delay_alu instid0(SALU_CYCLE_1)
	s_and_not1_b32 vcc_lo, exec_lo, s0
	s_cbranch_vccnz .LBB142_258
; %bb.257:
	global_load_u16 v5, v[0:1], off
	s_and_not1_b32 s0, s16, exec_lo
	s_waitcnt vmcnt(0)
	v_cmp_ne_u16_e32 vcc_lo, 0, v5
	s_and_b32 s16, vcc_lo, exec_lo
	s_delay_alu instid0(SALU_CYCLE_1)
	s_or_b32 s16, s0, s16
.LBB142_258:
	s_mov_b32 s0, 0
.LBB142_259:
	s_delay_alu instid0(SALU_CYCLE_1)
	s_and_not1_b32 vcc_lo, exec_lo, s0
	s_cbranch_vccnz .LBB142_265
; %bb.260:
	v_cmp_lt_i16_e32 vcc_lo, 0, v4
	s_mov_b32 s0, 0
	s_cbranch_vccz .LBB142_262
; %bb.261:
	global_load_u8 v4, v[0:1], off
	s_waitcnt vmcnt(0)
	v_cmp_ne_u16_e32 vcc_lo, 0, v4
	s_and_b32 s16, vcc_lo, exec_lo
	s_branch .LBB142_263
.LBB142_262:
	s_mov_b32 s0, -1
                                        ; implicit-def: $sgpr16
.LBB142_263:
	s_delay_alu instid0(SALU_CYCLE_1)
	s_and_not1_b32 vcc_lo, exec_lo, s0
	s_cbranch_vccnz .LBB142_265
; %bb.264:
	global_load_u8 v0, v[0:1], off
	s_and_not1_b32 s0, s16, exec_lo
	s_waitcnt vmcnt(0)
	v_cmp_ne_u16_e32 vcc_lo, 0, v0
	s_and_b32 s16, vcc_lo, exec_lo
	s_delay_alu instid0(SALU_CYCLE_1)
	s_or_b32 s16, s0, s16
.LBB142_265:
	s_branch .LBB142_21
.LBB142_266:
	s_mov_b32 s0, 0
	s_branch .LBB142_378
.LBB142_267:
	s_mov_b32 s18, -1
	s_mov_b32 s0, 0
	s_mov_b32 s16, 0
.LBB142_268:
	s_and_b32 vcc_lo, exec_lo, s18
	s_cbranch_vccz .LBB142_273
; %bb.269:
	v_cmp_eq_u16_e32 vcc_lo, 44, v4
	s_mov_b32 s0, -1
	s_cbranch_vccz .LBB142_273
; %bb.270:
	v_and_b32_e32 v5, 0xffff, v3
	v_mov_b32_e32 v6, 0xff
	s_mov_b32 s16, exec_lo
	s_delay_alu instid0(VALU_DEP_2) | instskip(NEXT) | instid1(VALU_DEP_1)
	v_bfe_u32 v7, v5, 7, 8
	v_cmpx_ne_u32_e32 0xff, v7
; %bb.271:
	v_lshlrev_b32_e32 v6, 16, v5
	v_and_b32_e32 v8, 64, v5
	v_lshrrev_b32_e32 v5, 7, v5
	s_delay_alu instid0(VALU_DEP_3) | instskip(NEXT) | instid1(VALU_DEP_3)
	v_and_or_b32 v6, 0x3f0000, v6, v7
	v_cmp_ne_u32_e32 vcc_lo, 0, v8
	s_delay_alu instid0(VALU_DEP_2) | instskip(NEXT) | instid1(VALU_DEP_1)
	v_cmp_ne_u32_e64 s0, 0, v6
	s_and_b32 s0, vcc_lo, s0
	s_delay_alu instid0(SALU_CYCLE_1) | instskip(NEXT) | instid1(VALU_DEP_1)
	v_cndmask_b32_e64 v6, 0, 1, s0
	v_add_nc_u32_e32 v6, v5, v6
; %bb.272:
	s_or_b32 exec_lo, exec_lo, s16
	s_mov_b32 s16, -1
	s_mov_b32 s0, 0
	global_store_b8 v[0:1], v6, off
.LBB142_273:
	s_mov_b32 s18, 0
.LBB142_274:
	s_delay_alu instid0(SALU_CYCLE_1)
	s_and_b32 vcc_lo, exec_lo, s18
	s_cbranch_vccz .LBB142_277
; %bb.275:
	v_cmp_eq_u16_e32 vcc_lo, 29, v4
	s_mov_b32 s0, -1
	s_cbranch_vccz .LBB142_277
; %bb.276:
	v_lshlrev_b32_e32 v5, 16, v3
	s_mov_b32 s16, -1
	s_mov_b32 s0, 0
	s_mov_b32 s18, 0
	s_delay_alu instid0(VALU_DEP_1) | instskip(NEXT) | instid1(VALU_DEP_1)
	v_trunc_f32_e32 v5, v5
	v_mul_f32_e32 v6, 0x2f800000, v5
	s_delay_alu instid0(VALU_DEP_1) | instskip(NEXT) | instid1(VALU_DEP_1)
	v_floor_f32_e32 v6, v6
	v_fmamk_f32 v5, v6, 0xcf800000, v5
	v_cvt_u32_f32_e32 v6, v6
	s_delay_alu instid0(VALU_DEP_2)
	v_cvt_u32_f32_e32 v5, v5
	global_store_b64 v[0:1], v[5:6], off
	s_branch .LBB142_278
.LBB142_277:
	s_mov_b32 s18, 0
.LBB142_278:
	s_delay_alu instid0(SALU_CYCLE_1)
	s_and_b32 vcc_lo, exec_lo, s18
	s_cbranch_vccz .LBB142_294
; %bb.279:
	v_cmp_gt_i16_e32 vcc_lo, 27, v4
	s_mov_b32 s16, -1
	s_cbranch_vccnz .LBB142_285
; %bb.280:
	v_cmp_lt_i16_e32 vcc_lo, 27, v4
	s_cbranch_vccz .LBB142_282
; %bb.281:
	v_lshlrev_b32_e32 v5, 16, v3
	s_mov_b32 s16, 0
	s_delay_alu instid0(VALU_DEP_1)
	v_cvt_u32_f32_e32 v5, v5
	global_store_b32 v[0:1], v5, off
.LBB142_282:
	s_and_not1_b32 vcc_lo, exec_lo, s16
	s_cbranch_vccnz .LBB142_284
; %bb.283:
	v_lshlrev_b32_e32 v5, 16, v3
	s_delay_alu instid0(VALU_DEP_1)
	v_cvt_u32_f32_e32 v5, v5
	global_store_b16 v[0:1], v5, off
.LBB142_284:
	s_mov_b32 s16, 0
.LBB142_285:
	s_delay_alu instid0(SALU_CYCLE_1)
	s_and_not1_b32 vcc_lo, exec_lo, s16
	s_cbranch_vccnz .LBB142_293
; %bb.286:
	v_dual_mov_b32 v8, 0x80 :: v_dual_lshlrev_b32 v7, 16, v3
	s_mov_b32 s16, exec_lo
	s_delay_alu instid0(VALU_DEP_1) | instskip(NEXT) | instid1(VALU_DEP_1)
	v_and_b32_e32 v6, 0x7fffffff, v7
	v_cmpx_gt_u32_e32 0x43800000, v6
	s_cbranch_execz .LBB142_292
; %bb.287:
	v_and_b32_e32 v5, 0xffff, v3
	v_cmp_lt_u32_e32 vcc_lo, 0x3bffffff, v6
	s_mov_b32 s18, 0
                                        ; implicit-def: $vgpr6
	s_and_saveexec_b32 s22, vcc_lo
	s_delay_alu instid0(SALU_CYCLE_1)
	s_xor_b32 s22, exec_lo, s22
	s_cbranch_execz .LBB142_406
; %bb.288:
	v_bfe_u32 v6, v5, 4, 1
	s_mov_b32 s18, exec_lo
	s_delay_alu instid0(VALU_DEP_1) | instskip(NEXT) | instid1(VALU_DEP_1)
	v_add3_u32 v6, v7, v6, 0x487ffff
                                        ; implicit-def: $vgpr7
	v_lshrrev_b32_e32 v6, 20, v6
	s_or_saveexec_b32 s22, s22
                                        ; implicit-def: $sgpr23
	s_delay_alu instid0(SALU_CYCLE_1)
	s_xor_b32 exec_lo, exec_lo, s22
	s_cbranch_execnz .LBB142_407
.LBB142_289:
	s_or_b32 exec_lo, exec_lo, s22
	v_mov_b32_e32 v8, s23
	s_and_saveexec_b32 s22, s18
.LBB142_290:
	v_lshrrev_b32_e32 v5, 8, v5
	s_delay_alu instid0(VALU_DEP_1)
	v_and_or_b32 v8, 0x80, v5, v6
.LBB142_291:
	s_or_b32 exec_lo, exec_lo, s22
.LBB142_292:
	s_delay_alu instid0(SALU_CYCLE_1)
	s_or_b32 exec_lo, exec_lo, s16
	global_store_b8 v[0:1], v8, off
.LBB142_293:
	s_mov_b32 s16, -1
.LBB142_294:
	s_mov_b32 s18, 0
.LBB142_295:
	s_delay_alu instid0(SALU_CYCLE_1)
	s_and_b32 vcc_lo, exec_lo, s18
	s_cbranch_vccz .LBB142_336
; %bb.296:
	v_cmp_lt_i16_e32 vcc_lo, 22, v4
	s_mov_b32 s18, -1
	s_cbranch_vccz .LBB142_328
; %bb.297:
	v_cmp_gt_i16_e32 vcc_lo, 24, v4
	s_mov_b32 s16, -1
	s_cbranch_vccnz .LBB142_317
; %bb.298:
	v_cmp_lt_i16_e32 vcc_lo, 24, v4
	s_cbranch_vccz .LBB142_306
; %bb.299:
	v_dual_mov_b32 v8, 0x80 :: v_dual_lshlrev_b32 v7, 16, v3
	s_mov_b32 s16, exec_lo
	s_delay_alu instid0(VALU_DEP_1) | instskip(NEXT) | instid1(VALU_DEP_1)
	v_and_b32_e32 v6, 0x7fffffff, v7
	v_cmpx_gt_u32_e32 0x47800000, v6
	s_cbranch_execz .LBB142_305
; %bb.300:
	v_and_b32_e32 v5, 0xffff, v3
	v_cmp_lt_u32_e32 vcc_lo, 0x37ffffff, v6
	s_mov_b32 s18, 0
                                        ; implicit-def: $vgpr6
	s_and_saveexec_b32 s22, vcc_lo
	s_delay_alu instid0(SALU_CYCLE_1)
	s_xor_b32 s22, exec_lo, s22
	s_cbranch_execz .LBB142_525
; %bb.301:
	v_bfe_u32 v6, v5, 5, 1
	s_mov_b32 s18, exec_lo
	s_delay_alu instid0(VALU_DEP_1) | instskip(NEXT) | instid1(VALU_DEP_1)
	v_add3_u32 v6, v7, v6, 0x88fffff
                                        ; implicit-def: $vgpr7
	v_lshrrev_b32_e32 v6, 21, v6
	s_or_saveexec_b32 s22, s22
                                        ; implicit-def: $sgpr23
	s_delay_alu instid0(SALU_CYCLE_1)
	s_xor_b32 exec_lo, exec_lo, s22
	s_cbranch_execnz .LBB142_526
.LBB142_302:
	s_or_b32 exec_lo, exec_lo, s22
	v_mov_b32_e32 v8, s23
	s_and_saveexec_b32 s22, s18
.LBB142_303:
	v_lshrrev_b32_e32 v5, 8, v5
	s_delay_alu instid0(VALU_DEP_1)
	v_and_or_b32 v8, 0x80, v5, v6
.LBB142_304:
	s_or_b32 exec_lo, exec_lo, s22
.LBB142_305:
	s_delay_alu instid0(SALU_CYCLE_1)
	s_or_b32 exec_lo, exec_lo, s16
	s_mov_b32 s16, 0
	global_store_b8 v[0:1], v8, off
.LBB142_306:
	s_and_b32 vcc_lo, exec_lo, s16
	s_cbranch_vccz .LBB142_316
; %bb.307:
	v_lshlrev_b32_e32 v7, 16, v3
	v_and_b32_e32 v5, 0xffff, v3
	s_mov_b32 s16, exec_lo
                                        ; implicit-def: $vgpr6
	s_delay_alu instid0(VALU_DEP_2) | instskip(NEXT) | instid1(VALU_DEP_1)
	v_and_b32_e32 v8, 0x7fffffff, v7
	v_cmpx_gt_u32_e32 0x43f00000, v8
	s_xor_b32 s16, exec_lo, s16
	s_cbranch_execz .LBB142_313
; %bb.308:
	s_mov_b32 s18, exec_lo
                                        ; implicit-def: $vgpr6
	v_cmpx_lt_u32_e32 0x3c7fffff, v8
	s_xor_b32 s18, exec_lo, s18
; %bb.309:
	v_bfe_u32 v6, v5, 4, 1
	s_delay_alu instid0(VALU_DEP_1) | instskip(NEXT) | instid1(VALU_DEP_1)
	v_add3_u32 v6, v7, v6, 0x407ffff
	v_and_b32_e32 v7, 0xff00000, v6
	v_lshrrev_b32_e32 v6, 20, v6
	s_delay_alu instid0(VALU_DEP_2) | instskip(NEXT) | instid1(VALU_DEP_2)
	v_cmp_ne_u32_e32 vcc_lo, 0x7f00000, v7
                                        ; implicit-def: $vgpr7
	v_cndmask_b32_e32 v6, 0x7e, v6, vcc_lo
; %bb.310:
	s_and_not1_saveexec_b32 s18, s18
; %bb.311:
	v_add_f32_e64 v6, 0x46800000, |v7|
; %bb.312:
	s_or_b32 exec_lo, exec_lo, s18
                                        ; implicit-def: $vgpr8
.LBB142_313:
	s_and_not1_saveexec_b32 s16, s16
; %bb.314:
	v_mov_b32_e32 v6, 0x7f
	v_cmp_lt_u32_e32 vcc_lo, 0x7f800000, v8
	s_delay_alu instid0(VALU_DEP_2)
	v_cndmask_b32_e32 v6, 0x7e, v6, vcc_lo
; %bb.315:
	s_or_b32 exec_lo, exec_lo, s16
	v_lshrrev_b32_e32 v5, 8, v5
	s_delay_alu instid0(VALU_DEP_1)
	v_and_or_b32 v5, 0x80, v5, v6
	global_store_b8 v[0:1], v5, off
.LBB142_316:
	s_mov_b32 s16, 0
.LBB142_317:
	s_delay_alu instid0(SALU_CYCLE_1)
	s_and_not1_b32 vcc_lo, exec_lo, s16
	s_cbranch_vccnz .LBB142_327
; %bb.318:
	v_lshlrev_b32_e32 v7, 16, v3
	v_and_b32_e32 v5, 0xffff, v3
	s_mov_b32 s16, exec_lo
                                        ; implicit-def: $vgpr6
	s_delay_alu instid0(VALU_DEP_2) | instskip(NEXT) | instid1(VALU_DEP_1)
	v_and_b32_e32 v8, 0x7fffffff, v7
	v_cmpx_gt_u32_e32 0x47800000, v8
	s_xor_b32 s16, exec_lo, s16
	s_cbranch_execz .LBB142_324
; %bb.319:
	s_mov_b32 s18, exec_lo
                                        ; implicit-def: $vgpr6
	v_cmpx_lt_u32_e32 0x387fffff, v8
	s_xor_b32 s18, exec_lo, s18
; %bb.320:
	v_bfe_u32 v6, v5, 5, 1
	s_delay_alu instid0(VALU_DEP_1) | instskip(NEXT) | instid1(VALU_DEP_1)
	v_add3_u32 v6, v7, v6, 0x80fffff
                                        ; implicit-def: $vgpr7
	v_lshrrev_b32_e32 v6, 21, v6
; %bb.321:
	s_and_not1_saveexec_b32 s18, s18
; %bb.322:
	v_add_f32_e64 v6, 0x43000000, |v7|
; %bb.323:
	s_or_b32 exec_lo, exec_lo, s18
                                        ; implicit-def: $vgpr8
.LBB142_324:
	s_and_not1_saveexec_b32 s16, s16
; %bb.325:
	v_mov_b32_e32 v6, 0x7f
	v_cmp_lt_u32_e32 vcc_lo, 0x7f800000, v8
	s_delay_alu instid0(VALU_DEP_2)
	v_cndmask_b32_e32 v6, 0x7c, v6, vcc_lo
; %bb.326:
	s_or_b32 exec_lo, exec_lo, s16
	v_lshrrev_b32_e32 v5, 8, v5
	s_delay_alu instid0(VALU_DEP_1)
	v_and_or_b32 v5, 0x80, v5, v6
	global_store_b8 v[0:1], v5, off
.LBB142_327:
	s_mov_b32 s18, 0
	s_mov_b32 s16, -1
.LBB142_328:
	s_and_not1_b32 vcc_lo, exec_lo, s18
	s_cbranch_vccnz .LBB142_336
; %bb.329:
	v_cmp_lt_i16_e32 vcc_lo, 14, v4
	s_mov_b32 s18, -1
	s_cbranch_vccz .LBB142_333
; %bb.330:
	v_cmp_eq_u16_e32 vcc_lo, 15, v4
	s_mov_b32 s0, -1
	s_cbranch_vccz .LBB142_332
; %bb.331:
	s_mov_b32 s16, -1
	s_mov_b32 s0, 0
	global_store_b16 v[0:1], v3, off
.LBB142_332:
	s_mov_b32 s18, 0
.LBB142_333:
	s_delay_alu instid0(SALU_CYCLE_1)
	s_and_b32 vcc_lo, exec_lo, s18
	s_cbranch_vccz .LBB142_336
; %bb.334:
	v_cmp_eq_u16_e32 vcc_lo, 11, v4
	s_mov_b32 s0, -1
	s_cbranch_vccz .LBB142_336
; %bb.335:
	v_and_b32_e32 v5, 0x7fff, v3
	s_mov_b32 s0, 0
	s_mov_b32 s16, -1
	s_delay_alu instid0(VALU_DEP_1)
	v_cmp_ne_u16_e32 vcc_lo, 0, v5
	v_cndmask_b32_e64 v5, 0, 1, vcc_lo
	global_store_b8 v[0:1], v5, off
.LBB142_336:
	s_mov_b32 s18, 0
.LBB142_337:
	s_delay_alu instid0(SALU_CYCLE_1)
	s_and_b32 vcc_lo, exec_lo, s18
	s_cbranch_vccz .LBB142_376
; %bb.338:
	v_cmp_gt_i16_e32 vcc_lo, 5, v4
	s_mov_b32 s16, -1
	s_cbranch_vccnz .LBB142_359
; %bb.339:
	v_cmp_gt_i16_e32 vcc_lo, 8, v4
	s_cbranch_vccnz .LBB142_349
; %bb.340:
	v_cmp_gt_i16_e32 vcc_lo, 9, v4
	s_cbranch_vccnz .LBB142_346
; %bb.341:
	v_cmp_lt_i16_e32 vcc_lo, 9, v4
	s_cbranch_vccz .LBB142_343
; %bb.342:
	v_mov_b32_e32 v7, 0
	v_lshlrev_b32_e32 v5, 16, v3
	s_mov_b32 s16, 0
	s_delay_alu instid0(VALU_DEP_2) | instskip(NEXT) | instid1(VALU_DEP_2)
	v_mov_b32_e32 v8, v7
	v_cvt_f64_f32_e32 v[5:6], v5
	global_store_b128 v[0:1], v[5:8], off
.LBB142_343:
	s_and_not1_b32 vcc_lo, exec_lo, s16
	s_cbranch_vccnz .LBB142_345
; %bb.344:
	v_dual_mov_b32 v6, 0 :: v_dual_lshlrev_b32 v5, 16, v3
	global_store_b64 v[0:1], v[5:6], off
.LBB142_345:
	s_mov_b32 s16, 0
.LBB142_346:
	s_delay_alu instid0(SALU_CYCLE_1)
	s_and_not1_b32 vcc_lo, exec_lo, s16
	s_cbranch_vccnz .LBB142_348
; %bb.347:
	v_lshlrev_b32_e32 v5, 16, v3
	s_delay_alu instid0(VALU_DEP_1) | instskip(NEXT) | instid1(VALU_DEP_1)
	v_cvt_f16_f32_e32 v5, v5
	v_and_b32_e32 v5, 0xffff, v5
	global_store_b32 v[0:1], v5, off
.LBB142_348:
	s_mov_b32 s16, 0
.LBB142_349:
	s_delay_alu instid0(SALU_CYCLE_1)
	s_and_not1_b32 vcc_lo, exec_lo, s16
	s_cbranch_vccnz .LBB142_358
; %bb.350:
	v_cmp_gt_i16_e32 vcc_lo, 6, v4
	s_mov_b32 s16, -1
	s_cbranch_vccnz .LBB142_356
; %bb.351:
	v_cmp_lt_i16_e32 vcc_lo, 6, v4
	s_cbranch_vccz .LBB142_353
; %bb.352:
	v_lshlrev_b32_e32 v5, 16, v3
	s_mov_b32 s16, 0
	s_delay_alu instid0(VALU_DEP_1)
	v_cvt_f64_f32_e32 v[5:6], v5
	global_store_b64 v[0:1], v[5:6], off
.LBB142_353:
	s_and_not1_b32 vcc_lo, exec_lo, s16
	s_cbranch_vccnz .LBB142_355
; %bb.354:
	v_lshlrev_b32_e32 v5, 16, v3
	global_store_b32 v[0:1], v5, off
.LBB142_355:
	s_mov_b32 s16, 0
.LBB142_356:
	s_delay_alu instid0(SALU_CYCLE_1)
	s_and_not1_b32 vcc_lo, exec_lo, s16
	s_cbranch_vccnz .LBB142_358
; %bb.357:
	v_lshlrev_b32_e32 v5, 16, v3
	s_delay_alu instid0(VALU_DEP_1)
	v_cvt_f16_f32_e32 v5, v5
	global_store_b16 v[0:1], v5, off
.LBB142_358:
	s_mov_b32 s16, 0
.LBB142_359:
	s_delay_alu instid0(SALU_CYCLE_1)
	s_and_not1_b32 vcc_lo, exec_lo, s16
	s_cbranch_vccnz .LBB142_375
; %bb.360:
	v_cmp_gt_i16_e32 vcc_lo, 2, v4
	s_mov_b32 s16, -1
	s_cbranch_vccnz .LBB142_370
; %bb.361:
	v_cmp_gt_i16_e32 vcc_lo, 3, v4
	s_cbranch_vccnz .LBB142_367
; %bb.362:
	v_cmp_lt_i16_e32 vcc_lo, 3, v4
	s_cbranch_vccz .LBB142_364
; %bb.363:
	v_lshlrev_b32_e32 v5, 16, v3
	s_mov_b32 s16, 0
	s_delay_alu instid0(VALU_DEP_1) | instskip(NEXT) | instid1(VALU_DEP_1)
	v_trunc_f32_e32 v5, v5
	v_mul_f32_e64 v6, 0x2f800000, |v5|
	v_ashrrev_i32_e32 v8, 31, v5
	s_delay_alu instid0(VALU_DEP_2) | instskip(NEXT) | instid1(VALU_DEP_1)
	v_floor_f32_e32 v6, v6
	v_fma_f32 v7, 0xcf800000, v6, |v5|
	v_cvt_u32_f32_e32 v6, v6
	s_delay_alu instid0(VALU_DEP_2) | instskip(NEXT) | instid1(VALU_DEP_2)
	v_cvt_u32_f32_e32 v5, v7
	v_xor_b32_e32 v6, v6, v8
	s_delay_alu instid0(VALU_DEP_2) | instskip(NEXT) | instid1(VALU_DEP_1)
	v_xor_b32_e32 v5, v5, v8
	v_sub_co_u32 v5, vcc_lo, v5, v8
	s_delay_alu instid0(VALU_DEP_3)
	v_sub_co_ci_u32_e32 v6, vcc_lo, v6, v8, vcc_lo
	global_store_b64 v[0:1], v[5:6], off
.LBB142_364:
	s_and_not1_b32 vcc_lo, exec_lo, s16
	s_cbranch_vccnz .LBB142_366
; %bb.365:
	v_lshlrev_b32_e32 v5, 16, v3
	s_delay_alu instid0(VALU_DEP_1)
	v_cvt_i32_f32_e32 v5, v5
	global_store_b32 v[0:1], v5, off
.LBB142_366:
	s_mov_b32 s16, 0
.LBB142_367:
	s_delay_alu instid0(SALU_CYCLE_1)
	s_and_not1_b32 vcc_lo, exec_lo, s16
	s_cbranch_vccnz .LBB142_369
; %bb.368:
	v_lshlrev_b32_e32 v5, 16, v3
	s_delay_alu instid0(VALU_DEP_1)
	v_cvt_i32_f32_e32 v5, v5
	global_store_b16 v[0:1], v5, off
.LBB142_369:
	s_mov_b32 s16, 0
.LBB142_370:
	s_delay_alu instid0(SALU_CYCLE_1)
	s_and_not1_b32 vcc_lo, exec_lo, s16
	s_cbranch_vccnz .LBB142_375
; %bb.371:
	v_cmp_lt_i16_e32 vcc_lo, 0, v4
	s_mov_b32 s16, -1
	s_cbranch_vccz .LBB142_373
; %bb.372:
	v_lshlrev_b32_e32 v4, 16, v3
	s_mov_b32 s16, 0
	s_delay_alu instid0(VALU_DEP_1)
	v_cvt_i32_f32_e32 v4, v4
	global_store_b8 v[0:1], v4, off
.LBB142_373:
	s_and_not1_b32 vcc_lo, exec_lo, s16
	s_cbranch_vccnz .LBB142_375
; %bb.374:
	v_lshlrev_b32_e32 v3, 16, v3
	s_delay_alu instid0(VALU_DEP_1) | instskip(NEXT) | instid1(VALU_DEP_1)
	v_trunc_f32_e32 v3, v3
	v_mul_f32_e64 v4, 0x2f800000, |v3|
	s_delay_alu instid0(VALU_DEP_1) | instskip(NEXT) | instid1(VALU_DEP_1)
	v_floor_f32_e32 v4, v4
	v_fma_f32 v4, 0xcf800000, v4, |v3|
	v_ashrrev_i32_e32 v3, 31, v3
	s_delay_alu instid0(VALU_DEP_2) | instskip(NEXT) | instid1(VALU_DEP_1)
	v_cvt_u32_f32_e32 v4, v4
	v_xor_b32_e32 v4, v4, v3
	s_delay_alu instid0(VALU_DEP_1)
	v_sub_nc_u32_e32 v3, v4, v3
	global_store_b8 v[0:1], v3, off
.LBB142_375:
	s_mov_b32 s16, -1
.LBB142_376:
	s_delay_alu instid0(SALU_CYCLE_1)
	s_and_not1_b32 vcc_lo, exec_lo, s16
	s_mov_b32 s18, 0
	s_cbranch_vccnz .LBB142_378
; %bb.377:
	v_add_nc_u32_e32 v2, 0x80, v2
	s_mov_b32 s22, -1
	s_branch .LBB142_379
.LBB142_378:
	s_mov_b32 s22, 0
                                        ; implicit-def: $vgpr2
.LBB142_379:
	s_and_b32 s16, s0, exec_lo
	s_and_b32 s18, s18, exec_lo
	;; [unrolled: 1-line block ×3, first 2 shown]
	s_or_not1_b32 s23, s22, exec_lo
.LBB142_380:
	s_or_b32 exec_lo, exec_lo, s20
	s_mov_b32 s22, 0
	s_mov_b32 s0, 0
                                        ; implicit-def: $vgpr4
                                        ; implicit-def: $vgpr0_vgpr1
                                        ; implicit-def: $vgpr3
	s_and_saveexec_b32 s20, s23
	s_cbranch_execz .LBB142_1242
; %bb.381:
	s_mov_b32 s26, -1
	s_mov_b32 s21, s19
	s_mov_b32 s23, s18
	;; [unrolled: 1-line block ×3, first 2 shown]
	s_mov_b32 s24, exec_lo
	v_cmpx_gt_i32_e64 s17, v2
	s_cbranch_execz .LBB142_768
; %bb.382:
	v_mul_lo_u32 v0, v2, s9
	v_and_b32_e64 v4, 0xff, s14
	s_delay_alu instid0(VALU_DEP_1) | instskip(NEXT) | instid1(VALU_DEP_3)
	v_cmp_gt_i16_e32 vcc_lo, 11, v4
	v_ashrrev_i32_e32 v1, 31, v0
	v_add_co_u32 v0, s0, s6, v0
	s_delay_alu instid0(VALU_DEP_1)
	v_add_co_ci_u32_e64 v1, s0, s7, v1, s0
	s_cbranch_vccnz .LBB142_389
; %bb.383:
	v_cmp_lt_i16_e32 vcc_lo, 25, v4
	s_cbranch_vccz .LBB142_398
; %bb.384:
	v_cmp_lt_i16_e32 vcc_lo, 28, v4
	s_cbranch_vccz .LBB142_400
	;; [unrolled: 3-line block ×4, first 2 shown]
; %bb.387:
	v_cmp_eq_u16_e32 vcc_lo, 46, v4
	s_mov_b32 s22, 0
	s_cbranch_vccz .LBB142_408
; %bb.388:
	global_load_b32 v3, v[0:1], off
	s_mov_b32 s0, -1
	s_mov_b32 s21, 0
	s_branch .LBB142_410
.LBB142_389:
	s_mov_b32 s0, 0
	s_mov_b32 s21, s19
                                        ; implicit-def: $vgpr3
	s_cbranch_execnz .LBB142_476
.LBB142_390:
	s_and_not1_b32 vcc_lo, exec_lo, s0
	s_cbranch_vccnz .LBB142_524
.LBB142_391:
	v_mul_lo_u32 v0, v2, s10
	v_and_b32_e64 v4, 0xff, s1
	s_delay_alu instid0(VALU_DEP_1) | instskip(NEXT) | instid1(VALU_DEP_3)
	v_cmp_gt_i16_e32 vcc_lo, 11, v4
	v_ashrrev_i32_e32 v1, 31, v0
	v_add_co_u32 v0, s0, s2, v0
	s_delay_alu instid0(VALU_DEP_1)
	v_add_co_ci_u32_e64 v1, s0, s3, v1, s0
	s_cbranch_vccnz .LBB142_399
; %bb.392:
	v_cmp_lt_i16_e32 vcc_lo, 25, v4
	s_cbranch_vccz .LBB142_401
; %bb.393:
	v_cmp_lt_i16_e32 vcc_lo, 28, v4
	s_cbranch_vccz .LBB142_403
; %bb.394:
	v_cmp_lt_i16_e32 vcc_lo, 43, v4
	s_cbranch_vccz .LBB142_405
; %bb.395:
	v_cmp_lt_i16_e32 vcc_lo, 45, v4
	s_cbranch_vccz .LBB142_413
; %bb.396:
	v_cmp_eq_u16_e32 vcc_lo, 46, v4
	s_mov_b32 s25, 0
	s_cbranch_vccz .LBB142_527
; %bb.397:
	global_load_b32 v5, v[0:1], off
	s_mov_b32 s23, 0
	s_mov_b32 s0, -1
	s_waitcnt vmcnt(0)
	v_and_b32_e32 v5, 0x7fff7fff, v5
	s_delay_alu instid0(VALU_DEP_1)
	v_cmp_ne_u32_e32 vcc_lo, 0, v5
	s_and_b32 s22, vcc_lo, exec_lo
	s_branch .LBB142_529
.LBB142_398:
	s_mov_b32 s22, -1
	s_mov_b32 s0, 0
	s_mov_b32 s21, s19
                                        ; implicit-def: $vgpr3
	s_branch .LBB142_440
.LBB142_399:
	s_mov_b32 s25, -1
	s_mov_b32 s0, 0
	s_mov_b32 s23, s18
                                        ; implicit-def: $sgpr22
	s_branch .LBB142_592
.LBB142_400:
	s_mov_b32 s22, -1
	s_mov_b32 s0, 0
	s_mov_b32 s21, s19
                                        ; implicit-def: $vgpr3
	s_branch .LBB142_421
.LBB142_401:
	s_mov_b32 s25, -1
	s_mov_b32 s0, 0
	s_mov_b32 s23, s18
                                        ; implicit-def: $sgpr22
	s_branch .LBB142_556
.LBB142_402:
	s_mov_b32 s22, -1
	s_mov_b32 s0, 0
	s_mov_b32 s21, s19
                                        ; implicit-def: $vgpr3
	s_branch .LBB142_416
.LBB142_403:
	s_mov_b32 s25, -1
	s_mov_b32 s0, 0
	s_mov_b32 s23, s18
                                        ; implicit-def: $sgpr22
	s_branch .LBB142_537
.LBB142_404:
	s_mov_b32 s22, -1
	s_mov_b32 s0, 0
	s_mov_b32 s21, s19
	s_branch .LBB142_409
.LBB142_405:
	s_mov_b32 s25, -1
	s_mov_b32 s0, 0
	s_mov_b32 s23, s18
                                        ; implicit-def: $sgpr22
	s_branch .LBB142_532
.LBB142_406:
	s_or_saveexec_b32 s22, s22
                                        ; implicit-def: $sgpr23
	s_delay_alu instid0(SALU_CYCLE_1)
	s_xor_b32 exec_lo, exec_lo, s22
	s_cbranch_execz .LBB142_289
.LBB142_407:
	v_add_f32_e64 v6, 0x46000000, |v7|
	s_and_not1_b32 s18, s18, exec_lo
	s_mov_b32 s23, 0
	s_delay_alu instid0(VALU_DEP_1) | instskip(NEXT) | instid1(VALU_DEP_1)
	v_and_b32_e32 v6, 0xff, v6
	v_cmp_ne_u32_e32 vcc_lo, 0, v6
	s_and_b32 s24, vcc_lo, exec_lo
	s_delay_alu instid0(SALU_CYCLE_1)
	s_or_b32 s18, s18, s24
	s_or_b32 exec_lo, exec_lo, s22
	v_mov_b32_e32 v8, s23
	s_and_saveexec_b32 s22, s18
	s_cbranch_execnz .LBB142_290
	s_branch .LBB142_291
.LBB142_408:
	s_mov_b32 s21, -1
	s_mov_b32 s0, 0
.LBB142_409:
                                        ; implicit-def: $vgpr3
.LBB142_410:
	s_and_b32 vcc_lo, exec_lo, s22
	s_cbranch_vccz .LBB142_415
; %bb.411:
	v_cmp_eq_u16_e32 vcc_lo, 44, v4
	s_cbranch_vccz .LBB142_414
; %bb.412:
	global_load_u8 v3, v[0:1], off
	s_mov_b32 s21, 0
	s_mov_b32 s0, -1
	s_waitcnt vmcnt(0)
	v_lshlrev_b32_e32 v5, 23, v3
	v_cmp_ne_u32_e32 vcc_lo, 0xff, v3
	s_delay_alu instid0(VALU_DEP_2) | instskip(SKIP_1) | instid1(VALU_DEP_2)
	v_cndmask_b32_e32 v5, 0x7f800001, v5, vcc_lo
	v_cmp_ne_u32_e32 vcc_lo, 0, v3
	v_cndmask_b32_e32 v3, 0x400000, v5, vcc_lo
	s_delay_alu instid0(VALU_DEP_1) | instskip(SKIP_1) | instid1(VALU_DEP_2)
	v_add_nc_u32_e32 v5, 0x7fff, v3
	v_cmp_o_f32_e32 vcc_lo, v3, v3
	v_lshrrev_b32_e32 v5, 16, v5
	s_delay_alu instid0(VALU_DEP_1)
	v_cndmask_b32_e32 v3, 0x7fc0, v5, vcc_lo
	s_branch .LBB142_415
.LBB142_413:
	s_mov_b32 s25, -1
	s_mov_b32 s0, 0
	s_mov_b32 s23, s18
	s_branch .LBB142_528
.LBB142_414:
	s_mov_b32 s21, -1
                                        ; implicit-def: $vgpr3
.LBB142_415:
	s_mov_b32 s22, 0
.LBB142_416:
	s_delay_alu instid0(SALU_CYCLE_1)
	s_and_b32 vcc_lo, exec_lo, s22
	s_cbranch_vccz .LBB142_420
; %bb.417:
	v_cmp_eq_u16_e32 vcc_lo, 29, v4
	s_cbranch_vccz .LBB142_419
; %bb.418:
	global_load_b64 v[5:6], v[0:1], off
	s_mov_b32 s0, -1
	s_mov_b32 s21, 0
	s_mov_b32 s22, 0
	s_waitcnt vmcnt(0)
	v_clz_i32_u32_e32 v3, v6
	s_delay_alu instid0(VALU_DEP_1) | instskip(NEXT) | instid1(VALU_DEP_1)
	v_min_u32_e32 v3, 32, v3
	v_lshlrev_b64 v[5:6], v3, v[5:6]
	v_sub_nc_u32_e32 v3, 32, v3
	s_delay_alu instid0(VALU_DEP_2) | instskip(NEXT) | instid1(VALU_DEP_1)
	v_min_u32_e32 v5, 1, v5
	v_or_b32_e32 v5, v6, v5
	s_delay_alu instid0(VALU_DEP_1) | instskip(NEXT) | instid1(VALU_DEP_1)
	v_cvt_f32_u32_e32 v5, v5
	v_ldexp_f32 v3, v5, v3
	s_delay_alu instid0(VALU_DEP_1) | instskip(NEXT) | instid1(VALU_DEP_1)
	v_bfe_u32 v5, v3, 16, 1
	v_add3_u32 v3, v3, v5, 0x7fff
	s_delay_alu instid0(VALU_DEP_1)
	v_lshrrev_b32_e32 v3, 16, v3
	s_branch .LBB142_421
.LBB142_419:
	s_mov_b32 s21, -1
                                        ; implicit-def: $vgpr3
.LBB142_420:
	s_mov_b32 s22, 0
.LBB142_421:
	s_delay_alu instid0(SALU_CYCLE_1)
	s_and_b32 vcc_lo, exec_lo, s22
	s_cbranch_vccz .LBB142_439
; %bb.422:
	v_cmp_gt_i16_e32 vcc_lo, 27, v4
	s_cbranch_vccnz .LBB142_425
; %bb.423:
	v_cmp_lt_i16_e32 vcc_lo, 27, v4
	s_cbranch_vccz .LBB142_426
; %bb.424:
	global_load_b32 v3, v[0:1], off
	s_mov_b32 s0, 0
	s_waitcnt vmcnt(0)
	v_cvt_f32_u32_e32 v3, v3
	s_delay_alu instid0(VALU_DEP_1) | instskip(NEXT) | instid1(VALU_DEP_1)
	v_bfe_u32 v5, v3, 16, 1
	v_add3_u32 v3, v3, v5, 0x7fff
	s_delay_alu instid0(VALU_DEP_1)
	v_lshrrev_b32_e32 v3, 16, v3
	s_branch .LBB142_427
.LBB142_425:
	s_mov_b32 s0, -1
                                        ; implicit-def: $vgpr3
	s_branch .LBB142_430
.LBB142_426:
	s_mov_b32 s0, -1
                                        ; implicit-def: $vgpr3
.LBB142_427:
	s_delay_alu instid0(SALU_CYCLE_1)
	s_and_not1_b32 vcc_lo, exec_lo, s0
	s_cbranch_vccnz .LBB142_429
; %bb.428:
	global_load_u16 v3, v[0:1], off
	s_waitcnt vmcnt(0)
	v_cvt_f32_u32_e32 v3, v3
	s_delay_alu instid0(VALU_DEP_1) | instskip(NEXT) | instid1(VALU_DEP_1)
	v_bfe_u32 v5, v3, 16, 1
	v_add3_u32 v3, v3, v5, 0x7fff
	s_delay_alu instid0(VALU_DEP_1)
	v_lshrrev_b32_e32 v3, 16, v3
.LBB142_429:
	s_mov_b32 s0, 0
.LBB142_430:
	s_delay_alu instid0(SALU_CYCLE_1)
	s_and_not1_b32 vcc_lo, exec_lo, s0
	s_cbranch_vccnz .LBB142_438
; %bb.431:
	global_load_u8 v3, v[0:1], off
	s_mov_b32 s0, 0
	s_mov_b32 s23, exec_lo
                                        ; implicit-def: $sgpr22
	s_waitcnt vmcnt(0)
	v_cmpx_lt_i16_e32 0x7f, v3
	s_xor_b32 s23, exec_lo, s23
	s_cbranch_execz .LBB142_452
; %bb.432:
	s_mov_b32 s0, -1
	s_mov_b32 s25, exec_lo
                                        ; implicit-def: $sgpr22
	v_cmpx_eq_u16_e32 0x80, v3
; %bb.433:
	s_mov_b32 s22, 0x7f800001
	s_xor_b32 s0, exec_lo, -1
; %bb.434:
	s_or_b32 exec_lo, exec_lo, s25
	s_delay_alu instid0(SALU_CYCLE_1)
	s_and_b32 s0, s0, exec_lo
	s_or_saveexec_b32 s23, s23
	v_mov_b32_e32 v5, s22
	s_xor_b32 exec_lo, exec_lo, s23
	s_cbranch_execnz .LBB142_453
.LBB142_435:
	s_or_b32 exec_lo, exec_lo, s23
	s_and_saveexec_b32 s22, s0
	s_cbranch_execz .LBB142_437
.LBB142_436:
	v_and_b32_e32 v5, 0xffff, v3
	v_lshlrev_b32_e32 v3, 24, v3
	s_delay_alu instid0(VALU_DEP_2) | instskip(NEXT) | instid1(VALU_DEP_2)
	v_and_b32_e32 v6, 7, v5
	v_and_b32_e32 v3, 0x80000000, v3
	s_delay_alu instid0(VALU_DEP_2) | instskip(NEXT) | instid1(VALU_DEP_1)
	v_clz_i32_u32_e32 v7, v6
	v_min_u32_e32 v7, 32, v7
	s_delay_alu instid0(VALU_DEP_1) | instskip(SKIP_1) | instid1(VALU_DEP_2)
	v_subrev_nc_u32_e32 v8, 28, v7
	v_sub_nc_u32_e32 v7, 29, v7
	v_lshlrev_b32_e32 v8, v8, v5
	v_bfe_u32 v5, v5, 3, 4
	s_delay_alu instid0(VALU_DEP_2) | instskip(NEXT) | instid1(VALU_DEP_2)
	v_and_b32_e32 v8, 7, v8
	v_cmp_eq_u32_e32 vcc_lo, 0, v5
	s_delay_alu instid0(VALU_DEP_2) | instskip(NEXT) | instid1(VALU_DEP_1)
	v_dual_cndmask_b32 v5, v5, v7 :: v_dual_cndmask_b32 v6, v6, v8
	v_lshl_add_u32 v5, v5, 23, 0x3b800000
	s_delay_alu instid0(VALU_DEP_2) | instskip(NEXT) | instid1(VALU_DEP_1)
	v_lshlrev_b32_e32 v6, 20, v6
	v_or3_b32 v5, v3, v5, v6
.LBB142_437:
	s_or_b32 exec_lo, exec_lo, s22
	s_delay_alu instid0(VALU_DEP_1) | instskip(SKIP_1) | instid1(VALU_DEP_2)
	v_bfe_u32 v3, v5, 16, 1
	v_cmp_o_f32_e32 vcc_lo, v5, v5
	v_add3_u32 v3, v5, v3, 0x7fff
	s_delay_alu instid0(VALU_DEP_1) | instskip(NEXT) | instid1(VALU_DEP_1)
	v_lshrrev_b32_e32 v3, 16, v3
	v_cndmask_b32_e32 v3, 0x7fc0, v3, vcc_lo
.LBB142_438:
	s_mov_b32 s0, -1
.LBB142_439:
	s_mov_b32 s22, 0
.LBB142_440:
	s_delay_alu instid0(SALU_CYCLE_1)
	s_and_b32 vcc_lo, exec_lo, s22
	s_cbranch_vccz .LBB142_475
; %bb.441:
	v_cmp_lt_i16_e32 vcc_lo, 22, v4
	s_cbranch_vccz .LBB142_451
; %bb.442:
	v_cmp_gt_i16_e32 vcc_lo, 24, v4
	s_cbranch_vccnz .LBB142_454
; %bb.443:
	v_cmp_lt_i16_e32 vcc_lo, 24, v4
	s_cbranch_vccz .LBB142_455
; %bb.444:
	global_load_u8 v3, v[0:1], off
	s_mov_b32 s0, 0
	s_mov_b32 s23, exec_lo
                                        ; implicit-def: $sgpr22
	s_waitcnt vmcnt(0)
	v_cmpx_lt_i16_e32 0x7f, v3
	s_xor_b32 s23, exec_lo, s23
	s_cbranch_execz .LBB142_467
; %bb.445:
	s_mov_b32 s0, -1
	s_mov_b32 s25, exec_lo
                                        ; implicit-def: $sgpr22
	v_cmpx_eq_u16_e32 0x80, v3
; %bb.446:
	s_mov_b32 s22, 0x7f800001
	s_xor_b32 s0, exec_lo, -1
; %bb.447:
	s_or_b32 exec_lo, exec_lo, s25
	s_delay_alu instid0(SALU_CYCLE_1)
	s_and_b32 s0, s0, exec_lo
	s_or_saveexec_b32 s23, s23
	v_mov_b32_e32 v5, s22
	s_xor_b32 exec_lo, exec_lo, s23
	s_cbranch_execnz .LBB142_468
.LBB142_448:
	s_or_b32 exec_lo, exec_lo, s23
	s_and_saveexec_b32 s22, s0
	s_cbranch_execz .LBB142_450
.LBB142_449:
	v_and_b32_e32 v5, 0xffff, v3
	v_lshlrev_b32_e32 v3, 24, v3
	s_delay_alu instid0(VALU_DEP_2) | instskip(NEXT) | instid1(VALU_DEP_2)
	v_and_b32_e32 v6, 3, v5
	v_and_b32_e32 v3, 0x80000000, v3
	s_delay_alu instid0(VALU_DEP_2) | instskip(NEXT) | instid1(VALU_DEP_1)
	v_clz_i32_u32_e32 v7, v6
	v_min_u32_e32 v7, 32, v7
	s_delay_alu instid0(VALU_DEP_1) | instskip(SKIP_1) | instid1(VALU_DEP_2)
	v_subrev_nc_u32_e32 v8, 29, v7
	v_sub_nc_u32_e32 v7, 30, v7
	v_lshlrev_b32_e32 v8, v8, v5
	v_bfe_u32 v5, v5, 2, 5
	s_delay_alu instid0(VALU_DEP_2) | instskip(NEXT) | instid1(VALU_DEP_2)
	v_and_b32_e32 v8, 3, v8
	v_cmp_eq_u32_e32 vcc_lo, 0, v5
	s_delay_alu instid0(VALU_DEP_2) | instskip(NEXT) | instid1(VALU_DEP_1)
	v_dual_cndmask_b32 v5, v5, v7 :: v_dual_cndmask_b32 v6, v6, v8
	v_lshl_add_u32 v5, v5, 23, 0x37800000
	s_delay_alu instid0(VALU_DEP_2) | instskip(NEXT) | instid1(VALU_DEP_1)
	v_lshlrev_b32_e32 v6, 21, v6
	v_or3_b32 v5, v3, v5, v6
.LBB142_450:
	s_or_b32 exec_lo, exec_lo, s22
	s_delay_alu instid0(VALU_DEP_1) | instskip(SKIP_2) | instid1(VALU_DEP_2)
	v_bfe_u32 v3, v5, 16, 1
	v_cmp_o_f32_e32 vcc_lo, v5, v5
	s_mov_b32 s0, 0
	v_add3_u32 v3, v5, v3, 0x7fff
	s_delay_alu instid0(VALU_DEP_1) | instskip(NEXT) | instid1(VALU_DEP_1)
	v_lshrrev_b32_e32 v3, 16, v3
	v_cndmask_b32_e32 v3, 0x7fc0, v3, vcc_lo
	s_branch .LBB142_456
.LBB142_451:
	s_mov_b32 s22, -1
                                        ; implicit-def: $vgpr3
	s_branch .LBB142_462
.LBB142_452:
	s_or_saveexec_b32 s23, s23
	v_mov_b32_e32 v5, s22
	s_xor_b32 exec_lo, exec_lo, s23
	s_cbranch_execz .LBB142_435
.LBB142_453:
	v_cmp_ne_u16_e32 vcc_lo, 0, v3
	v_mov_b32_e32 v5, 0
	s_and_not1_b32 s0, s0, exec_lo
	s_and_b32 s22, vcc_lo, exec_lo
	s_delay_alu instid0(SALU_CYCLE_1)
	s_or_b32 s0, s0, s22
	s_or_b32 exec_lo, exec_lo, s23
	s_and_saveexec_b32 s22, s0
	s_cbranch_execnz .LBB142_436
	s_branch .LBB142_437
.LBB142_454:
	s_mov_b32 s0, -1
                                        ; implicit-def: $vgpr3
	s_branch .LBB142_459
.LBB142_455:
	s_mov_b32 s0, -1
                                        ; implicit-def: $vgpr3
.LBB142_456:
	s_delay_alu instid0(SALU_CYCLE_1)
	s_and_b32 vcc_lo, exec_lo, s0
	s_cbranch_vccz .LBB142_458
; %bb.457:
	global_load_u8 v3, v[0:1], off
	s_waitcnt vmcnt(0)
	v_lshlrev_b32_e32 v3, 24, v3
	s_delay_alu instid0(VALU_DEP_1) | instskip(NEXT) | instid1(VALU_DEP_1)
	v_and_b32_e32 v5, 0x7f000000, v3
	v_clz_i32_u32_e32 v6, v5
	v_cmp_ne_u32_e32 vcc_lo, 0, v5
	v_add_nc_u32_e32 v8, 0x1000000, v5
	s_delay_alu instid0(VALU_DEP_3) | instskip(NEXT) | instid1(VALU_DEP_1)
	v_min_u32_e32 v6, 32, v6
	v_sub_nc_u32_e64 v6, v6, 4 clamp
	s_delay_alu instid0(VALU_DEP_1) | instskip(SKIP_1) | instid1(VALU_DEP_2)
	v_lshlrev_b32_e32 v7, v6, v5
	v_lshlrev_b32_e32 v6, 23, v6
	v_lshrrev_b32_e32 v7, 4, v7
	s_delay_alu instid0(VALU_DEP_1) | instskip(SKIP_1) | instid1(VALU_DEP_2)
	v_sub_nc_u32_e32 v6, v7, v6
	v_ashrrev_i32_e32 v7, 8, v8
	v_add_nc_u32_e32 v6, 0x3c000000, v6
	s_delay_alu instid0(VALU_DEP_1) | instskip(NEXT) | instid1(VALU_DEP_1)
	v_and_or_b32 v6, 0x7f800000, v7, v6
	v_cndmask_b32_e32 v5, 0, v6, vcc_lo
	s_delay_alu instid0(VALU_DEP_1) | instskip(SKIP_1) | instid1(VALU_DEP_2)
	v_and_or_b32 v3, 0x80000000, v3, v5
	v_bfe_u32 v5, v5, 16, 1
	v_cmp_o_f32_e32 vcc_lo, v3, v3
	s_delay_alu instid0(VALU_DEP_2) | instskip(NEXT) | instid1(VALU_DEP_1)
	v_add3_u32 v5, v3, v5, 0x7fff
	v_lshrrev_b32_e32 v5, 16, v5
	s_delay_alu instid0(VALU_DEP_1)
	v_cndmask_b32_e32 v3, 0x7fc0, v5, vcc_lo
.LBB142_458:
	s_mov_b32 s0, 0
.LBB142_459:
	s_delay_alu instid0(SALU_CYCLE_1)
	s_and_not1_b32 vcc_lo, exec_lo, s0
	s_cbranch_vccnz .LBB142_461
; %bb.460:
	global_load_u8 v3, v[0:1], off
	s_waitcnt vmcnt(0)
	v_lshlrev_b32_e32 v5, 25, v3
	v_lshlrev_b16 v3, 8, v3
	s_delay_alu instid0(VALU_DEP_2) | instskip(NEXT) | instid1(VALU_DEP_2)
	v_lshrrev_b32_e32 v6, 4, v5
	v_and_or_b32 v7, 0x7f00, v3, 0.5
	v_bfe_i32 v3, v3, 0, 16
	s_delay_alu instid0(VALU_DEP_3) | instskip(NEXT) | instid1(VALU_DEP_1)
	v_or_b32_e32 v6, 0x70000000, v6
	v_dual_add_f32 v7, -0.5, v7 :: v_dual_mul_f32 v6, 0x7800000, v6
	v_cmp_gt_u32_e32 vcc_lo, 0x8000000, v5
	s_delay_alu instid0(VALU_DEP_2) | instskip(NEXT) | instid1(VALU_DEP_1)
	v_cndmask_b32_e32 v5, v6, v7, vcc_lo
	v_and_or_b32 v3, 0x80000000, v3, v5
	v_bfe_u32 v5, v5, 16, 1
	s_delay_alu instid0(VALU_DEP_2) | instskip(NEXT) | instid1(VALU_DEP_2)
	v_cmp_o_f32_e32 vcc_lo, v3, v3
	v_add3_u32 v5, v3, v5, 0x7fff
	s_delay_alu instid0(VALU_DEP_1) | instskip(NEXT) | instid1(VALU_DEP_1)
	v_lshrrev_b32_e32 v5, 16, v5
	v_cndmask_b32_e32 v3, 0x7fc0, v5, vcc_lo
.LBB142_461:
	s_mov_b32 s22, 0
	s_mov_b32 s0, -1
.LBB142_462:
	s_and_not1_b32 vcc_lo, exec_lo, s22
	s_cbranch_vccnz .LBB142_475
; %bb.463:
	v_cmp_lt_i16_e32 vcc_lo, 14, v4
	s_cbranch_vccz .LBB142_466
; %bb.464:
	v_cmp_eq_u16_e32 vcc_lo, 15, v4
	s_cbranch_vccz .LBB142_469
; %bb.465:
	global_load_u16 v3, v[0:1], off
	s_mov_b32 s0, -1
	s_mov_b32 s21, 0
	s_branch .LBB142_470
.LBB142_466:
	s_mov_b32 s22, -1
                                        ; implicit-def: $vgpr3
	s_branch .LBB142_471
.LBB142_467:
	s_or_saveexec_b32 s23, s23
	v_mov_b32_e32 v5, s22
	s_xor_b32 exec_lo, exec_lo, s23
	s_cbranch_execz .LBB142_448
.LBB142_468:
	v_cmp_ne_u16_e32 vcc_lo, 0, v3
	v_mov_b32_e32 v5, 0
	s_and_not1_b32 s0, s0, exec_lo
	s_and_b32 s22, vcc_lo, exec_lo
	s_delay_alu instid0(SALU_CYCLE_1)
	s_or_b32 s0, s0, s22
	s_or_b32 exec_lo, exec_lo, s23
	s_and_saveexec_b32 s22, s0
	s_cbranch_execnz .LBB142_449
	s_branch .LBB142_450
.LBB142_469:
	s_mov_b32 s21, -1
                                        ; implicit-def: $vgpr3
.LBB142_470:
	s_mov_b32 s22, 0
.LBB142_471:
	s_delay_alu instid0(SALU_CYCLE_1)
	s_and_b32 vcc_lo, exec_lo, s22
	s_cbranch_vccz .LBB142_475
; %bb.472:
	v_cmp_eq_u16_e32 vcc_lo, 11, v4
	s_cbranch_vccz .LBB142_474
; %bb.473:
	global_load_u8 v3, v[0:1], off
	s_mov_b32 s21, 0
	s_mov_b32 s0, -1
	s_waitcnt vmcnt(0)
	v_cmp_ne_u16_e32 vcc_lo, 0, v3
	v_cndmask_b32_e64 v3, 0, 1.0, vcc_lo
	s_delay_alu instid0(VALU_DEP_1)
	v_lshrrev_b32_e32 v3, 16, v3
	s_branch .LBB142_475
.LBB142_474:
	s_mov_b32 s21, -1
                                        ; implicit-def: $vgpr3
.LBB142_475:
	s_branch .LBB142_390
.LBB142_476:
	v_cmp_gt_i16_e32 vcc_lo, 5, v4
	s_cbranch_vccnz .LBB142_481
; %bb.477:
	v_cmp_gt_i16_e32 vcc_lo, 8, v4
	s_cbranch_vccnz .LBB142_482
; %bb.478:
	;; [unrolled: 3-line block ×3, first 2 shown]
	v_cmp_lt_i16_e32 vcc_lo, 9, v4
	s_cbranch_vccz .LBB142_484
; %bb.480:
	global_load_b64 v[5:6], v[0:1], off
	s_mov_b32 s0, 0
	s_waitcnt vmcnt(0)
	v_cvt_f32_f64_e32 v3, v[5:6]
	s_delay_alu instid0(VALU_DEP_1) | instskip(SKIP_1) | instid1(VALU_DEP_2)
	v_bfe_u32 v5, v3, 16, 1
	v_cmp_o_f32_e32 vcc_lo, v3, v3
	v_add3_u32 v5, v3, v5, 0x7fff
	s_delay_alu instid0(VALU_DEP_1) | instskip(NEXT) | instid1(VALU_DEP_1)
	v_lshrrev_b32_e32 v5, 16, v5
	v_cndmask_b32_e32 v3, 0x7fc0, v5, vcc_lo
	s_branch .LBB142_485
.LBB142_481:
	s_mov_b32 s0, -1
                                        ; implicit-def: $vgpr3
	s_branch .LBB142_503
.LBB142_482:
	s_mov_b32 s0, -1
                                        ; implicit-def: $vgpr3
	s_branch .LBB142_491
.LBB142_483:
	s_mov_b32 s0, -1
                                        ; implicit-def: $vgpr3
	s_branch .LBB142_488
.LBB142_484:
	s_mov_b32 s0, -1
                                        ; implicit-def: $vgpr3
.LBB142_485:
	s_delay_alu instid0(SALU_CYCLE_1)
	s_and_not1_b32 vcc_lo, exec_lo, s0
	s_cbranch_vccnz .LBB142_487
; %bb.486:
	global_load_b32 v3, v[0:1], off
	s_waitcnt vmcnt(0)
	v_bfe_u32 v5, v3, 16, 1
	v_cmp_o_f32_e32 vcc_lo, v3, v3
	s_delay_alu instid0(VALU_DEP_2) | instskip(NEXT) | instid1(VALU_DEP_1)
	v_add3_u32 v5, v3, v5, 0x7fff
	v_lshrrev_b32_e32 v5, 16, v5
	s_delay_alu instid0(VALU_DEP_1)
	v_cndmask_b32_e32 v3, 0x7fc0, v5, vcc_lo
.LBB142_487:
	s_mov_b32 s0, 0
.LBB142_488:
	s_delay_alu instid0(SALU_CYCLE_1)
	s_and_not1_b32 vcc_lo, exec_lo, s0
	s_cbranch_vccnz .LBB142_490
; %bb.489:
	global_load_b32 v3, v[0:1], off
	s_waitcnt vmcnt(0)
	v_cvt_f32_f16_e32 v5, v3
	v_cmp_o_f16_e32 vcc_lo, v3, v3
	s_delay_alu instid0(VALU_DEP_2) | instskip(NEXT) | instid1(VALU_DEP_1)
	v_bfe_u32 v6, v5, 16, 1
	v_add3_u32 v5, v5, v6, 0x7fff
	s_delay_alu instid0(VALU_DEP_1) | instskip(NEXT) | instid1(VALU_DEP_1)
	v_lshrrev_b32_e32 v5, 16, v5
	v_cndmask_b32_e32 v3, 0x7fc0, v5, vcc_lo
.LBB142_490:
	s_mov_b32 s0, 0
.LBB142_491:
	s_delay_alu instid0(SALU_CYCLE_1)
	s_and_not1_b32 vcc_lo, exec_lo, s0
	s_cbranch_vccnz .LBB142_502
; %bb.492:
	v_cmp_gt_i16_e32 vcc_lo, 6, v4
	s_cbranch_vccnz .LBB142_495
; %bb.493:
	v_cmp_lt_i16_e32 vcc_lo, 6, v4
	s_cbranch_vccz .LBB142_496
; %bb.494:
	global_load_b64 v[5:6], v[0:1], off
	s_mov_b32 s0, 0
	s_waitcnt vmcnt(0)
	v_cvt_f32_f64_e32 v3, v[5:6]
	s_delay_alu instid0(VALU_DEP_1) | instskip(SKIP_1) | instid1(VALU_DEP_2)
	v_bfe_u32 v5, v3, 16, 1
	v_cmp_o_f32_e32 vcc_lo, v3, v3
	v_add3_u32 v5, v3, v5, 0x7fff
	s_delay_alu instid0(VALU_DEP_1) | instskip(NEXT) | instid1(VALU_DEP_1)
	v_lshrrev_b32_e32 v5, 16, v5
	v_cndmask_b32_e32 v3, 0x7fc0, v5, vcc_lo
	s_branch .LBB142_497
.LBB142_495:
	s_mov_b32 s0, -1
                                        ; implicit-def: $vgpr3
	s_branch .LBB142_500
.LBB142_496:
	s_mov_b32 s0, -1
                                        ; implicit-def: $vgpr3
.LBB142_497:
	s_delay_alu instid0(SALU_CYCLE_1)
	s_and_not1_b32 vcc_lo, exec_lo, s0
	s_cbranch_vccnz .LBB142_499
; %bb.498:
	global_load_b32 v3, v[0:1], off
	s_waitcnt vmcnt(0)
	v_bfe_u32 v5, v3, 16, 1
	v_cmp_o_f32_e32 vcc_lo, v3, v3
	s_delay_alu instid0(VALU_DEP_2) | instskip(NEXT) | instid1(VALU_DEP_1)
	v_add3_u32 v5, v3, v5, 0x7fff
	v_lshrrev_b32_e32 v5, 16, v5
	s_delay_alu instid0(VALU_DEP_1)
	v_cndmask_b32_e32 v3, 0x7fc0, v5, vcc_lo
.LBB142_499:
	s_mov_b32 s0, 0
.LBB142_500:
	s_delay_alu instid0(SALU_CYCLE_1)
	s_and_not1_b32 vcc_lo, exec_lo, s0
	s_cbranch_vccnz .LBB142_502
; %bb.501:
	global_load_u16 v3, v[0:1], off
	s_waitcnt vmcnt(0)
	v_cvt_f32_f16_e32 v5, v3
	v_cmp_o_f16_e32 vcc_lo, v3, v3
	s_delay_alu instid0(VALU_DEP_2) | instskip(NEXT) | instid1(VALU_DEP_1)
	v_bfe_u32 v6, v5, 16, 1
	v_add3_u32 v5, v5, v6, 0x7fff
	s_delay_alu instid0(VALU_DEP_1) | instskip(NEXT) | instid1(VALU_DEP_1)
	v_lshrrev_b32_e32 v5, 16, v5
	v_cndmask_b32_e32 v3, 0x7fc0, v5, vcc_lo
.LBB142_502:
	s_mov_b32 s0, 0
.LBB142_503:
	s_delay_alu instid0(SALU_CYCLE_1)
	s_and_not1_b32 vcc_lo, exec_lo, s0
	s_cbranch_vccnz .LBB142_523
; %bb.504:
	v_cmp_gt_i16_e32 vcc_lo, 2, v4
	s_cbranch_vccnz .LBB142_508
; %bb.505:
	v_cmp_gt_i16_e32 vcc_lo, 3, v4
	s_cbranch_vccnz .LBB142_509
; %bb.506:
	v_cmp_lt_i16_e32 vcc_lo, 3, v4
	s_cbranch_vccz .LBB142_510
; %bb.507:
	global_load_b64 v[5:6], v[0:1], off
	s_mov_b32 s0, 0
	s_waitcnt vmcnt(0)
	v_xor_b32_e32 v3, v5, v6
	v_cls_i32_e32 v7, v6
	s_delay_alu instid0(VALU_DEP_2) | instskip(NEXT) | instid1(VALU_DEP_2)
	v_ashrrev_i32_e32 v3, 31, v3
	v_add_nc_u32_e32 v7, -1, v7
	s_delay_alu instid0(VALU_DEP_2) | instskip(NEXT) | instid1(VALU_DEP_1)
	v_add_nc_u32_e32 v3, 32, v3
	v_min_u32_e32 v3, v7, v3
	s_delay_alu instid0(VALU_DEP_1) | instskip(SKIP_1) | instid1(VALU_DEP_2)
	v_lshlrev_b64 v[5:6], v3, v[5:6]
	v_sub_nc_u32_e32 v3, 32, v3
	v_min_u32_e32 v5, 1, v5
	s_delay_alu instid0(VALU_DEP_1) | instskip(NEXT) | instid1(VALU_DEP_1)
	v_or_b32_e32 v5, v6, v5
	v_cvt_f32_i32_e32 v5, v5
	s_delay_alu instid0(VALU_DEP_1) | instskip(NEXT) | instid1(VALU_DEP_1)
	v_ldexp_f32 v3, v5, v3
	v_bfe_u32 v5, v3, 16, 1
	s_delay_alu instid0(VALU_DEP_1) | instskip(NEXT) | instid1(VALU_DEP_1)
	v_add3_u32 v3, v3, v5, 0x7fff
	v_lshrrev_b32_e32 v3, 16, v3
	s_branch .LBB142_511
.LBB142_508:
	s_mov_b32 s0, -1
                                        ; implicit-def: $vgpr3
	s_branch .LBB142_517
.LBB142_509:
	s_mov_b32 s0, -1
                                        ; implicit-def: $vgpr3
	s_branch .LBB142_514
.LBB142_510:
	s_mov_b32 s0, -1
                                        ; implicit-def: $vgpr3
.LBB142_511:
	s_delay_alu instid0(SALU_CYCLE_1)
	s_and_not1_b32 vcc_lo, exec_lo, s0
	s_cbranch_vccnz .LBB142_513
; %bb.512:
	global_load_b32 v3, v[0:1], off
	s_waitcnt vmcnt(0)
	v_cvt_f32_i32_e32 v3, v3
	s_delay_alu instid0(VALU_DEP_1) | instskip(NEXT) | instid1(VALU_DEP_1)
	v_bfe_u32 v5, v3, 16, 1
	v_add3_u32 v3, v3, v5, 0x7fff
	s_delay_alu instid0(VALU_DEP_1)
	v_lshrrev_b32_e32 v3, 16, v3
.LBB142_513:
	s_mov_b32 s0, 0
.LBB142_514:
	s_delay_alu instid0(SALU_CYCLE_1)
	s_and_not1_b32 vcc_lo, exec_lo, s0
	s_cbranch_vccnz .LBB142_516
; %bb.515:
	global_load_i16 v3, v[0:1], off
	s_waitcnt vmcnt(0)
	v_cvt_f32_i32_e32 v3, v3
	s_delay_alu instid0(VALU_DEP_1) | instskip(NEXT) | instid1(VALU_DEP_1)
	v_bfe_u32 v5, v3, 16, 1
	v_add3_u32 v3, v3, v5, 0x7fff
	s_delay_alu instid0(VALU_DEP_1)
	v_lshrrev_b32_e32 v3, 16, v3
.LBB142_516:
	s_mov_b32 s0, 0
.LBB142_517:
	s_delay_alu instid0(SALU_CYCLE_1)
	s_and_not1_b32 vcc_lo, exec_lo, s0
	s_cbranch_vccnz .LBB142_523
; %bb.518:
	v_cmp_lt_i16_e32 vcc_lo, 0, v4
	s_mov_b32 s0, 0
	s_cbranch_vccz .LBB142_520
; %bb.519:
	global_load_i8 v3, v[0:1], off
	s_waitcnt vmcnt(0)
	v_cvt_f32_i32_e32 v3, v3
	s_delay_alu instid0(VALU_DEP_1) | instskip(NEXT) | instid1(VALU_DEP_1)
	v_bfe_u32 v4, v3, 16, 1
	v_add3_u32 v3, v3, v4, 0x7fff
	s_delay_alu instid0(VALU_DEP_1)
	v_lshrrev_b32_e32 v3, 16, v3
	s_branch .LBB142_521
.LBB142_520:
	s_mov_b32 s0, -1
                                        ; implicit-def: $vgpr3
.LBB142_521:
	s_delay_alu instid0(SALU_CYCLE_1)
	s_and_not1_b32 vcc_lo, exec_lo, s0
	s_cbranch_vccnz .LBB142_523
; %bb.522:
	global_load_u8 v0, v[0:1], off
	s_waitcnt vmcnt(0)
	v_cvt_f32_ubyte0_e32 v0, v0
	s_delay_alu instid0(VALU_DEP_1) | instskip(NEXT) | instid1(VALU_DEP_1)
	v_bfe_u32 v1, v0, 16, 1
	v_add3_u32 v0, v0, v1, 0x7fff
	s_delay_alu instid0(VALU_DEP_1)
	v_lshrrev_b32_e32 v3, 16, v0
.LBB142_523:
	s_branch .LBB142_391
.LBB142_524:
	s_mov_b32 s25, 0
	s_mov_b32 s0, s16
	;; [unrolled: 1-line block ×3, first 2 shown]
	s_branch .LBB142_766
.LBB142_525:
	s_or_saveexec_b32 s22, s22
                                        ; implicit-def: $sgpr23
	s_delay_alu instid0(SALU_CYCLE_1)
	s_xor_b32 exec_lo, exec_lo, s22
	s_cbranch_execz .LBB142_302
.LBB142_526:
	v_add_f32_e64 v6, 0x42800000, |v7|
	s_and_not1_b32 s18, s18, exec_lo
	s_mov_b32 s23, 0
	s_delay_alu instid0(VALU_DEP_1) | instskip(NEXT) | instid1(VALU_DEP_1)
	v_and_b32_e32 v6, 0xff, v6
	v_cmp_ne_u32_e32 vcc_lo, 0, v6
	s_and_b32 s24, vcc_lo, exec_lo
	s_delay_alu instid0(SALU_CYCLE_1)
	s_or_b32 s18, s18, s24
	s_or_b32 exec_lo, exec_lo, s22
	v_mov_b32_e32 v8, s23
	s_and_saveexec_b32 s22, s18
	s_cbranch_execnz .LBB142_303
	s_branch .LBB142_304
.LBB142_527:
	s_mov_b32 s23, -1
	s_mov_b32 s0, 0
.LBB142_528:
                                        ; implicit-def: $sgpr22
.LBB142_529:
	s_and_b32 vcc_lo, exec_lo, s25
	s_cbranch_vccz .LBB142_531
; %bb.530:
	v_cmp_eq_u16_e64 s0, 44, v4
	s_or_b32 s22, s22, exec_lo
	s_or_b32 s23, s23, exec_lo
.LBB142_531:
	s_mov_b32 s25, 0
.LBB142_532:
	s_delay_alu instid0(SALU_CYCLE_1)
	s_and_b32 vcc_lo, exec_lo, s25
	s_cbranch_vccz .LBB142_536
; %bb.533:
	v_cmp_eq_u16_e32 vcc_lo, 29, v4
	s_cbranch_vccz .LBB142_535
; %bb.534:
	global_load_b64 v[5:6], v[0:1], off
	s_mov_b32 s0, -1
	s_mov_b32 s23, 0
	s_mov_b32 s25, 0
	s_waitcnt vmcnt(0)
	v_cmp_ne_u64_e32 vcc_lo, 0, v[5:6]
	s_and_b32 s22, vcc_lo, exec_lo
	s_branch .LBB142_537
.LBB142_535:
	s_mov_b32 s23, -1
                                        ; implicit-def: $sgpr22
.LBB142_536:
	s_mov_b32 s25, 0
.LBB142_537:
	s_delay_alu instid0(SALU_CYCLE_1)
	s_and_b32 vcc_lo, exec_lo, s25
	s_cbranch_vccz .LBB142_555
; %bb.538:
	v_cmp_gt_i16_e32 vcc_lo, 27, v4
	s_cbranch_vccnz .LBB142_541
; %bb.539:
	v_cmp_lt_i16_e32 vcc_lo, 27, v4
	s_cbranch_vccz .LBB142_542
; %bb.540:
	global_load_b32 v5, v[0:1], off
	s_mov_b32 s0, 0
	s_waitcnt vmcnt(0)
	v_cmp_ne_u32_e32 vcc_lo, 0, v5
	s_and_b32 s22, vcc_lo, exec_lo
	s_branch .LBB142_543
.LBB142_541:
	s_mov_b32 s0, -1
                                        ; implicit-def: $sgpr22
	s_branch .LBB142_546
.LBB142_542:
	s_mov_b32 s0, -1
                                        ; implicit-def: $sgpr22
.LBB142_543:
	s_delay_alu instid0(SALU_CYCLE_1)
	s_and_not1_b32 vcc_lo, exec_lo, s0
	s_cbranch_vccnz .LBB142_545
; %bb.544:
	global_load_u16 v5, v[0:1], off
	s_and_not1_b32 s0, s22, exec_lo
	s_waitcnt vmcnt(0)
	v_cmp_ne_u16_e32 vcc_lo, 0, v5
	s_and_b32 s22, vcc_lo, exec_lo
	s_delay_alu instid0(SALU_CYCLE_1)
	s_or_b32 s22, s0, s22
.LBB142_545:
	s_mov_b32 s0, 0
.LBB142_546:
	s_delay_alu instid0(SALU_CYCLE_1)
	s_and_not1_b32 vcc_lo, exec_lo, s0
	s_cbranch_vccnz .LBB142_554
; %bb.547:
	global_load_u8 v5, v[0:1], off
	s_mov_b32 s0, 0
	s_mov_b32 s25, exec_lo
                                        ; implicit-def: $sgpr22
	s_waitcnt vmcnt(0)
	v_cmpx_lt_i16_e32 0x7f, v5
	s_xor_b32 s25, exec_lo, s25
	s_cbranch_execz .LBB142_568
; %bb.548:
	s_mov_b32 s0, -1
	s_mov_b32 s26, exec_lo
                                        ; implicit-def: $sgpr22
	v_cmpx_eq_u16_e32 0x80, v5
; %bb.549:
	s_mov_b32 s22, -1
	s_xor_b32 s0, exec_lo, -1
; %bb.550:
	s_or_b32 exec_lo, exec_lo, s26
	s_delay_alu instid0(SALU_CYCLE_1)
	s_and_b32 s0, s0, exec_lo
	s_and_not1_saveexec_b32 s25, s25
	s_cbranch_execnz .LBB142_569
.LBB142_551:
	s_or_b32 exec_lo, exec_lo, s25
	s_and_saveexec_b32 s25, s0
	s_cbranch_execz .LBB142_553
.LBB142_552:
	v_and_b32_e32 v5, 0xffff, v5
	s_and_not1_b32 s0, s22, exec_lo
	s_delay_alu instid0(VALU_DEP_1) | instskip(NEXT) | instid1(VALU_DEP_1)
	v_and_b32_e32 v6, 7, v5
	v_clz_i32_u32_e32 v7, v6
	s_delay_alu instid0(VALU_DEP_1) | instskip(NEXT) | instid1(VALU_DEP_1)
	v_min_u32_e32 v7, 32, v7
	v_subrev_nc_u32_e32 v8, 28, v7
	v_sub_nc_u32_e32 v7, 29, v7
	s_delay_alu instid0(VALU_DEP_2) | instskip(SKIP_1) | instid1(VALU_DEP_2)
	v_lshlrev_b32_e32 v8, v8, v5
	v_bfe_u32 v5, v5, 3, 4
	v_and_b32_e32 v8, 7, v8
	s_delay_alu instid0(VALU_DEP_2) | instskip(NEXT) | instid1(VALU_DEP_2)
	v_cmp_eq_u32_e32 vcc_lo, 0, v5
	v_dual_cndmask_b32 v5, v5, v7 :: v_dual_cndmask_b32 v6, v6, v8
	s_delay_alu instid0(VALU_DEP_1) | instskip(NEXT) | instid1(VALU_DEP_2)
	v_lshl_add_u32 v5, v5, 23, 0x3b800000
	v_lshlrev_b32_e32 v6, 20, v6
	s_delay_alu instid0(VALU_DEP_1) | instskip(NEXT) | instid1(VALU_DEP_1)
	v_and_or_b32 v5, 0x7f800000, v5, v6
	v_cmp_ne_u32_e32 vcc_lo, 0, v5
	s_and_b32 s22, vcc_lo, exec_lo
	s_delay_alu instid0(SALU_CYCLE_1)
	s_or_b32 s22, s0, s22
.LBB142_553:
	s_or_b32 exec_lo, exec_lo, s25
.LBB142_554:
	s_mov_b32 s0, -1
.LBB142_555:
	s_mov_b32 s25, 0
.LBB142_556:
	s_delay_alu instid0(SALU_CYCLE_1)
	s_and_b32 vcc_lo, exec_lo, s25
	s_cbranch_vccz .LBB142_591
; %bb.557:
	v_cmp_lt_i16_e32 vcc_lo, 22, v4
	s_cbranch_vccz .LBB142_567
; %bb.558:
	v_cmp_gt_i16_e32 vcc_lo, 24, v4
	s_cbranch_vccnz .LBB142_570
; %bb.559:
	v_cmp_lt_i16_e32 vcc_lo, 24, v4
	s_cbranch_vccz .LBB142_571
; %bb.560:
	global_load_u8 v5, v[0:1], off
	s_mov_b32 s0, 0
	s_mov_b32 s25, exec_lo
                                        ; implicit-def: $sgpr22
	s_waitcnt vmcnt(0)
	v_cmpx_lt_i16_e32 0x7f, v5
	s_xor_b32 s25, exec_lo, s25
	s_cbranch_execz .LBB142_583
; %bb.561:
	s_mov_b32 s0, -1
	s_mov_b32 s26, exec_lo
                                        ; implicit-def: $sgpr22
	v_cmpx_eq_u16_e32 0x80, v5
; %bb.562:
	s_mov_b32 s22, -1
	s_xor_b32 s0, exec_lo, -1
; %bb.563:
	s_or_b32 exec_lo, exec_lo, s26
	s_delay_alu instid0(SALU_CYCLE_1)
	s_and_b32 s0, s0, exec_lo
	s_and_not1_saveexec_b32 s25, s25
	s_cbranch_execnz .LBB142_584
.LBB142_564:
	s_or_b32 exec_lo, exec_lo, s25
	s_and_saveexec_b32 s25, s0
	s_cbranch_execz .LBB142_566
.LBB142_565:
	v_and_b32_e32 v5, 0xffff, v5
	s_and_not1_b32 s0, s22, exec_lo
	s_delay_alu instid0(VALU_DEP_1) | instskip(NEXT) | instid1(VALU_DEP_1)
	v_and_b32_e32 v6, 3, v5
	v_clz_i32_u32_e32 v7, v6
	s_delay_alu instid0(VALU_DEP_1) | instskip(NEXT) | instid1(VALU_DEP_1)
	v_min_u32_e32 v7, 32, v7
	v_subrev_nc_u32_e32 v8, 29, v7
	v_sub_nc_u32_e32 v7, 30, v7
	s_delay_alu instid0(VALU_DEP_2) | instskip(SKIP_1) | instid1(VALU_DEP_2)
	v_lshlrev_b32_e32 v8, v8, v5
	v_bfe_u32 v5, v5, 2, 5
	v_and_b32_e32 v8, 3, v8
	s_delay_alu instid0(VALU_DEP_2) | instskip(NEXT) | instid1(VALU_DEP_2)
	v_cmp_eq_u32_e32 vcc_lo, 0, v5
	v_dual_cndmask_b32 v5, v5, v7 :: v_dual_cndmask_b32 v6, v6, v8
	s_delay_alu instid0(VALU_DEP_1) | instskip(NEXT) | instid1(VALU_DEP_2)
	v_lshl_add_u32 v5, v5, 23, 0x37800000
	v_lshlrev_b32_e32 v6, 21, v6
	s_delay_alu instid0(VALU_DEP_1) | instskip(NEXT) | instid1(VALU_DEP_1)
	v_and_or_b32 v5, 0x7f800000, v5, v6
	v_cmp_ne_u32_e32 vcc_lo, 0, v5
	s_and_b32 s22, vcc_lo, exec_lo
	s_delay_alu instid0(SALU_CYCLE_1)
	s_or_b32 s22, s0, s22
.LBB142_566:
	s_or_b32 exec_lo, exec_lo, s25
	s_mov_b32 s0, 0
	s_branch .LBB142_572
.LBB142_567:
	s_mov_b32 s25, -1
                                        ; implicit-def: $sgpr22
	s_branch .LBB142_578
.LBB142_568:
	s_and_not1_saveexec_b32 s25, s25
	s_cbranch_execz .LBB142_551
.LBB142_569:
	v_cmp_ne_u16_e32 vcc_lo, 0, v5
	s_and_not1_b32 s0, s0, exec_lo
	s_and_not1_b32 s22, s22, exec_lo
	s_and_b32 s26, vcc_lo, exec_lo
	s_delay_alu instid0(SALU_CYCLE_1)
	s_or_b32 s0, s0, s26
	s_or_b32 exec_lo, exec_lo, s25
	s_and_saveexec_b32 s25, s0
	s_cbranch_execnz .LBB142_552
	s_branch .LBB142_553
.LBB142_570:
	s_mov_b32 s0, -1
                                        ; implicit-def: $sgpr22
	s_branch .LBB142_575
.LBB142_571:
	s_mov_b32 s0, -1
                                        ; implicit-def: $sgpr22
.LBB142_572:
	s_delay_alu instid0(SALU_CYCLE_1)
	s_and_b32 vcc_lo, exec_lo, s0
	s_cbranch_vccz .LBB142_574
; %bb.573:
	global_load_u8 v5, v[0:1], off
	s_and_not1_b32 s22, s22, exec_lo
	s_waitcnt vmcnt(0)
	v_lshlrev_b32_e32 v5, 24, v5
	s_delay_alu instid0(VALU_DEP_1) | instskip(NEXT) | instid1(VALU_DEP_1)
	v_and_b32_e32 v5, 0x7f000000, v5
	v_clz_i32_u32_e32 v6, v5
	v_add_nc_u32_e32 v8, 0x1000000, v5
	v_cmp_ne_u32_e32 vcc_lo, 0, v5
	s_delay_alu instid0(VALU_DEP_3) | instskip(NEXT) | instid1(VALU_DEP_3)
	v_min_u32_e32 v6, 32, v6
	v_ashrrev_i32_e32 v8, 8, v8
	s_delay_alu instid0(VALU_DEP_2) | instskip(NEXT) | instid1(VALU_DEP_1)
	v_sub_nc_u32_e64 v6, v6, 4 clamp
	v_lshlrev_b32_e32 v7, v6, v5
	v_lshlrev_b32_e32 v6, 23, v6
	s_delay_alu instid0(VALU_DEP_2) | instskip(NEXT) | instid1(VALU_DEP_1)
	v_lshrrev_b32_e32 v7, 4, v7
	v_sub_nc_u32_e32 v6, v7, v6
	v_and_b32_e32 v7, 0x7f800000, v8
	s_delay_alu instid0(VALU_DEP_2) | instskip(NEXT) | instid1(VALU_DEP_1)
	v_add_nc_u32_e32 v6, 0x3c000000, v6
	v_and_or_b32 v6, 0x7ff00000, v6, v7
	s_delay_alu instid0(VALU_DEP_1) | instskip(NEXT) | instid1(VALU_DEP_1)
	v_cmp_ne_u32_e64 s0, 0, v6
	s_and_b32 s0, vcc_lo, s0
	s_delay_alu instid0(SALU_CYCLE_1) | instskip(NEXT) | instid1(SALU_CYCLE_1)
	s_and_b32 s0, s0, exec_lo
	s_or_b32 s22, s22, s0
.LBB142_574:
	s_mov_b32 s0, 0
.LBB142_575:
	s_delay_alu instid0(SALU_CYCLE_1)
	s_and_not1_b32 vcc_lo, exec_lo, s0
	s_cbranch_vccnz .LBB142_577
; %bb.576:
	global_load_u8 v5, v[0:1], off
	s_and_not1_b32 s0, s22, exec_lo
	s_waitcnt vmcnt(0)
	v_lshlrev_b32_e32 v6, 25, v5
	v_lshlrev_b32_e32 v5, 8, v5
	s_delay_alu instid0(VALU_DEP_2) | instskip(NEXT) | instid1(VALU_DEP_2)
	v_lshrrev_b32_e32 v7, 4, v6
	v_and_or_b32 v5, 0x7f00, v5, 0.5
	s_delay_alu instid0(VALU_DEP_2) | instskip(NEXT) | instid1(VALU_DEP_2)
	v_or_b32_e32 v7, 0x70000000, v7
	v_add_f32_e32 v5, -0.5, v5
	s_delay_alu instid0(VALU_DEP_2) | instskip(SKIP_1) | instid1(VALU_DEP_2)
	v_mul_f32_e32 v7, 0x7800000, v7
	v_cmp_gt_u32_e32 vcc_lo, 0x8000000, v6
	v_cndmask_b32_e32 v5, v7, v5, vcc_lo
	s_delay_alu instid0(VALU_DEP_1) | instskip(SKIP_1) | instid1(SALU_CYCLE_1)
	v_cmp_neq_f32_e32 vcc_lo, 0, v5
	s_and_b32 s22, vcc_lo, exec_lo
	s_or_b32 s22, s0, s22
.LBB142_577:
	s_mov_b32 s25, 0
	s_mov_b32 s0, -1
.LBB142_578:
	s_and_not1_b32 vcc_lo, exec_lo, s25
	s_cbranch_vccnz .LBB142_591
; %bb.579:
	v_cmp_lt_i16_e32 vcc_lo, 14, v4
	s_cbranch_vccz .LBB142_582
; %bb.580:
	v_cmp_eq_u16_e32 vcc_lo, 15, v4
	s_cbranch_vccz .LBB142_585
; %bb.581:
	global_load_u16 v5, v[0:1], off
	s_mov_b32 s23, 0
	s_mov_b32 s0, -1
	s_waitcnt vmcnt(0)
	v_and_b32_e32 v5, 0x7fff, v5
	s_delay_alu instid0(VALU_DEP_1)
	v_cmp_ne_u16_e32 vcc_lo, 0, v5
	s_and_b32 s22, vcc_lo, exec_lo
	s_branch .LBB142_586
.LBB142_582:
	s_mov_b32 s25, -1
                                        ; implicit-def: $sgpr22
	s_branch .LBB142_587
.LBB142_583:
	s_and_not1_saveexec_b32 s25, s25
	s_cbranch_execz .LBB142_564
.LBB142_584:
	v_cmp_ne_u16_e32 vcc_lo, 0, v5
	s_and_not1_b32 s0, s0, exec_lo
	s_and_not1_b32 s22, s22, exec_lo
	s_and_b32 s26, vcc_lo, exec_lo
	s_delay_alu instid0(SALU_CYCLE_1)
	s_or_b32 s0, s0, s26
	s_or_b32 exec_lo, exec_lo, s25
	s_and_saveexec_b32 s25, s0
	s_cbranch_execnz .LBB142_565
	s_branch .LBB142_566
.LBB142_585:
	s_mov_b32 s23, -1
                                        ; implicit-def: $sgpr22
.LBB142_586:
	s_mov_b32 s25, 0
.LBB142_587:
	s_delay_alu instid0(SALU_CYCLE_1)
	s_and_b32 vcc_lo, exec_lo, s25
	s_cbranch_vccz .LBB142_591
; %bb.588:
	v_cmp_eq_u16_e32 vcc_lo, 11, v4
	s_cbranch_vccz .LBB142_590
; %bb.589:
	global_load_u8 v5, v[0:1], off
	s_mov_b32 s23, 0
	s_mov_b32 s0, -1
	s_waitcnt vmcnt(0)
	v_cmp_ne_u16_e32 vcc_lo, 0, v5
	s_and_b32 s22, vcc_lo, exec_lo
	s_branch .LBB142_591
.LBB142_590:
	s_mov_b32 s23, -1
                                        ; implicit-def: $sgpr22
.LBB142_591:
	s_mov_b32 s25, 0
.LBB142_592:
	s_delay_alu instid0(SALU_CYCLE_1)
	s_and_b32 vcc_lo, exec_lo, s25
	s_cbranch_vccz .LBB142_641
; %bb.593:
	v_cmp_gt_i16_e32 vcc_lo, 5, v4
	s_cbranch_vccnz .LBB142_598
; %bb.594:
	v_cmp_gt_i16_e32 vcc_lo, 8, v4
	s_cbranch_vccnz .LBB142_599
	;; [unrolled: 3-line block ×3, first 2 shown]
; %bb.596:
	v_cmp_lt_i16_e32 vcc_lo, 9, v4
	s_cbranch_vccz .LBB142_601
; %bb.597:
	global_load_b128 v[5:8], v[0:1], off
	s_waitcnt vmcnt(0)
	v_cmp_neq_f64_e32 vcc_lo, 0, v[5:6]
	v_cmp_neq_f64_e64 s0, 0, v[7:8]
	s_delay_alu instid0(VALU_DEP_1)
	s_or_b32 s22, vcc_lo, s0
	s_mov_b32 s0, 0
	s_and_b32 s22, s22, exec_lo
	s_branch .LBB142_602
.LBB142_598:
	s_mov_b32 s0, -1
                                        ; implicit-def: $sgpr22
	s_branch .LBB142_620
.LBB142_599:
	s_mov_b32 s0, -1
                                        ; implicit-def: $sgpr22
	s_branch .LBB142_608
.LBB142_600:
	s_mov_b32 s0, -1
                                        ; implicit-def: $sgpr22
	s_branch .LBB142_605
.LBB142_601:
	s_mov_b32 s0, -1
                                        ; implicit-def: $sgpr22
.LBB142_602:
	s_delay_alu instid0(SALU_CYCLE_1)
	s_and_not1_b32 vcc_lo, exec_lo, s0
	s_cbranch_vccnz .LBB142_604
; %bb.603:
	global_load_b64 v[5:6], v[0:1], off
	s_and_not1_b32 s0, s22, exec_lo
	s_waitcnt vmcnt(0)
	v_or_b32_e32 v5, v5, v6
	s_delay_alu instid0(VALU_DEP_1) | instskip(NEXT) | instid1(VALU_DEP_1)
	v_and_b32_e32 v5, 0x7fffffff, v5
	v_cmp_ne_u32_e32 vcc_lo, 0, v5
	s_and_b32 s22, vcc_lo, exec_lo
	s_delay_alu instid0(SALU_CYCLE_1)
	s_or_b32 s22, s0, s22
.LBB142_604:
	s_mov_b32 s0, 0
.LBB142_605:
	s_delay_alu instid0(SALU_CYCLE_1)
	s_and_not1_b32 vcc_lo, exec_lo, s0
	s_cbranch_vccnz .LBB142_607
; %bb.606:
	global_load_b32 v5, v[0:1], off
	s_and_not1_b32 s0, s22, exec_lo
	s_waitcnt vmcnt(0)
	v_and_b32_e32 v5, 0x7fff7fff, v5
	s_delay_alu instid0(VALU_DEP_1) | instskip(SKIP_1) | instid1(SALU_CYCLE_1)
	v_cmp_ne_u32_e32 vcc_lo, 0, v5
	s_and_b32 s22, vcc_lo, exec_lo
	s_or_b32 s22, s0, s22
.LBB142_607:
	s_mov_b32 s0, 0
.LBB142_608:
	s_delay_alu instid0(SALU_CYCLE_1)
	s_and_not1_b32 vcc_lo, exec_lo, s0
	s_cbranch_vccnz .LBB142_619
; %bb.609:
	v_cmp_gt_i16_e32 vcc_lo, 6, v4
	s_cbranch_vccnz .LBB142_612
; %bb.610:
	v_cmp_lt_i16_e32 vcc_lo, 6, v4
	s_cbranch_vccz .LBB142_613
; %bb.611:
	global_load_b64 v[5:6], v[0:1], off
	s_mov_b32 s0, 0
	s_waitcnt vmcnt(0)
	v_cmp_neq_f64_e32 vcc_lo, 0, v[5:6]
	s_and_b32 s22, vcc_lo, exec_lo
	s_branch .LBB142_614
.LBB142_612:
	s_mov_b32 s0, -1
                                        ; implicit-def: $sgpr22
	s_branch .LBB142_617
.LBB142_613:
	s_mov_b32 s0, -1
                                        ; implicit-def: $sgpr22
.LBB142_614:
	s_delay_alu instid0(SALU_CYCLE_1)
	s_and_not1_b32 vcc_lo, exec_lo, s0
	s_cbranch_vccnz .LBB142_616
; %bb.615:
	global_load_b32 v5, v[0:1], off
	s_and_not1_b32 s0, s22, exec_lo
	s_waitcnt vmcnt(0)
	v_cmp_neq_f32_e32 vcc_lo, 0, v5
	s_and_b32 s22, vcc_lo, exec_lo
	s_delay_alu instid0(SALU_CYCLE_1)
	s_or_b32 s22, s0, s22
.LBB142_616:
	s_mov_b32 s0, 0
.LBB142_617:
	s_delay_alu instid0(SALU_CYCLE_1)
	s_and_not1_b32 vcc_lo, exec_lo, s0
	s_cbranch_vccnz .LBB142_619
; %bb.618:
	global_load_u16 v5, v[0:1], off
	s_and_not1_b32 s0, s22, exec_lo
	s_waitcnt vmcnt(0)
	v_and_b32_e32 v5, 0x7fff, v5
	s_delay_alu instid0(VALU_DEP_1) | instskip(SKIP_1) | instid1(SALU_CYCLE_1)
	v_cmp_ne_u16_e32 vcc_lo, 0, v5
	s_and_b32 s22, vcc_lo, exec_lo
	s_or_b32 s22, s0, s22
.LBB142_619:
	s_mov_b32 s0, 0
.LBB142_620:
	s_delay_alu instid0(SALU_CYCLE_1)
	s_and_not1_b32 vcc_lo, exec_lo, s0
	s_cbranch_vccnz .LBB142_640
; %bb.621:
	v_cmp_gt_i16_e32 vcc_lo, 2, v4
	s_cbranch_vccnz .LBB142_625
; %bb.622:
	v_cmp_gt_i16_e32 vcc_lo, 3, v4
	s_cbranch_vccnz .LBB142_626
; %bb.623:
	v_cmp_lt_i16_e32 vcc_lo, 3, v4
	s_cbranch_vccz .LBB142_627
; %bb.624:
	global_load_b64 v[5:6], v[0:1], off
	s_mov_b32 s0, 0
	s_waitcnt vmcnt(0)
	v_cmp_ne_u64_e32 vcc_lo, 0, v[5:6]
	s_and_b32 s22, vcc_lo, exec_lo
	s_branch .LBB142_628
.LBB142_625:
	s_mov_b32 s0, -1
                                        ; implicit-def: $sgpr22
	s_branch .LBB142_634
.LBB142_626:
	s_mov_b32 s0, -1
                                        ; implicit-def: $sgpr22
	s_branch .LBB142_631
.LBB142_627:
	s_mov_b32 s0, -1
                                        ; implicit-def: $sgpr22
.LBB142_628:
	s_delay_alu instid0(SALU_CYCLE_1)
	s_and_not1_b32 vcc_lo, exec_lo, s0
	s_cbranch_vccnz .LBB142_630
; %bb.629:
	global_load_b32 v5, v[0:1], off
	s_and_not1_b32 s0, s22, exec_lo
	s_waitcnt vmcnt(0)
	v_cmp_ne_u32_e32 vcc_lo, 0, v5
	s_and_b32 s22, vcc_lo, exec_lo
	s_delay_alu instid0(SALU_CYCLE_1)
	s_or_b32 s22, s0, s22
.LBB142_630:
	s_mov_b32 s0, 0
.LBB142_631:
	s_delay_alu instid0(SALU_CYCLE_1)
	s_and_not1_b32 vcc_lo, exec_lo, s0
	s_cbranch_vccnz .LBB142_633
; %bb.632:
	global_load_u16 v5, v[0:1], off
	s_and_not1_b32 s0, s22, exec_lo
	s_waitcnt vmcnt(0)
	v_cmp_ne_u16_e32 vcc_lo, 0, v5
	s_and_b32 s22, vcc_lo, exec_lo
	s_delay_alu instid0(SALU_CYCLE_1)
	s_or_b32 s22, s0, s22
.LBB142_633:
	s_mov_b32 s0, 0
.LBB142_634:
	s_delay_alu instid0(SALU_CYCLE_1)
	s_and_not1_b32 vcc_lo, exec_lo, s0
	s_cbranch_vccnz .LBB142_640
; %bb.635:
	v_cmp_lt_i16_e32 vcc_lo, 0, v4
	s_mov_b32 s0, 0
	s_cbranch_vccz .LBB142_637
; %bb.636:
	global_load_u8 v4, v[0:1], off
	s_waitcnt vmcnt(0)
	v_cmp_ne_u16_e32 vcc_lo, 0, v4
	s_and_b32 s22, vcc_lo, exec_lo
	s_branch .LBB142_638
.LBB142_637:
	s_mov_b32 s0, -1
                                        ; implicit-def: $sgpr22
.LBB142_638:
	s_delay_alu instid0(SALU_CYCLE_1)
	s_and_not1_b32 vcc_lo, exec_lo, s0
	s_cbranch_vccnz .LBB142_640
; %bb.639:
	global_load_u8 v0, v[0:1], off
	s_and_not1_b32 s0, s22, exec_lo
	s_waitcnt vmcnt(0)
	v_cmp_ne_u16_e32 vcc_lo, 0, v0
	s_and_b32 s22, vcc_lo, exec_lo
	s_delay_alu instid0(SALU_CYCLE_1)
	s_or_b32 s22, s0, s22
.LBB142_640:
	s_mov_b32 s0, -1
.LBB142_641:
	s_delay_alu instid0(SALU_CYCLE_1)
	s_and_not1_b32 vcc_lo, exec_lo, s0
	s_cbranch_vccnz .LBB142_649
; %bb.642:
	v_cndmask_b32_e64 v0, 0, 1.0, s22
	s_waitcnt vmcnt(0)
	v_lshlrev_b32_e32 v1, 16, v3
	v_and_b32_e64 v4, 0xff, s12
	s_delay_alu instid0(VALU_DEP_2) | instskip(SKIP_1) | instid1(VALU_DEP_3)
	v_mul_f32_e32 v0, v1, v0
	v_mul_lo_u32 v1, v2, s8
	v_cmp_gt_i16_e32 vcc_lo, 11, v4
	s_delay_alu instid0(VALU_DEP_3) | instskip(SKIP_1) | instid1(VALU_DEP_3)
	v_mul_f32_e32 v3, s11, v0
	s_and_b32 vcc_lo, exec_lo, vcc_lo
	v_ashrrev_i32_e32 v5, 31, v1
	s_delay_alu instid0(VALU_DEP_2) | instskip(NEXT) | instid1(VALU_DEP_1)
	v_bfe_u32 v0, v3, 16, 1
	v_add3_u32 v0, v3, v0, 0x7fff
	s_delay_alu instid0(VALU_DEP_1) | instskip(SKIP_1) | instid1(VALU_DEP_1)
	v_lshrrev_b32_e32 v6, 16, v0
	v_add_co_u32 v0, s0, s4, v1
	v_add_co_ci_u32_e64 v1, s0, s5, v5, s0
	v_cmp_o_f32_e64 s0, v3, v3
	s_delay_alu instid0(VALU_DEP_1)
	v_cndmask_b32_e64 v3, 0x7fc0, v6, s0
	s_cbranch_vccnz .LBB142_650
; %bb.643:
	v_cmp_lt_i16_e32 vcc_lo, 25, v4
	s_cbranch_vccz .LBB142_651
; %bb.644:
	v_cmp_lt_i16_e32 vcc_lo, 28, v4
	s_cbranch_vccz .LBB142_652
	;; [unrolled: 3-line block ×4, first 2 shown]
; %bb.647:
	v_cmp_eq_u16_e32 vcc_lo, 46, v4
	s_mov_b32 s23, 0
	s_mov_b32 s0, -1
	s_mov_b32 s22, 0
	s_cbranch_vccz .LBB142_655
; %bb.648:
	v_and_b32_e32 v5, 0xffff, v3
	s_mov_b32 s22, -1
	s_mov_b32 s0, 0
	global_store_b32 v[0:1], v5, off
	s_branch .LBB142_655
.LBB142_649:
	s_mov_b32 s25, 0
	s_mov_b32 s0, s16
	s_branch .LBB142_766
.LBB142_650:
	s_mov_b32 s23, -1
	s_mov_b32 s22, 0
	s_mov_b32 s0, s16
	s_branch .LBB142_724
.LBB142_651:
	s_mov_b32 s23, -1
	s_mov_b32 s22, 0
	s_mov_b32 s0, s16
	s_branch .LBB142_682
.LBB142_652:
	s_mov_b32 s23, -1
	s_mov_b32 s22, 0
	s_mov_b32 s0, s16
	s_branch .LBB142_665
.LBB142_653:
	s_mov_b32 s23, -1
	s_mov_b32 s22, 0
	s_mov_b32 s0, s16
	s_branch .LBB142_661
.LBB142_654:
	s_mov_b32 s23, -1
	s_mov_b32 s22, 0
	s_mov_b32 s0, s16
.LBB142_655:
	s_and_b32 vcc_lo, exec_lo, s23
	s_cbranch_vccz .LBB142_660
; %bb.656:
	v_cmp_eq_u16_e32 vcc_lo, 44, v4
	s_mov_b32 s0, -1
	s_cbranch_vccz .LBB142_660
; %bb.657:
	v_and_b32_e32 v5, 0xffff, v3
	v_mov_b32_e32 v6, 0xff
	s_mov_b32 s22, exec_lo
	s_delay_alu instid0(VALU_DEP_2) | instskip(NEXT) | instid1(VALU_DEP_1)
	v_bfe_u32 v7, v5, 7, 8
	v_cmpx_ne_u32_e32 0xff, v7
; %bb.658:
	v_lshlrev_b32_e32 v6, 16, v5
	v_and_b32_e32 v8, 64, v5
	v_lshrrev_b32_e32 v5, 7, v5
	s_delay_alu instid0(VALU_DEP_3) | instskip(NEXT) | instid1(VALU_DEP_3)
	v_and_or_b32 v6, 0x3f0000, v6, v7
	v_cmp_ne_u32_e32 vcc_lo, 0, v8
	s_delay_alu instid0(VALU_DEP_2) | instskip(NEXT) | instid1(VALU_DEP_1)
	v_cmp_ne_u32_e64 s0, 0, v6
	s_and_b32 s0, vcc_lo, s0
	s_delay_alu instid0(SALU_CYCLE_1) | instskip(NEXT) | instid1(VALU_DEP_1)
	v_cndmask_b32_e64 v6, 0, 1, s0
	v_add_nc_u32_e32 v6, v5, v6
; %bb.659:
	s_or_b32 exec_lo, exec_lo, s22
	s_mov_b32 s22, -1
	s_mov_b32 s0, 0
	global_store_b8 v[0:1], v6, off
.LBB142_660:
	s_mov_b32 s23, 0
.LBB142_661:
	s_delay_alu instid0(SALU_CYCLE_1)
	s_and_b32 vcc_lo, exec_lo, s23
	s_cbranch_vccz .LBB142_664
; %bb.662:
	v_cmp_eq_u16_e32 vcc_lo, 29, v4
	s_mov_b32 s0, -1
	s_cbranch_vccz .LBB142_664
; %bb.663:
	v_lshlrev_b32_e32 v5, 16, v3
	s_mov_b32 s22, -1
	s_mov_b32 s0, 0
	s_mov_b32 s23, 0
	s_delay_alu instid0(VALU_DEP_1) | instskip(NEXT) | instid1(VALU_DEP_1)
	v_trunc_f32_e32 v5, v5
	v_mul_f32_e32 v6, 0x2f800000, v5
	s_delay_alu instid0(VALU_DEP_1) | instskip(NEXT) | instid1(VALU_DEP_1)
	v_floor_f32_e32 v6, v6
	v_fmamk_f32 v5, v6, 0xcf800000, v5
	v_cvt_u32_f32_e32 v6, v6
	s_delay_alu instid0(VALU_DEP_2)
	v_cvt_u32_f32_e32 v5, v5
	global_store_b64 v[0:1], v[5:6], off
	s_branch .LBB142_665
.LBB142_664:
	s_mov_b32 s23, 0
.LBB142_665:
	s_delay_alu instid0(SALU_CYCLE_1)
	s_and_b32 vcc_lo, exec_lo, s23
	s_cbranch_vccz .LBB142_681
; %bb.666:
	v_cmp_gt_i16_e32 vcc_lo, 27, v4
	s_mov_b32 s22, -1
	s_cbranch_vccnz .LBB142_672
; %bb.667:
	v_cmp_lt_i16_e32 vcc_lo, 27, v4
	s_cbranch_vccz .LBB142_669
; %bb.668:
	v_lshlrev_b32_e32 v5, 16, v3
	s_mov_b32 s22, 0
	s_delay_alu instid0(VALU_DEP_1)
	v_cvt_u32_f32_e32 v5, v5
	global_store_b32 v[0:1], v5, off
.LBB142_669:
	s_and_not1_b32 vcc_lo, exec_lo, s22
	s_cbranch_vccnz .LBB142_671
; %bb.670:
	v_lshlrev_b32_e32 v5, 16, v3
	s_delay_alu instid0(VALU_DEP_1)
	v_cvt_u32_f32_e32 v5, v5
	global_store_b16 v[0:1], v5, off
.LBB142_671:
	s_mov_b32 s22, 0
.LBB142_672:
	s_delay_alu instid0(SALU_CYCLE_1)
	s_and_not1_b32 vcc_lo, exec_lo, s22
	s_cbranch_vccnz .LBB142_680
; %bb.673:
	v_dual_mov_b32 v8, 0x80 :: v_dual_lshlrev_b32 v7, 16, v3
	s_mov_b32 s22, exec_lo
	s_delay_alu instid0(VALU_DEP_1) | instskip(NEXT) | instid1(VALU_DEP_1)
	v_and_b32_e32 v6, 0x7fffffff, v7
	v_cmpx_gt_u32_e32 0x43800000, v6
	s_cbranch_execz .LBB142_679
; %bb.674:
	v_and_b32_e32 v5, 0xffff, v3
	v_cmp_lt_u32_e32 vcc_lo, 0x3bffffff, v6
	s_mov_b32 s23, 0
                                        ; implicit-def: $vgpr6
	s_and_saveexec_b32 s25, vcc_lo
	s_delay_alu instid0(SALU_CYCLE_1)
	s_xor_b32 s25, exec_lo, s25
	s_cbranch_execz .LBB142_782
; %bb.675:
	v_bfe_u32 v6, v5, 4, 1
	s_mov_b32 s23, exec_lo
	s_delay_alu instid0(VALU_DEP_1) | instskip(NEXT) | instid1(VALU_DEP_1)
	v_add3_u32 v6, v7, v6, 0x487ffff
                                        ; implicit-def: $vgpr7
	v_lshrrev_b32_e32 v6, 20, v6
	s_or_saveexec_b32 s25, s25
                                        ; implicit-def: $sgpr26
	s_delay_alu instid0(SALU_CYCLE_1)
	s_xor_b32 exec_lo, exec_lo, s25
	s_cbranch_execnz .LBB142_783
.LBB142_676:
	s_or_b32 exec_lo, exec_lo, s25
	v_mov_b32_e32 v8, s26
	s_and_saveexec_b32 s25, s23
.LBB142_677:
	v_lshrrev_b32_e32 v5, 8, v5
	s_delay_alu instid0(VALU_DEP_1)
	v_and_or_b32 v8, 0x80, v5, v6
.LBB142_678:
	s_or_b32 exec_lo, exec_lo, s25
.LBB142_679:
	s_delay_alu instid0(SALU_CYCLE_1)
	s_or_b32 exec_lo, exec_lo, s22
	global_store_b8 v[0:1], v8, off
.LBB142_680:
	s_mov_b32 s22, -1
.LBB142_681:
	s_mov_b32 s23, 0
.LBB142_682:
	s_delay_alu instid0(SALU_CYCLE_1)
	s_and_b32 vcc_lo, exec_lo, s23
	s_cbranch_vccz .LBB142_723
; %bb.683:
	v_cmp_lt_i16_e32 vcc_lo, 22, v4
	s_mov_b32 s23, -1
	s_cbranch_vccz .LBB142_715
; %bb.684:
	v_cmp_gt_i16_e32 vcc_lo, 24, v4
	s_mov_b32 s22, -1
	s_cbranch_vccnz .LBB142_704
; %bb.685:
	v_cmp_lt_i16_e32 vcc_lo, 24, v4
	s_cbranch_vccz .LBB142_693
; %bb.686:
	v_dual_mov_b32 v8, 0x80 :: v_dual_lshlrev_b32 v7, 16, v3
	s_mov_b32 s22, exec_lo
	s_delay_alu instid0(VALU_DEP_1) | instskip(NEXT) | instid1(VALU_DEP_1)
	v_and_b32_e32 v6, 0x7fffffff, v7
	v_cmpx_gt_u32_e32 0x47800000, v6
	s_cbranch_execz .LBB142_692
; %bb.687:
	v_and_b32_e32 v5, 0xffff, v3
	v_cmp_lt_u32_e32 vcc_lo, 0x37ffffff, v6
	s_mov_b32 s23, 0
                                        ; implicit-def: $vgpr6
	s_and_saveexec_b32 s25, vcc_lo
	s_delay_alu instid0(SALU_CYCLE_1)
	s_xor_b32 s25, exec_lo, s25
	s_cbranch_execz .LBB142_914
; %bb.688:
	v_bfe_u32 v6, v5, 5, 1
	s_mov_b32 s23, exec_lo
	s_delay_alu instid0(VALU_DEP_1) | instskip(NEXT) | instid1(VALU_DEP_1)
	v_add3_u32 v6, v7, v6, 0x88fffff
                                        ; implicit-def: $vgpr7
	v_lshrrev_b32_e32 v6, 21, v6
	s_or_saveexec_b32 s25, s25
                                        ; implicit-def: $sgpr26
	s_delay_alu instid0(SALU_CYCLE_1)
	s_xor_b32 exec_lo, exec_lo, s25
	s_cbranch_execnz .LBB142_915
.LBB142_689:
	s_or_b32 exec_lo, exec_lo, s25
	v_mov_b32_e32 v8, s26
	s_and_saveexec_b32 s25, s23
.LBB142_690:
	v_lshrrev_b32_e32 v5, 8, v5
	s_delay_alu instid0(VALU_DEP_1)
	v_and_or_b32 v8, 0x80, v5, v6
.LBB142_691:
	s_or_b32 exec_lo, exec_lo, s25
.LBB142_692:
	s_delay_alu instid0(SALU_CYCLE_1)
	s_or_b32 exec_lo, exec_lo, s22
	s_mov_b32 s22, 0
	global_store_b8 v[0:1], v8, off
.LBB142_693:
	s_and_b32 vcc_lo, exec_lo, s22
	s_cbranch_vccz .LBB142_703
; %bb.694:
	v_lshlrev_b32_e32 v7, 16, v3
	v_and_b32_e32 v5, 0xffff, v3
	s_mov_b32 s22, exec_lo
                                        ; implicit-def: $vgpr6
	s_delay_alu instid0(VALU_DEP_2) | instskip(NEXT) | instid1(VALU_DEP_1)
	v_and_b32_e32 v8, 0x7fffffff, v7
	v_cmpx_gt_u32_e32 0x43f00000, v8
	s_xor_b32 s22, exec_lo, s22
	s_cbranch_execz .LBB142_700
; %bb.695:
	s_mov_b32 s23, exec_lo
                                        ; implicit-def: $vgpr6
	v_cmpx_lt_u32_e32 0x3c7fffff, v8
	s_xor_b32 s23, exec_lo, s23
; %bb.696:
	v_bfe_u32 v6, v5, 4, 1
	s_delay_alu instid0(VALU_DEP_1) | instskip(NEXT) | instid1(VALU_DEP_1)
	v_add3_u32 v6, v7, v6, 0x407ffff
	v_and_b32_e32 v7, 0xff00000, v6
	v_lshrrev_b32_e32 v6, 20, v6
	s_delay_alu instid0(VALU_DEP_2) | instskip(NEXT) | instid1(VALU_DEP_2)
	v_cmp_ne_u32_e32 vcc_lo, 0x7f00000, v7
                                        ; implicit-def: $vgpr7
	v_cndmask_b32_e32 v6, 0x7e, v6, vcc_lo
; %bb.697:
	s_and_not1_saveexec_b32 s23, s23
; %bb.698:
	v_add_f32_e64 v6, 0x46800000, |v7|
; %bb.699:
	s_or_b32 exec_lo, exec_lo, s23
                                        ; implicit-def: $vgpr8
.LBB142_700:
	s_and_not1_saveexec_b32 s22, s22
; %bb.701:
	v_mov_b32_e32 v6, 0x7f
	v_cmp_lt_u32_e32 vcc_lo, 0x7f800000, v8
	s_delay_alu instid0(VALU_DEP_2)
	v_cndmask_b32_e32 v6, 0x7e, v6, vcc_lo
; %bb.702:
	s_or_b32 exec_lo, exec_lo, s22
	v_lshrrev_b32_e32 v5, 8, v5
	s_delay_alu instid0(VALU_DEP_1)
	v_and_or_b32 v5, 0x80, v5, v6
	global_store_b8 v[0:1], v5, off
.LBB142_703:
	s_mov_b32 s22, 0
.LBB142_704:
	s_delay_alu instid0(SALU_CYCLE_1)
	s_and_not1_b32 vcc_lo, exec_lo, s22
	s_cbranch_vccnz .LBB142_714
; %bb.705:
	v_lshlrev_b32_e32 v7, 16, v3
	v_and_b32_e32 v5, 0xffff, v3
	s_mov_b32 s22, exec_lo
                                        ; implicit-def: $vgpr6
	s_delay_alu instid0(VALU_DEP_2) | instskip(NEXT) | instid1(VALU_DEP_1)
	v_and_b32_e32 v8, 0x7fffffff, v7
	v_cmpx_gt_u32_e32 0x47800000, v8
	s_xor_b32 s22, exec_lo, s22
	s_cbranch_execz .LBB142_711
; %bb.706:
	s_mov_b32 s23, exec_lo
                                        ; implicit-def: $vgpr6
	v_cmpx_lt_u32_e32 0x387fffff, v8
	s_xor_b32 s23, exec_lo, s23
; %bb.707:
	v_bfe_u32 v6, v5, 5, 1
	s_delay_alu instid0(VALU_DEP_1) | instskip(NEXT) | instid1(VALU_DEP_1)
	v_add3_u32 v6, v7, v6, 0x80fffff
                                        ; implicit-def: $vgpr7
	v_lshrrev_b32_e32 v6, 21, v6
; %bb.708:
	s_and_not1_saveexec_b32 s23, s23
; %bb.709:
	v_add_f32_e64 v6, 0x43000000, |v7|
; %bb.710:
	s_or_b32 exec_lo, exec_lo, s23
                                        ; implicit-def: $vgpr8
.LBB142_711:
	s_and_not1_saveexec_b32 s22, s22
; %bb.712:
	v_mov_b32_e32 v6, 0x7f
	v_cmp_lt_u32_e32 vcc_lo, 0x7f800000, v8
	s_delay_alu instid0(VALU_DEP_2)
	v_cndmask_b32_e32 v6, 0x7c, v6, vcc_lo
; %bb.713:
	s_or_b32 exec_lo, exec_lo, s22
	v_lshrrev_b32_e32 v5, 8, v5
	s_delay_alu instid0(VALU_DEP_1)
	v_and_or_b32 v5, 0x80, v5, v6
	global_store_b8 v[0:1], v5, off
.LBB142_714:
	s_mov_b32 s23, 0
	s_mov_b32 s22, -1
.LBB142_715:
	s_and_not1_b32 vcc_lo, exec_lo, s23
	s_cbranch_vccnz .LBB142_723
; %bb.716:
	v_cmp_lt_i16_e32 vcc_lo, 14, v4
	s_mov_b32 s23, -1
	s_cbranch_vccz .LBB142_720
; %bb.717:
	v_cmp_eq_u16_e32 vcc_lo, 15, v4
	s_mov_b32 s0, -1
	s_cbranch_vccz .LBB142_719
; %bb.718:
	s_mov_b32 s22, -1
	s_mov_b32 s0, 0
	global_store_b16 v[0:1], v3, off
.LBB142_719:
	s_mov_b32 s23, 0
.LBB142_720:
	s_delay_alu instid0(SALU_CYCLE_1)
	s_and_b32 vcc_lo, exec_lo, s23
	s_cbranch_vccz .LBB142_723
; %bb.721:
	v_cmp_eq_u16_e32 vcc_lo, 11, v4
	s_mov_b32 s0, -1
	s_cbranch_vccz .LBB142_723
; %bb.722:
	v_and_b32_e32 v5, 0x7fff, v3
	s_mov_b32 s0, 0
	s_mov_b32 s22, -1
	s_delay_alu instid0(VALU_DEP_1)
	v_cmp_ne_u16_e32 vcc_lo, 0, v5
	v_cndmask_b32_e64 v5, 0, 1, vcc_lo
	global_store_b8 v[0:1], v5, off
.LBB142_723:
	s_mov_b32 s23, 0
.LBB142_724:
	s_delay_alu instid0(SALU_CYCLE_1)
	s_and_b32 vcc_lo, exec_lo, s23
	s_cbranch_vccz .LBB142_763
; %bb.725:
	v_cmp_gt_i16_e32 vcc_lo, 5, v4
	s_mov_b32 s22, -1
	s_cbranch_vccnz .LBB142_746
; %bb.726:
	v_cmp_gt_i16_e32 vcc_lo, 8, v4
	s_cbranch_vccnz .LBB142_736
; %bb.727:
	v_cmp_gt_i16_e32 vcc_lo, 9, v4
	s_cbranch_vccnz .LBB142_733
; %bb.728:
	v_cmp_lt_i16_e32 vcc_lo, 9, v4
	s_cbranch_vccz .LBB142_730
; %bb.729:
	v_mov_b32_e32 v7, 0
	v_lshlrev_b32_e32 v5, 16, v3
	s_mov_b32 s22, 0
	s_delay_alu instid0(VALU_DEP_2) | instskip(NEXT) | instid1(VALU_DEP_2)
	v_mov_b32_e32 v8, v7
	v_cvt_f64_f32_e32 v[5:6], v5
	global_store_b128 v[0:1], v[5:8], off
.LBB142_730:
	s_and_not1_b32 vcc_lo, exec_lo, s22
	s_cbranch_vccnz .LBB142_732
; %bb.731:
	v_dual_mov_b32 v6, 0 :: v_dual_lshlrev_b32 v5, 16, v3
	global_store_b64 v[0:1], v[5:6], off
.LBB142_732:
	s_mov_b32 s22, 0
.LBB142_733:
	s_delay_alu instid0(SALU_CYCLE_1)
	s_and_not1_b32 vcc_lo, exec_lo, s22
	s_cbranch_vccnz .LBB142_735
; %bb.734:
	v_lshlrev_b32_e32 v5, 16, v3
	s_delay_alu instid0(VALU_DEP_1) | instskip(NEXT) | instid1(VALU_DEP_1)
	v_cvt_f16_f32_e32 v5, v5
	v_and_b32_e32 v5, 0xffff, v5
	global_store_b32 v[0:1], v5, off
.LBB142_735:
	s_mov_b32 s22, 0
.LBB142_736:
	s_delay_alu instid0(SALU_CYCLE_1)
	s_and_not1_b32 vcc_lo, exec_lo, s22
	s_cbranch_vccnz .LBB142_745
; %bb.737:
	v_cmp_gt_i16_e32 vcc_lo, 6, v4
	s_mov_b32 s22, -1
	s_cbranch_vccnz .LBB142_743
; %bb.738:
	v_cmp_lt_i16_e32 vcc_lo, 6, v4
	s_cbranch_vccz .LBB142_740
; %bb.739:
	v_lshlrev_b32_e32 v5, 16, v3
	s_mov_b32 s22, 0
	s_delay_alu instid0(VALU_DEP_1)
	v_cvt_f64_f32_e32 v[5:6], v5
	global_store_b64 v[0:1], v[5:6], off
.LBB142_740:
	s_and_not1_b32 vcc_lo, exec_lo, s22
	s_cbranch_vccnz .LBB142_742
; %bb.741:
	v_lshlrev_b32_e32 v5, 16, v3
	global_store_b32 v[0:1], v5, off
.LBB142_742:
	s_mov_b32 s22, 0
.LBB142_743:
	s_delay_alu instid0(SALU_CYCLE_1)
	s_and_not1_b32 vcc_lo, exec_lo, s22
	s_cbranch_vccnz .LBB142_745
; %bb.744:
	v_lshlrev_b32_e32 v5, 16, v3
	s_delay_alu instid0(VALU_DEP_1)
	v_cvt_f16_f32_e32 v5, v5
	global_store_b16 v[0:1], v5, off
.LBB142_745:
	s_mov_b32 s22, 0
.LBB142_746:
	s_delay_alu instid0(SALU_CYCLE_1)
	s_and_not1_b32 vcc_lo, exec_lo, s22
	s_cbranch_vccnz .LBB142_762
; %bb.747:
	v_cmp_gt_i16_e32 vcc_lo, 2, v4
	s_mov_b32 s22, -1
	s_cbranch_vccnz .LBB142_757
; %bb.748:
	v_cmp_gt_i16_e32 vcc_lo, 3, v4
	s_cbranch_vccnz .LBB142_754
; %bb.749:
	v_cmp_lt_i16_e32 vcc_lo, 3, v4
	s_cbranch_vccz .LBB142_751
; %bb.750:
	v_lshlrev_b32_e32 v5, 16, v3
	s_mov_b32 s22, 0
	s_delay_alu instid0(VALU_DEP_1) | instskip(NEXT) | instid1(VALU_DEP_1)
	v_trunc_f32_e32 v5, v5
	v_mul_f32_e64 v6, 0x2f800000, |v5|
	v_ashrrev_i32_e32 v8, 31, v5
	s_delay_alu instid0(VALU_DEP_2) | instskip(NEXT) | instid1(VALU_DEP_1)
	v_floor_f32_e32 v6, v6
	v_fma_f32 v7, 0xcf800000, v6, |v5|
	v_cvt_u32_f32_e32 v6, v6
	s_delay_alu instid0(VALU_DEP_2) | instskip(NEXT) | instid1(VALU_DEP_2)
	v_cvt_u32_f32_e32 v5, v7
	v_xor_b32_e32 v6, v6, v8
	s_delay_alu instid0(VALU_DEP_2) | instskip(NEXT) | instid1(VALU_DEP_1)
	v_xor_b32_e32 v5, v5, v8
	v_sub_co_u32 v5, vcc_lo, v5, v8
	s_delay_alu instid0(VALU_DEP_3)
	v_sub_co_ci_u32_e32 v6, vcc_lo, v6, v8, vcc_lo
	global_store_b64 v[0:1], v[5:6], off
.LBB142_751:
	s_and_not1_b32 vcc_lo, exec_lo, s22
	s_cbranch_vccnz .LBB142_753
; %bb.752:
	v_lshlrev_b32_e32 v5, 16, v3
	s_delay_alu instid0(VALU_DEP_1)
	v_cvt_i32_f32_e32 v5, v5
	global_store_b32 v[0:1], v5, off
.LBB142_753:
	s_mov_b32 s22, 0
.LBB142_754:
	s_delay_alu instid0(SALU_CYCLE_1)
	s_and_not1_b32 vcc_lo, exec_lo, s22
	s_cbranch_vccnz .LBB142_756
; %bb.755:
	v_lshlrev_b32_e32 v5, 16, v3
	s_delay_alu instid0(VALU_DEP_1)
	v_cvt_i32_f32_e32 v5, v5
	global_store_b16 v[0:1], v5, off
.LBB142_756:
	s_mov_b32 s22, 0
.LBB142_757:
	s_delay_alu instid0(SALU_CYCLE_1)
	s_and_not1_b32 vcc_lo, exec_lo, s22
	s_cbranch_vccnz .LBB142_762
; %bb.758:
	v_cmp_lt_i16_e32 vcc_lo, 0, v4
	s_mov_b32 s22, -1
	s_cbranch_vccz .LBB142_760
; %bb.759:
	v_lshlrev_b32_e32 v4, 16, v3
	s_mov_b32 s22, 0
	s_delay_alu instid0(VALU_DEP_1)
	v_cvt_i32_f32_e32 v4, v4
	global_store_b8 v[0:1], v4, off
.LBB142_760:
	s_and_not1_b32 vcc_lo, exec_lo, s22
	s_cbranch_vccnz .LBB142_762
; %bb.761:
	v_lshlrev_b32_e32 v3, 16, v3
	s_delay_alu instid0(VALU_DEP_1) | instskip(NEXT) | instid1(VALU_DEP_1)
	v_trunc_f32_e32 v3, v3
	v_mul_f32_e64 v4, 0x2f800000, |v3|
	s_delay_alu instid0(VALU_DEP_1) | instskip(NEXT) | instid1(VALU_DEP_1)
	v_floor_f32_e32 v4, v4
	v_fma_f32 v4, 0xcf800000, v4, |v3|
	v_ashrrev_i32_e32 v3, 31, v3
	s_delay_alu instid0(VALU_DEP_2) | instskip(NEXT) | instid1(VALU_DEP_1)
	v_cvt_u32_f32_e32 v4, v4
	v_xor_b32_e32 v4, v4, v3
	s_delay_alu instid0(VALU_DEP_1)
	v_sub_nc_u32_e32 v3, v4, v3
	global_store_b8 v[0:1], v3, off
.LBB142_762:
	s_mov_b32 s22, -1
.LBB142_763:
	s_delay_alu instid0(SALU_CYCLE_1)
	s_and_not1_b32 vcc_lo, exec_lo, s22
	s_mov_b32 s23, 0
	s_cbranch_vccnz .LBB142_765
; %bb.764:
	v_add_nc_u32_e32 v2, 0x80, v2
	s_mov_b32 s25, -1
	s_branch .LBB142_767
.LBB142_765:
	s_mov_b32 s25, 0
.LBB142_766:
                                        ; implicit-def: $vgpr2
.LBB142_767:
	s_and_not1_b32 s22, s16, exec_lo
	s_and_b32 s0, s0, exec_lo
	s_and_b32 s23, s23, exec_lo
	s_or_b32 s22, s22, s0
	s_and_not1_b32 s0, s18, exec_lo
	s_and_not1_b32 s26, s19, exec_lo
	s_and_b32 s21, s21, exec_lo
	s_or_b32 s23, s0, s23
	s_or_b32 s21, s26, s21
	s_or_not1_b32 s26, s25, exec_lo
.LBB142_768:
	s_or_b32 exec_lo, exec_lo, s24
	s_mov_b32 s25, 0
	s_mov_b32 s27, 0
	;; [unrolled: 1-line block ×3, first 2 shown]
                                        ; implicit-def: $vgpr4
                                        ; implicit-def: $vgpr0_vgpr1
                                        ; implicit-def: $vgpr3
	s_and_saveexec_b32 s24, s26
	s_cbranch_execz .LBB142_1241
; %bb.769:
	s_mov_b32 s31, -1
	s_mov_b32 s26, s21
	s_mov_b32 s27, s23
	;; [unrolled: 1-line block ×3, first 2 shown]
	s_mov_b32 s25, exec_lo
	v_cmpx_gt_i32_e64 s17, v2
	s_cbranch_execz .LBB142_1157
; %bb.770:
	v_mul_lo_u32 v0, v2, s9
	v_and_b32_e64 v4, 0xff, s14
	s_delay_alu instid0(VALU_DEP_1) | instskip(NEXT) | instid1(VALU_DEP_3)
	v_cmp_gt_i16_e32 vcc_lo, 11, v4
	v_ashrrev_i32_e32 v1, 31, v0
	v_add_co_u32 v0, s0, s6, v0
	s_delay_alu instid0(VALU_DEP_1)
	v_add_co_ci_u32_e64 v1, s0, s7, v1, s0
	s_cbranch_vccnz .LBB142_777
; %bb.771:
	v_cmp_lt_i16_e32 vcc_lo, 25, v4
	s_cbranch_vccz .LBB142_778
; %bb.772:
	v_cmp_lt_i16_e32 vcc_lo, 28, v4
	s_cbranch_vccz .LBB142_779
	;; [unrolled: 3-line block ×4, first 2 shown]
; %bb.775:
	v_cmp_eq_u16_e32 vcc_lo, 46, v4
	s_mov_b32 s27, 0
	s_cbranch_vccz .LBB142_784
; %bb.776:
	global_load_b32 v3, v[0:1], off
	s_mov_b32 s0, -1
	s_mov_b32 s26, 0
	s_branch .LBB142_786
.LBB142_777:
	s_mov_b32 s27, -1
	s_mov_b32 s0, 0
	s_mov_b32 s26, s21
                                        ; implicit-def: $vgpr3
	s_branch .LBB142_851
.LBB142_778:
	s_mov_b32 s27, -1
	s_mov_b32 s0, 0
	s_mov_b32 s26, s21
                                        ; implicit-def: $vgpr3
	s_branch .LBB142_815
.LBB142_779:
	s_mov_b32 s27, -1
	s_mov_b32 s0, 0
	s_mov_b32 s26, s21
                                        ; implicit-def: $vgpr3
	s_branch .LBB142_796
.LBB142_780:
	s_mov_b32 s27, -1
	s_mov_b32 s0, 0
	s_mov_b32 s26, s21
                                        ; implicit-def: $vgpr3
	s_branch .LBB142_791
.LBB142_781:
	s_mov_b32 s27, -1
	s_mov_b32 s0, 0
	s_mov_b32 s26, s21
	s_branch .LBB142_785
.LBB142_782:
	s_or_saveexec_b32 s25, s25
                                        ; implicit-def: $sgpr26
	s_delay_alu instid0(SALU_CYCLE_1)
	s_xor_b32 exec_lo, exec_lo, s25
	s_cbranch_execz .LBB142_676
.LBB142_783:
	v_add_f32_e64 v6, 0x46000000, |v7|
	s_and_not1_b32 s23, s23, exec_lo
	s_mov_b32 s26, 0
	s_delay_alu instid0(VALU_DEP_1) | instskip(NEXT) | instid1(VALU_DEP_1)
	v_and_b32_e32 v6, 0xff, v6
	v_cmp_ne_u32_e32 vcc_lo, 0, v6
	s_and_b32 s27, vcc_lo, exec_lo
	s_delay_alu instid0(SALU_CYCLE_1)
	s_or_b32 s23, s23, s27
	s_or_b32 exec_lo, exec_lo, s25
	v_mov_b32_e32 v8, s26
	s_and_saveexec_b32 s25, s23
	s_cbranch_execnz .LBB142_677
	s_branch .LBB142_678
.LBB142_784:
	s_mov_b32 s26, -1
	s_mov_b32 s0, 0
.LBB142_785:
                                        ; implicit-def: $vgpr3
.LBB142_786:
	s_and_b32 vcc_lo, exec_lo, s27
	s_cbranch_vccz .LBB142_790
; %bb.787:
	v_cmp_eq_u16_e32 vcc_lo, 44, v4
	s_cbranch_vccz .LBB142_789
; %bb.788:
	global_load_u8 v3, v[0:1], off
	s_mov_b32 s26, 0
	s_mov_b32 s0, -1
	s_waitcnt vmcnt(0)
	v_lshlrev_b32_e32 v5, 23, v3
	v_cmp_ne_u32_e32 vcc_lo, 0xff, v3
	s_delay_alu instid0(VALU_DEP_2) | instskip(SKIP_1) | instid1(VALU_DEP_2)
	v_cndmask_b32_e32 v5, 0x7f800001, v5, vcc_lo
	v_cmp_ne_u32_e32 vcc_lo, 0, v3
	v_cndmask_b32_e32 v3, 0x400000, v5, vcc_lo
	s_delay_alu instid0(VALU_DEP_1) | instskip(SKIP_1) | instid1(VALU_DEP_2)
	v_add_nc_u32_e32 v5, 0x7fff, v3
	v_cmp_o_f32_e32 vcc_lo, v3, v3
	v_lshrrev_b32_e32 v5, 16, v5
	s_delay_alu instid0(VALU_DEP_1)
	v_cndmask_b32_e32 v3, 0x7fc0, v5, vcc_lo
	s_branch .LBB142_790
.LBB142_789:
	s_mov_b32 s26, -1
                                        ; implicit-def: $vgpr3
.LBB142_790:
	s_mov_b32 s27, 0
.LBB142_791:
	s_delay_alu instid0(SALU_CYCLE_1)
	s_and_b32 vcc_lo, exec_lo, s27
	s_cbranch_vccz .LBB142_795
; %bb.792:
	v_cmp_eq_u16_e32 vcc_lo, 29, v4
	s_cbranch_vccz .LBB142_794
; %bb.793:
	global_load_b64 v[5:6], v[0:1], off
	s_mov_b32 s0, -1
	s_mov_b32 s26, 0
	s_mov_b32 s27, 0
	s_waitcnt vmcnt(0)
	v_clz_i32_u32_e32 v3, v6
	s_delay_alu instid0(VALU_DEP_1) | instskip(NEXT) | instid1(VALU_DEP_1)
	v_min_u32_e32 v3, 32, v3
	v_lshlrev_b64 v[5:6], v3, v[5:6]
	v_sub_nc_u32_e32 v3, 32, v3
	s_delay_alu instid0(VALU_DEP_2) | instskip(NEXT) | instid1(VALU_DEP_1)
	v_min_u32_e32 v5, 1, v5
	v_or_b32_e32 v5, v6, v5
	s_delay_alu instid0(VALU_DEP_1) | instskip(NEXT) | instid1(VALU_DEP_1)
	v_cvt_f32_u32_e32 v5, v5
	v_ldexp_f32 v3, v5, v3
	s_delay_alu instid0(VALU_DEP_1) | instskip(NEXT) | instid1(VALU_DEP_1)
	v_bfe_u32 v5, v3, 16, 1
	v_add3_u32 v3, v3, v5, 0x7fff
	s_delay_alu instid0(VALU_DEP_1)
	v_lshrrev_b32_e32 v3, 16, v3
	s_branch .LBB142_796
.LBB142_794:
	s_mov_b32 s26, -1
                                        ; implicit-def: $vgpr3
.LBB142_795:
	s_mov_b32 s27, 0
.LBB142_796:
	s_delay_alu instid0(SALU_CYCLE_1)
	s_and_b32 vcc_lo, exec_lo, s27
	s_cbranch_vccz .LBB142_814
; %bb.797:
	v_cmp_gt_i16_e32 vcc_lo, 27, v4
	s_cbranch_vccnz .LBB142_800
; %bb.798:
	v_cmp_lt_i16_e32 vcc_lo, 27, v4
	s_cbranch_vccz .LBB142_801
; %bb.799:
	global_load_b32 v3, v[0:1], off
	s_mov_b32 s0, 0
	s_waitcnt vmcnt(0)
	v_cvt_f32_u32_e32 v3, v3
	s_delay_alu instid0(VALU_DEP_1) | instskip(NEXT) | instid1(VALU_DEP_1)
	v_bfe_u32 v5, v3, 16, 1
	v_add3_u32 v3, v3, v5, 0x7fff
	s_delay_alu instid0(VALU_DEP_1)
	v_lshrrev_b32_e32 v3, 16, v3
	s_branch .LBB142_802
.LBB142_800:
	s_mov_b32 s0, -1
                                        ; implicit-def: $vgpr3
	s_branch .LBB142_805
.LBB142_801:
	s_mov_b32 s0, -1
                                        ; implicit-def: $vgpr3
.LBB142_802:
	s_delay_alu instid0(SALU_CYCLE_1)
	s_and_not1_b32 vcc_lo, exec_lo, s0
	s_cbranch_vccnz .LBB142_804
; %bb.803:
	global_load_u16 v3, v[0:1], off
	s_waitcnt vmcnt(0)
	v_cvt_f32_u32_e32 v3, v3
	s_delay_alu instid0(VALU_DEP_1) | instskip(NEXT) | instid1(VALU_DEP_1)
	v_bfe_u32 v5, v3, 16, 1
	v_add3_u32 v3, v3, v5, 0x7fff
	s_delay_alu instid0(VALU_DEP_1)
	v_lshrrev_b32_e32 v3, 16, v3
.LBB142_804:
	s_mov_b32 s0, 0
.LBB142_805:
	s_delay_alu instid0(SALU_CYCLE_1)
	s_and_not1_b32 vcc_lo, exec_lo, s0
	s_cbranch_vccnz .LBB142_813
; %bb.806:
	global_load_u8 v3, v[0:1], off
	s_mov_b32 s0, 0
	s_mov_b32 s28, exec_lo
                                        ; implicit-def: $sgpr27
	s_waitcnt vmcnt(0)
	v_cmpx_lt_i16_e32 0x7f, v3
	s_xor_b32 s28, exec_lo, s28
	s_cbranch_execz .LBB142_827
; %bb.807:
	s_mov_b32 s0, -1
	s_mov_b32 s29, exec_lo
                                        ; implicit-def: $sgpr27
	v_cmpx_eq_u16_e32 0x80, v3
; %bb.808:
	s_mov_b32 s27, 0x7f800001
	s_xor_b32 s0, exec_lo, -1
; %bb.809:
	s_or_b32 exec_lo, exec_lo, s29
	s_delay_alu instid0(SALU_CYCLE_1)
	s_and_b32 s0, s0, exec_lo
	s_or_saveexec_b32 s28, s28
	v_mov_b32_e32 v5, s27
	s_xor_b32 exec_lo, exec_lo, s28
	s_cbranch_execnz .LBB142_828
.LBB142_810:
	s_or_b32 exec_lo, exec_lo, s28
	s_and_saveexec_b32 s27, s0
	s_cbranch_execz .LBB142_812
.LBB142_811:
	v_and_b32_e32 v5, 0xffff, v3
	v_lshlrev_b32_e32 v3, 24, v3
	s_delay_alu instid0(VALU_DEP_2) | instskip(NEXT) | instid1(VALU_DEP_2)
	v_and_b32_e32 v6, 7, v5
	v_and_b32_e32 v3, 0x80000000, v3
	s_delay_alu instid0(VALU_DEP_2) | instskip(NEXT) | instid1(VALU_DEP_1)
	v_clz_i32_u32_e32 v7, v6
	v_min_u32_e32 v7, 32, v7
	s_delay_alu instid0(VALU_DEP_1) | instskip(SKIP_1) | instid1(VALU_DEP_2)
	v_subrev_nc_u32_e32 v8, 28, v7
	v_sub_nc_u32_e32 v7, 29, v7
	v_lshlrev_b32_e32 v8, v8, v5
	v_bfe_u32 v5, v5, 3, 4
	s_delay_alu instid0(VALU_DEP_2) | instskip(NEXT) | instid1(VALU_DEP_2)
	v_and_b32_e32 v8, 7, v8
	v_cmp_eq_u32_e32 vcc_lo, 0, v5
	s_delay_alu instid0(VALU_DEP_2) | instskip(NEXT) | instid1(VALU_DEP_1)
	v_dual_cndmask_b32 v5, v5, v7 :: v_dual_cndmask_b32 v6, v6, v8
	v_lshl_add_u32 v5, v5, 23, 0x3b800000
	s_delay_alu instid0(VALU_DEP_2) | instskip(NEXT) | instid1(VALU_DEP_1)
	v_lshlrev_b32_e32 v6, 20, v6
	v_or3_b32 v5, v3, v5, v6
.LBB142_812:
	s_or_b32 exec_lo, exec_lo, s27
	s_delay_alu instid0(VALU_DEP_1) | instskip(SKIP_1) | instid1(VALU_DEP_2)
	v_bfe_u32 v3, v5, 16, 1
	v_cmp_o_f32_e32 vcc_lo, v5, v5
	v_add3_u32 v3, v5, v3, 0x7fff
	s_delay_alu instid0(VALU_DEP_1) | instskip(NEXT) | instid1(VALU_DEP_1)
	v_lshrrev_b32_e32 v3, 16, v3
	v_cndmask_b32_e32 v3, 0x7fc0, v3, vcc_lo
.LBB142_813:
	s_mov_b32 s0, -1
.LBB142_814:
	s_mov_b32 s27, 0
.LBB142_815:
	s_delay_alu instid0(SALU_CYCLE_1)
	s_and_b32 vcc_lo, exec_lo, s27
	s_cbranch_vccz .LBB142_850
; %bb.816:
	v_cmp_lt_i16_e32 vcc_lo, 22, v4
	s_cbranch_vccz .LBB142_826
; %bb.817:
	v_cmp_gt_i16_e32 vcc_lo, 24, v4
	s_cbranch_vccnz .LBB142_829
; %bb.818:
	v_cmp_lt_i16_e32 vcc_lo, 24, v4
	s_cbranch_vccz .LBB142_830
; %bb.819:
	global_load_u8 v3, v[0:1], off
	s_mov_b32 s0, 0
	s_mov_b32 s28, exec_lo
                                        ; implicit-def: $sgpr27
	s_waitcnt vmcnt(0)
	v_cmpx_lt_i16_e32 0x7f, v3
	s_xor_b32 s28, exec_lo, s28
	s_cbranch_execz .LBB142_842
; %bb.820:
	s_mov_b32 s0, -1
	s_mov_b32 s29, exec_lo
                                        ; implicit-def: $sgpr27
	v_cmpx_eq_u16_e32 0x80, v3
; %bb.821:
	s_mov_b32 s27, 0x7f800001
	s_xor_b32 s0, exec_lo, -1
; %bb.822:
	s_or_b32 exec_lo, exec_lo, s29
	s_delay_alu instid0(SALU_CYCLE_1)
	s_and_b32 s0, s0, exec_lo
	s_or_saveexec_b32 s28, s28
	v_mov_b32_e32 v5, s27
	s_xor_b32 exec_lo, exec_lo, s28
	s_cbranch_execnz .LBB142_843
.LBB142_823:
	s_or_b32 exec_lo, exec_lo, s28
	s_and_saveexec_b32 s27, s0
	s_cbranch_execz .LBB142_825
.LBB142_824:
	v_and_b32_e32 v5, 0xffff, v3
	v_lshlrev_b32_e32 v3, 24, v3
	s_delay_alu instid0(VALU_DEP_2) | instskip(NEXT) | instid1(VALU_DEP_2)
	v_and_b32_e32 v6, 3, v5
	v_and_b32_e32 v3, 0x80000000, v3
	s_delay_alu instid0(VALU_DEP_2) | instskip(NEXT) | instid1(VALU_DEP_1)
	v_clz_i32_u32_e32 v7, v6
	v_min_u32_e32 v7, 32, v7
	s_delay_alu instid0(VALU_DEP_1) | instskip(SKIP_1) | instid1(VALU_DEP_2)
	v_subrev_nc_u32_e32 v8, 29, v7
	v_sub_nc_u32_e32 v7, 30, v7
	v_lshlrev_b32_e32 v8, v8, v5
	v_bfe_u32 v5, v5, 2, 5
	s_delay_alu instid0(VALU_DEP_2) | instskip(NEXT) | instid1(VALU_DEP_2)
	v_and_b32_e32 v8, 3, v8
	v_cmp_eq_u32_e32 vcc_lo, 0, v5
	s_delay_alu instid0(VALU_DEP_2) | instskip(NEXT) | instid1(VALU_DEP_1)
	v_dual_cndmask_b32 v5, v5, v7 :: v_dual_cndmask_b32 v6, v6, v8
	v_lshl_add_u32 v5, v5, 23, 0x37800000
	s_delay_alu instid0(VALU_DEP_2) | instskip(NEXT) | instid1(VALU_DEP_1)
	v_lshlrev_b32_e32 v6, 21, v6
	v_or3_b32 v5, v3, v5, v6
.LBB142_825:
	s_or_b32 exec_lo, exec_lo, s27
	s_delay_alu instid0(VALU_DEP_1) | instskip(SKIP_2) | instid1(VALU_DEP_2)
	v_bfe_u32 v3, v5, 16, 1
	v_cmp_o_f32_e32 vcc_lo, v5, v5
	s_mov_b32 s0, 0
	v_add3_u32 v3, v5, v3, 0x7fff
	s_delay_alu instid0(VALU_DEP_1) | instskip(NEXT) | instid1(VALU_DEP_1)
	v_lshrrev_b32_e32 v3, 16, v3
	v_cndmask_b32_e32 v3, 0x7fc0, v3, vcc_lo
	s_branch .LBB142_831
.LBB142_826:
	s_mov_b32 s27, -1
                                        ; implicit-def: $vgpr3
	s_branch .LBB142_837
.LBB142_827:
	s_or_saveexec_b32 s28, s28
	v_mov_b32_e32 v5, s27
	s_xor_b32 exec_lo, exec_lo, s28
	s_cbranch_execz .LBB142_810
.LBB142_828:
	v_cmp_ne_u16_e32 vcc_lo, 0, v3
	v_mov_b32_e32 v5, 0
	s_and_not1_b32 s0, s0, exec_lo
	s_and_b32 s27, vcc_lo, exec_lo
	s_delay_alu instid0(SALU_CYCLE_1)
	s_or_b32 s0, s0, s27
	s_or_b32 exec_lo, exec_lo, s28
	s_and_saveexec_b32 s27, s0
	s_cbranch_execnz .LBB142_811
	s_branch .LBB142_812
.LBB142_829:
	s_mov_b32 s0, -1
                                        ; implicit-def: $vgpr3
	s_branch .LBB142_834
.LBB142_830:
	s_mov_b32 s0, -1
                                        ; implicit-def: $vgpr3
.LBB142_831:
	s_delay_alu instid0(SALU_CYCLE_1)
	s_and_b32 vcc_lo, exec_lo, s0
	s_cbranch_vccz .LBB142_833
; %bb.832:
	global_load_u8 v3, v[0:1], off
	s_waitcnt vmcnt(0)
	v_lshlrev_b32_e32 v3, 24, v3
	s_delay_alu instid0(VALU_DEP_1) | instskip(NEXT) | instid1(VALU_DEP_1)
	v_and_b32_e32 v5, 0x7f000000, v3
	v_clz_i32_u32_e32 v6, v5
	v_cmp_ne_u32_e32 vcc_lo, 0, v5
	v_add_nc_u32_e32 v8, 0x1000000, v5
	s_delay_alu instid0(VALU_DEP_3) | instskip(NEXT) | instid1(VALU_DEP_1)
	v_min_u32_e32 v6, 32, v6
	v_sub_nc_u32_e64 v6, v6, 4 clamp
	s_delay_alu instid0(VALU_DEP_1) | instskip(SKIP_1) | instid1(VALU_DEP_2)
	v_lshlrev_b32_e32 v7, v6, v5
	v_lshlrev_b32_e32 v6, 23, v6
	v_lshrrev_b32_e32 v7, 4, v7
	s_delay_alu instid0(VALU_DEP_1) | instskip(SKIP_1) | instid1(VALU_DEP_2)
	v_sub_nc_u32_e32 v6, v7, v6
	v_ashrrev_i32_e32 v7, 8, v8
	v_add_nc_u32_e32 v6, 0x3c000000, v6
	s_delay_alu instid0(VALU_DEP_1) | instskip(NEXT) | instid1(VALU_DEP_1)
	v_and_or_b32 v6, 0x7f800000, v7, v6
	v_cndmask_b32_e32 v5, 0, v6, vcc_lo
	s_delay_alu instid0(VALU_DEP_1) | instskip(SKIP_1) | instid1(VALU_DEP_2)
	v_and_or_b32 v3, 0x80000000, v3, v5
	v_bfe_u32 v5, v5, 16, 1
	v_cmp_o_f32_e32 vcc_lo, v3, v3
	s_delay_alu instid0(VALU_DEP_2) | instskip(NEXT) | instid1(VALU_DEP_1)
	v_add3_u32 v5, v3, v5, 0x7fff
	v_lshrrev_b32_e32 v5, 16, v5
	s_delay_alu instid0(VALU_DEP_1)
	v_cndmask_b32_e32 v3, 0x7fc0, v5, vcc_lo
.LBB142_833:
	s_mov_b32 s0, 0
.LBB142_834:
	s_delay_alu instid0(SALU_CYCLE_1)
	s_and_not1_b32 vcc_lo, exec_lo, s0
	s_cbranch_vccnz .LBB142_836
; %bb.835:
	global_load_u8 v3, v[0:1], off
	s_waitcnt vmcnt(0)
	v_lshlrev_b32_e32 v5, 25, v3
	v_lshlrev_b16 v3, 8, v3
	s_delay_alu instid0(VALU_DEP_2) | instskip(NEXT) | instid1(VALU_DEP_2)
	v_lshrrev_b32_e32 v6, 4, v5
	v_and_or_b32 v7, 0x7f00, v3, 0.5
	v_bfe_i32 v3, v3, 0, 16
	s_delay_alu instid0(VALU_DEP_3) | instskip(NEXT) | instid1(VALU_DEP_1)
	v_or_b32_e32 v6, 0x70000000, v6
	v_dual_add_f32 v7, -0.5, v7 :: v_dual_mul_f32 v6, 0x7800000, v6
	v_cmp_gt_u32_e32 vcc_lo, 0x8000000, v5
	s_delay_alu instid0(VALU_DEP_2) | instskip(NEXT) | instid1(VALU_DEP_1)
	v_cndmask_b32_e32 v5, v6, v7, vcc_lo
	v_and_or_b32 v3, 0x80000000, v3, v5
	v_bfe_u32 v5, v5, 16, 1
	s_delay_alu instid0(VALU_DEP_2) | instskip(NEXT) | instid1(VALU_DEP_2)
	v_cmp_o_f32_e32 vcc_lo, v3, v3
	v_add3_u32 v5, v3, v5, 0x7fff
	s_delay_alu instid0(VALU_DEP_1) | instskip(NEXT) | instid1(VALU_DEP_1)
	v_lshrrev_b32_e32 v5, 16, v5
	v_cndmask_b32_e32 v3, 0x7fc0, v5, vcc_lo
.LBB142_836:
	s_mov_b32 s27, 0
	s_mov_b32 s0, -1
.LBB142_837:
	s_and_not1_b32 vcc_lo, exec_lo, s27
	s_cbranch_vccnz .LBB142_850
; %bb.838:
	v_cmp_lt_i16_e32 vcc_lo, 14, v4
	s_cbranch_vccz .LBB142_841
; %bb.839:
	v_cmp_eq_u16_e32 vcc_lo, 15, v4
	s_cbranch_vccz .LBB142_844
; %bb.840:
	global_load_u16 v3, v[0:1], off
	s_mov_b32 s0, -1
	s_mov_b32 s26, 0
	s_branch .LBB142_845
.LBB142_841:
	s_mov_b32 s27, -1
                                        ; implicit-def: $vgpr3
	s_branch .LBB142_846
.LBB142_842:
	s_or_saveexec_b32 s28, s28
	v_mov_b32_e32 v5, s27
	s_xor_b32 exec_lo, exec_lo, s28
	s_cbranch_execz .LBB142_823
.LBB142_843:
	v_cmp_ne_u16_e32 vcc_lo, 0, v3
	v_mov_b32_e32 v5, 0
	s_and_not1_b32 s0, s0, exec_lo
	s_and_b32 s27, vcc_lo, exec_lo
	s_delay_alu instid0(SALU_CYCLE_1)
	s_or_b32 s0, s0, s27
	s_or_b32 exec_lo, exec_lo, s28
	s_and_saveexec_b32 s27, s0
	s_cbranch_execnz .LBB142_824
	s_branch .LBB142_825
.LBB142_844:
	s_mov_b32 s26, -1
                                        ; implicit-def: $vgpr3
.LBB142_845:
	s_mov_b32 s27, 0
.LBB142_846:
	s_delay_alu instid0(SALU_CYCLE_1)
	s_and_b32 vcc_lo, exec_lo, s27
	s_cbranch_vccz .LBB142_850
; %bb.847:
	v_cmp_eq_u16_e32 vcc_lo, 11, v4
	s_cbranch_vccz .LBB142_849
; %bb.848:
	global_load_u8 v3, v[0:1], off
	s_mov_b32 s26, 0
	s_mov_b32 s0, -1
	s_waitcnt vmcnt(0)
	v_cmp_ne_u16_e32 vcc_lo, 0, v3
	v_cndmask_b32_e64 v3, 0, 1.0, vcc_lo
	s_delay_alu instid0(VALU_DEP_1)
	v_lshrrev_b32_e32 v3, 16, v3
	s_branch .LBB142_850
.LBB142_849:
	s_mov_b32 s26, -1
                                        ; implicit-def: $vgpr3
.LBB142_850:
	s_mov_b32 s27, 0
.LBB142_851:
	s_delay_alu instid0(SALU_CYCLE_1)
	s_and_b32 vcc_lo, exec_lo, s27
	s_cbranch_vccz .LBB142_900
; %bb.852:
	v_cmp_gt_i16_e32 vcc_lo, 5, v4
	s_cbranch_vccnz .LBB142_857
; %bb.853:
	v_cmp_gt_i16_e32 vcc_lo, 8, v4
	s_cbranch_vccnz .LBB142_858
	;; [unrolled: 3-line block ×3, first 2 shown]
; %bb.855:
	v_cmp_lt_i16_e32 vcc_lo, 9, v4
	s_cbranch_vccz .LBB142_860
; %bb.856:
	global_load_b64 v[5:6], v[0:1], off
	s_mov_b32 s0, 0
	s_waitcnt vmcnt(0)
	v_cvt_f32_f64_e32 v3, v[5:6]
	s_delay_alu instid0(VALU_DEP_1) | instskip(SKIP_1) | instid1(VALU_DEP_2)
	v_bfe_u32 v5, v3, 16, 1
	v_cmp_o_f32_e32 vcc_lo, v3, v3
	v_add3_u32 v5, v3, v5, 0x7fff
	s_delay_alu instid0(VALU_DEP_1) | instskip(NEXT) | instid1(VALU_DEP_1)
	v_lshrrev_b32_e32 v5, 16, v5
	v_cndmask_b32_e32 v3, 0x7fc0, v5, vcc_lo
	s_branch .LBB142_861
.LBB142_857:
	s_mov_b32 s0, -1
                                        ; implicit-def: $vgpr3
	s_branch .LBB142_879
.LBB142_858:
	s_mov_b32 s0, -1
                                        ; implicit-def: $vgpr3
	s_branch .LBB142_867
.LBB142_859:
	s_mov_b32 s0, -1
                                        ; implicit-def: $vgpr3
	s_branch .LBB142_864
.LBB142_860:
	s_mov_b32 s0, -1
                                        ; implicit-def: $vgpr3
.LBB142_861:
	s_delay_alu instid0(SALU_CYCLE_1)
	s_and_not1_b32 vcc_lo, exec_lo, s0
	s_cbranch_vccnz .LBB142_863
; %bb.862:
	global_load_b32 v3, v[0:1], off
	s_waitcnt vmcnt(0)
	v_bfe_u32 v5, v3, 16, 1
	v_cmp_o_f32_e32 vcc_lo, v3, v3
	s_delay_alu instid0(VALU_DEP_2) | instskip(NEXT) | instid1(VALU_DEP_1)
	v_add3_u32 v5, v3, v5, 0x7fff
	v_lshrrev_b32_e32 v5, 16, v5
	s_delay_alu instid0(VALU_DEP_1)
	v_cndmask_b32_e32 v3, 0x7fc0, v5, vcc_lo
.LBB142_863:
	s_mov_b32 s0, 0
.LBB142_864:
	s_delay_alu instid0(SALU_CYCLE_1)
	s_and_not1_b32 vcc_lo, exec_lo, s0
	s_cbranch_vccnz .LBB142_866
; %bb.865:
	global_load_b32 v3, v[0:1], off
	s_waitcnt vmcnt(0)
	v_cvt_f32_f16_e32 v5, v3
	v_cmp_o_f16_e32 vcc_lo, v3, v3
	s_delay_alu instid0(VALU_DEP_2) | instskip(NEXT) | instid1(VALU_DEP_1)
	v_bfe_u32 v6, v5, 16, 1
	v_add3_u32 v5, v5, v6, 0x7fff
	s_delay_alu instid0(VALU_DEP_1) | instskip(NEXT) | instid1(VALU_DEP_1)
	v_lshrrev_b32_e32 v5, 16, v5
	v_cndmask_b32_e32 v3, 0x7fc0, v5, vcc_lo
.LBB142_866:
	s_mov_b32 s0, 0
.LBB142_867:
	s_delay_alu instid0(SALU_CYCLE_1)
	s_and_not1_b32 vcc_lo, exec_lo, s0
	s_cbranch_vccnz .LBB142_878
; %bb.868:
	v_cmp_gt_i16_e32 vcc_lo, 6, v4
	s_cbranch_vccnz .LBB142_871
; %bb.869:
	v_cmp_lt_i16_e32 vcc_lo, 6, v4
	s_cbranch_vccz .LBB142_872
; %bb.870:
	global_load_b64 v[5:6], v[0:1], off
	s_mov_b32 s0, 0
	s_waitcnt vmcnt(0)
	v_cvt_f32_f64_e32 v3, v[5:6]
	s_delay_alu instid0(VALU_DEP_1) | instskip(SKIP_1) | instid1(VALU_DEP_2)
	v_bfe_u32 v5, v3, 16, 1
	v_cmp_o_f32_e32 vcc_lo, v3, v3
	v_add3_u32 v5, v3, v5, 0x7fff
	s_delay_alu instid0(VALU_DEP_1) | instskip(NEXT) | instid1(VALU_DEP_1)
	v_lshrrev_b32_e32 v5, 16, v5
	v_cndmask_b32_e32 v3, 0x7fc0, v5, vcc_lo
	s_branch .LBB142_873
.LBB142_871:
	s_mov_b32 s0, -1
                                        ; implicit-def: $vgpr3
	s_branch .LBB142_876
.LBB142_872:
	s_mov_b32 s0, -1
                                        ; implicit-def: $vgpr3
.LBB142_873:
	s_delay_alu instid0(SALU_CYCLE_1)
	s_and_not1_b32 vcc_lo, exec_lo, s0
	s_cbranch_vccnz .LBB142_875
; %bb.874:
	global_load_b32 v3, v[0:1], off
	s_waitcnt vmcnt(0)
	v_bfe_u32 v5, v3, 16, 1
	v_cmp_o_f32_e32 vcc_lo, v3, v3
	s_delay_alu instid0(VALU_DEP_2) | instskip(NEXT) | instid1(VALU_DEP_1)
	v_add3_u32 v5, v3, v5, 0x7fff
	v_lshrrev_b32_e32 v5, 16, v5
	s_delay_alu instid0(VALU_DEP_1)
	v_cndmask_b32_e32 v3, 0x7fc0, v5, vcc_lo
.LBB142_875:
	s_mov_b32 s0, 0
.LBB142_876:
	s_delay_alu instid0(SALU_CYCLE_1)
	s_and_not1_b32 vcc_lo, exec_lo, s0
	s_cbranch_vccnz .LBB142_878
; %bb.877:
	global_load_u16 v3, v[0:1], off
	s_waitcnt vmcnt(0)
	v_cvt_f32_f16_e32 v5, v3
	v_cmp_o_f16_e32 vcc_lo, v3, v3
	s_delay_alu instid0(VALU_DEP_2) | instskip(NEXT) | instid1(VALU_DEP_1)
	v_bfe_u32 v6, v5, 16, 1
	v_add3_u32 v5, v5, v6, 0x7fff
	s_delay_alu instid0(VALU_DEP_1) | instskip(NEXT) | instid1(VALU_DEP_1)
	v_lshrrev_b32_e32 v5, 16, v5
	v_cndmask_b32_e32 v3, 0x7fc0, v5, vcc_lo
.LBB142_878:
	s_mov_b32 s0, 0
.LBB142_879:
	s_delay_alu instid0(SALU_CYCLE_1)
	s_and_not1_b32 vcc_lo, exec_lo, s0
	s_cbranch_vccnz .LBB142_899
; %bb.880:
	v_cmp_gt_i16_e32 vcc_lo, 2, v4
	s_cbranch_vccnz .LBB142_884
; %bb.881:
	v_cmp_gt_i16_e32 vcc_lo, 3, v4
	s_cbranch_vccnz .LBB142_885
; %bb.882:
	v_cmp_lt_i16_e32 vcc_lo, 3, v4
	s_cbranch_vccz .LBB142_886
; %bb.883:
	global_load_b64 v[5:6], v[0:1], off
	s_mov_b32 s0, 0
	s_waitcnt vmcnt(0)
	v_xor_b32_e32 v3, v5, v6
	v_cls_i32_e32 v7, v6
	s_delay_alu instid0(VALU_DEP_2) | instskip(NEXT) | instid1(VALU_DEP_2)
	v_ashrrev_i32_e32 v3, 31, v3
	v_add_nc_u32_e32 v7, -1, v7
	s_delay_alu instid0(VALU_DEP_2) | instskip(NEXT) | instid1(VALU_DEP_1)
	v_add_nc_u32_e32 v3, 32, v3
	v_min_u32_e32 v3, v7, v3
	s_delay_alu instid0(VALU_DEP_1) | instskip(SKIP_1) | instid1(VALU_DEP_2)
	v_lshlrev_b64 v[5:6], v3, v[5:6]
	v_sub_nc_u32_e32 v3, 32, v3
	v_min_u32_e32 v5, 1, v5
	s_delay_alu instid0(VALU_DEP_1) | instskip(NEXT) | instid1(VALU_DEP_1)
	v_or_b32_e32 v5, v6, v5
	v_cvt_f32_i32_e32 v5, v5
	s_delay_alu instid0(VALU_DEP_1) | instskip(NEXT) | instid1(VALU_DEP_1)
	v_ldexp_f32 v3, v5, v3
	v_bfe_u32 v5, v3, 16, 1
	s_delay_alu instid0(VALU_DEP_1) | instskip(NEXT) | instid1(VALU_DEP_1)
	v_add3_u32 v3, v3, v5, 0x7fff
	v_lshrrev_b32_e32 v3, 16, v3
	s_branch .LBB142_887
.LBB142_884:
	s_mov_b32 s0, -1
                                        ; implicit-def: $vgpr3
	s_branch .LBB142_893
.LBB142_885:
	s_mov_b32 s0, -1
                                        ; implicit-def: $vgpr3
	s_branch .LBB142_890
.LBB142_886:
	s_mov_b32 s0, -1
                                        ; implicit-def: $vgpr3
.LBB142_887:
	s_delay_alu instid0(SALU_CYCLE_1)
	s_and_not1_b32 vcc_lo, exec_lo, s0
	s_cbranch_vccnz .LBB142_889
; %bb.888:
	global_load_b32 v3, v[0:1], off
	s_waitcnt vmcnt(0)
	v_cvt_f32_i32_e32 v3, v3
	s_delay_alu instid0(VALU_DEP_1) | instskip(NEXT) | instid1(VALU_DEP_1)
	v_bfe_u32 v5, v3, 16, 1
	v_add3_u32 v3, v3, v5, 0x7fff
	s_delay_alu instid0(VALU_DEP_1)
	v_lshrrev_b32_e32 v3, 16, v3
.LBB142_889:
	s_mov_b32 s0, 0
.LBB142_890:
	s_delay_alu instid0(SALU_CYCLE_1)
	s_and_not1_b32 vcc_lo, exec_lo, s0
	s_cbranch_vccnz .LBB142_892
; %bb.891:
	global_load_i16 v3, v[0:1], off
	s_waitcnt vmcnt(0)
	v_cvt_f32_i32_e32 v3, v3
	s_delay_alu instid0(VALU_DEP_1) | instskip(NEXT) | instid1(VALU_DEP_1)
	v_bfe_u32 v5, v3, 16, 1
	v_add3_u32 v3, v3, v5, 0x7fff
	s_delay_alu instid0(VALU_DEP_1)
	v_lshrrev_b32_e32 v3, 16, v3
.LBB142_892:
	s_mov_b32 s0, 0
.LBB142_893:
	s_delay_alu instid0(SALU_CYCLE_1)
	s_and_not1_b32 vcc_lo, exec_lo, s0
	s_cbranch_vccnz .LBB142_899
; %bb.894:
	v_cmp_lt_i16_e32 vcc_lo, 0, v4
	s_mov_b32 s0, 0
	s_cbranch_vccz .LBB142_896
; %bb.895:
	global_load_i8 v3, v[0:1], off
	s_waitcnt vmcnt(0)
	v_cvt_f32_i32_e32 v3, v3
	s_delay_alu instid0(VALU_DEP_1) | instskip(NEXT) | instid1(VALU_DEP_1)
	v_bfe_u32 v4, v3, 16, 1
	v_add3_u32 v3, v3, v4, 0x7fff
	s_delay_alu instid0(VALU_DEP_1)
	v_lshrrev_b32_e32 v3, 16, v3
	s_branch .LBB142_897
.LBB142_896:
	s_mov_b32 s0, -1
                                        ; implicit-def: $vgpr3
.LBB142_897:
	s_delay_alu instid0(SALU_CYCLE_1)
	s_and_not1_b32 vcc_lo, exec_lo, s0
	s_cbranch_vccnz .LBB142_899
; %bb.898:
	global_load_u8 v0, v[0:1], off
	s_waitcnt vmcnt(0)
	v_cvt_f32_ubyte0_e32 v0, v0
	s_delay_alu instid0(VALU_DEP_1) | instskip(NEXT) | instid1(VALU_DEP_1)
	v_bfe_u32 v1, v0, 16, 1
	v_add3_u32 v0, v0, v1, 0x7fff
	s_delay_alu instid0(VALU_DEP_1)
	v_lshrrev_b32_e32 v3, 16, v0
.LBB142_899:
	s_mov_b32 s0, -1
.LBB142_900:
	s_delay_alu instid0(SALU_CYCLE_1)
	s_and_not1_b32 vcc_lo, exec_lo, s0
	s_cbranch_vccnz .LBB142_908
; %bb.901:
	v_mul_lo_u32 v0, v2, s10
	v_and_b32_e64 v4, 0xff, s1
	s_delay_alu instid0(VALU_DEP_1) | instskip(NEXT) | instid1(VALU_DEP_3)
	v_cmp_gt_i16_e32 vcc_lo, 11, v4
	v_ashrrev_i32_e32 v1, 31, v0
	v_add_co_u32 v0, s0, s2, v0
	s_delay_alu instid0(VALU_DEP_1)
	v_add_co_ci_u32_e64 v1, s0, s3, v1, s0
	s_cbranch_vccnz .LBB142_909
; %bb.902:
	v_cmp_lt_i16_e32 vcc_lo, 25, v4
	s_cbranch_vccz .LBB142_910
; %bb.903:
	v_cmp_lt_i16_e32 vcc_lo, 28, v4
	s_cbranch_vccz .LBB142_911
; %bb.904:
	v_cmp_lt_i16_e32 vcc_lo, 43, v4
	s_cbranch_vccz .LBB142_912
; %bb.905:
	v_cmp_lt_i16_e32 vcc_lo, 45, v4
	s_cbranch_vccz .LBB142_913
; %bb.906:
	v_cmp_eq_u16_e32 vcc_lo, 46, v4
	s_mov_b32 s29, 0
	s_cbranch_vccz .LBB142_916
; %bb.907:
	global_load_b32 v5, v[0:1], off
	s_mov_b32 s27, 0
	s_mov_b32 s0, -1
	s_waitcnt vmcnt(0)
	v_and_b32_e32 v5, 0x7fff7fff, v5
	s_delay_alu instid0(VALU_DEP_1)
	v_cmp_ne_u32_e32 vcc_lo, 0, v5
	s_and_b32 s28, vcc_lo, exec_lo
	s_branch .LBB142_918
.LBB142_908:
	s_mov_b32 s29, 0
	s_mov_b32 s0, s22
	;; [unrolled: 1-line block ×3, first 2 shown]
	s_branch .LBB142_1155
.LBB142_909:
	s_mov_b32 s29, -1
	s_mov_b32 s0, 0
	s_mov_b32 s27, s23
                                        ; implicit-def: $sgpr28
	s_branch .LBB142_981
.LBB142_910:
	s_mov_b32 s29, -1
	s_mov_b32 s0, 0
	s_mov_b32 s27, s23
                                        ; implicit-def: $sgpr28
	s_branch .LBB142_945
.LBB142_911:
	s_mov_b32 s29, -1
	s_mov_b32 s0, 0
	s_mov_b32 s27, s23
                                        ; implicit-def: $sgpr28
	s_branch .LBB142_926
.LBB142_912:
	s_mov_b32 s29, -1
	s_mov_b32 s0, 0
	s_mov_b32 s27, s23
                                        ; implicit-def: $sgpr28
	s_branch .LBB142_921
.LBB142_913:
	s_mov_b32 s29, -1
	s_mov_b32 s0, 0
	s_mov_b32 s27, s23
	s_branch .LBB142_917
.LBB142_914:
	s_or_saveexec_b32 s25, s25
                                        ; implicit-def: $sgpr26
	s_delay_alu instid0(SALU_CYCLE_1)
	s_xor_b32 exec_lo, exec_lo, s25
	s_cbranch_execz .LBB142_689
.LBB142_915:
	v_add_f32_e64 v6, 0x42800000, |v7|
	s_and_not1_b32 s23, s23, exec_lo
	s_mov_b32 s26, 0
	s_delay_alu instid0(VALU_DEP_1) | instskip(NEXT) | instid1(VALU_DEP_1)
	v_and_b32_e32 v6, 0xff, v6
	v_cmp_ne_u32_e32 vcc_lo, 0, v6
	s_and_b32 s27, vcc_lo, exec_lo
	s_delay_alu instid0(SALU_CYCLE_1)
	s_or_b32 s23, s23, s27
	s_or_b32 exec_lo, exec_lo, s25
	v_mov_b32_e32 v8, s26
	s_and_saveexec_b32 s25, s23
	s_cbranch_execnz .LBB142_690
	s_branch .LBB142_691
.LBB142_916:
	s_mov_b32 s27, -1
	s_mov_b32 s0, 0
.LBB142_917:
                                        ; implicit-def: $sgpr28
.LBB142_918:
	s_and_b32 vcc_lo, exec_lo, s29
	s_cbranch_vccz .LBB142_920
; %bb.919:
	v_cmp_eq_u16_e64 s0, 44, v4
	s_or_b32 s28, s28, exec_lo
	s_or_b32 s27, s27, exec_lo
.LBB142_920:
	s_mov_b32 s29, 0
.LBB142_921:
	s_delay_alu instid0(SALU_CYCLE_1)
	s_and_b32 vcc_lo, exec_lo, s29
	s_cbranch_vccz .LBB142_925
; %bb.922:
	v_cmp_eq_u16_e32 vcc_lo, 29, v4
	s_cbranch_vccz .LBB142_924
; %bb.923:
	global_load_b64 v[5:6], v[0:1], off
	s_mov_b32 s0, -1
	s_mov_b32 s27, 0
	s_mov_b32 s29, 0
	s_waitcnt vmcnt(0)
	v_cmp_ne_u64_e32 vcc_lo, 0, v[5:6]
	s_and_b32 s28, vcc_lo, exec_lo
	s_branch .LBB142_926
.LBB142_924:
	s_mov_b32 s27, -1
                                        ; implicit-def: $sgpr28
.LBB142_925:
	s_mov_b32 s29, 0
.LBB142_926:
	s_delay_alu instid0(SALU_CYCLE_1)
	s_and_b32 vcc_lo, exec_lo, s29
	s_cbranch_vccz .LBB142_944
; %bb.927:
	v_cmp_gt_i16_e32 vcc_lo, 27, v4
	s_cbranch_vccnz .LBB142_930
; %bb.928:
	v_cmp_lt_i16_e32 vcc_lo, 27, v4
	s_cbranch_vccz .LBB142_931
; %bb.929:
	global_load_b32 v5, v[0:1], off
	s_mov_b32 s0, 0
	s_waitcnt vmcnt(0)
	v_cmp_ne_u32_e32 vcc_lo, 0, v5
	s_and_b32 s28, vcc_lo, exec_lo
	s_branch .LBB142_932
.LBB142_930:
	s_mov_b32 s0, -1
                                        ; implicit-def: $sgpr28
	s_branch .LBB142_935
.LBB142_931:
	s_mov_b32 s0, -1
                                        ; implicit-def: $sgpr28
.LBB142_932:
	s_delay_alu instid0(SALU_CYCLE_1)
	s_and_not1_b32 vcc_lo, exec_lo, s0
	s_cbranch_vccnz .LBB142_934
; %bb.933:
	global_load_u16 v5, v[0:1], off
	s_and_not1_b32 s0, s28, exec_lo
	s_waitcnt vmcnt(0)
	v_cmp_ne_u16_e32 vcc_lo, 0, v5
	s_and_b32 s28, vcc_lo, exec_lo
	s_delay_alu instid0(SALU_CYCLE_1)
	s_or_b32 s28, s0, s28
.LBB142_934:
	s_mov_b32 s0, 0
.LBB142_935:
	s_delay_alu instid0(SALU_CYCLE_1)
	s_and_not1_b32 vcc_lo, exec_lo, s0
	s_cbranch_vccnz .LBB142_943
; %bb.936:
	global_load_u8 v5, v[0:1], off
	s_mov_b32 s0, 0
	s_mov_b32 s29, exec_lo
                                        ; implicit-def: $sgpr28
	s_waitcnt vmcnt(0)
	v_cmpx_lt_i16_e32 0x7f, v5
	s_xor_b32 s29, exec_lo, s29
	s_cbranch_execz .LBB142_957
; %bb.937:
	s_mov_b32 s0, -1
	s_mov_b32 s30, exec_lo
                                        ; implicit-def: $sgpr28
	v_cmpx_eq_u16_e32 0x80, v5
; %bb.938:
	s_mov_b32 s28, -1
	s_xor_b32 s0, exec_lo, -1
; %bb.939:
	s_or_b32 exec_lo, exec_lo, s30
	s_delay_alu instid0(SALU_CYCLE_1)
	s_and_b32 s0, s0, exec_lo
	s_and_not1_saveexec_b32 s29, s29
	s_cbranch_execnz .LBB142_958
.LBB142_940:
	s_or_b32 exec_lo, exec_lo, s29
	s_and_saveexec_b32 s29, s0
	s_cbranch_execz .LBB142_942
.LBB142_941:
	v_and_b32_e32 v5, 0xffff, v5
	s_and_not1_b32 s0, s28, exec_lo
	s_delay_alu instid0(VALU_DEP_1) | instskip(NEXT) | instid1(VALU_DEP_1)
	v_and_b32_e32 v6, 7, v5
	v_clz_i32_u32_e32 v7, v6
	s_delay_alu instid0(VALU_DEP_1) | instskip(NEXT) | instid1(VALU_DEP_1)
	v_min_u32_e32 v7, 32, v7
	v_subrev_nc_u32_e32 v8, 28, v7
	v_sub_nc_u32_e32 v7, 29, v7
	s_delay_alu instid0(VALU_DEP_2) | instskip(SKIP_1) | instid1(VALU_DEP_2)
	v_lshlrev_b32_e32 v8, v8, v5
	v_bfe_u32 v5, v5, 3, 4
	v_and_b32_e32 v8, 7, v8
	s_delay_alu instid0(VALU_DEP_2) | instskip(NEXT) | instid1(VALU_DEP_2)
	v_cmp_eq_u32_e32 vcc_lo, 0, v5
	v_dual_cndmask_b32 v5, v5, v7 :: v_dual_cndmask_b32 v6, v6, v8
	s_delay_alu instid0(VALU_DEP_1) | instskip(NEXT) | instid1(VALU_DEP_2)
	v_lshl_add_u32 v5, v5, 23, 0x3b800000
	v_lshlrev_b32_e32 v6, 20, v6
	s_delay_alu instid0(VALU_DEP_1) | instskip(NEXT) | instid1(VALU_DEP_1)
	v_and_or_b32 v5, 0x7f800000, v5, v6
	v_cmp_ne_u32_e32 vcc_lo, 0, v5
	s_and_b32 s28, vcc_lo, exec_lo
	s_delay_alu instid0(SALU_CYCLE_1)
	s_or_b32 s28, s0, s28
.LBB142_942:
	s_or_b32 exec_lo, exec_lo, s29
.LBB142_943:
	s_mov_b32 s0, -1
.LBB142_944:
	s_mov_b32 s29, 0
.LBB142_945:
	s_delay_alu instid0(SALU_CYCLE_1)
	s_and_b32 vcc_lo, exec_lo, s29
	s_cbranch_vccz .LBB142_980
; %bb.946:
	v_cmp_lt_i16_e32 vcc_lo, 22, v4
	s_cbranch_vccz .LBB142_956
; %bb.947:
	v_cmp_gt_i16_e32 vcc_lo, 24, v4
	s_cbranch_vccnz .LBB142_959
; %bb.948:
	v_cmp_lt_i16_e32 vcc_lo, 24, v4
	s_cbranch_vccz .LBB142_960
; %bb.949:
	global_load_u8 v5, v[0:1], off
	s_mov_b32 s0, 0
	s_mov_b32 s29, exec_lo
                                        ; implicit-def: $sgpr28
	s_waitcnt vmcnt(0)
	v_cmpx_lt_i16_e32 0x7f, v5
	s_xor_b32 s29, exec_lo, s29
	s_cbranch_execz .LBB142_972
; %bb.950:
	s_mov_b32 s0, -1
	s_mov_b32 s30, exec_lo
                                        ; implicit-def: $sgpr28
	v_cmpx_eq_u16_e32 0x80, v5
; %bb.951:
	s_mov_b32 s28, -1
	s_xor_b32 s0, exec_lo, -1
; %bb.952:
	s_or_b32 exec_lo, exec_lo, s30
	s_delay_alu instid0(SALU_CYCLE_1)
	s_and_b32 s0, s0, exec_lo
	s_and_not1_saveexec_b32 s29, s29
	s_cbranch_execnz .LBB142_973
.LBB142_953:
	s_or_b32 exec_lo, exec_lo, s29
	s_and_saveexec_b32 s29, s0
	s_cbranch_execz .LBB142_955
.LBB142_954:
	v_and_b32_e32 v5, 0xffff, v5
	s_and_not1_b32 s0, s28, exec_lo
	s_delay_alu instid0(VALU_DEP_1) | instskip(NEXT) | instid1(VALU_DEP_1)
	v_and_b32_e32 v6, 3, v5
	v_clz_i32_u32_e32 v7, v6
	s_delay_alu instid0(VALU_DEP_1) | instskip(NEXT) | instid1(VALU_DEP_1)
	v_min_u32_e32 v7, 32, v7
	v_subrev_nc_u32_e32 v8, 29, v7
	v_sub_nc_u32_e32 v7, 30, v7
	s_delay_alu instid0(VALU_DEP_2) | instskip(SKIP_1) | instid1(VALU_DEP_2)
	v_lshlrev_b32_e32 v8, v8, v5
	v_bfe_u32 v5, v5, 2, 5
	v_and_b32_e32 v8, 3, v8
	s_delay_alu instid0(VALU_DEP_2) | instskip(NEXT) | instid1(VALU_DEP_2)
	v_cmp_eq_u32_e32 vcc_lo, 0, v5
	v_dual_cndmask_b32 v5, v5, v7 :: v_dual_cndmask_b32 v6, v6, v8
	s_delay_alu instid0(VALU_DEP_1) | instskip(NEXT) | instid1(VALU_DEP_2)
	v_lshl_add_u32 v5, v5, 23, 0x37800000
	v_lshlrev_b32_e32 v6, 21, v6
	s_delay_alu instid0(VALU_DEP_1) | instskip(NEXT) | instid1(VALU_DEP_1)
	v_and_or_b32 v5, 0x7f800000, v5, v6
	v_cmp_ne_u32_e32 vcc_lo, 0, v5
	s_and_b32 s28, vcc_lo, exec_lo
	s_delay_alu instid0(SALU_CYCLE_1)
	s_or_b32 s28, s0, s28
.LBB142_955:
	s_or_b32 exec_lo, exec_lo, s29
	s_mov_b32 s0, 0
	s_branch .LBB142_961
.LBB142_956:
	s_mov_b32 s29, -1
                                        ; implicit-def: $sgpr28
	s_branch .LBB142_967
.LBB142_957:
	s_and_not1_saveexec_b32 s29, s29
	s_cbranch_execz .LBB142_940
.LBB142_958:
	v_cmp_ne_u16_e32 vcc_lo, 0, v5
	s_and_not1_b32 s0, s0, exec_lo
	s_and_not1_b32 s28, s28, exec_lo
	s_and_b32 s30, vcc_lo, exec_lo
	s_delay_alu instid0(SALU_CYCLE_1)
	s_or_b32 s0, s0, s30
	s_or_b32 exec_lo, exec_lo, s29
	s_and_saveexec_b32 s29, s0
	s_cbranch_execnz .LBB142_941
	s_branch .LBB142_942
.LBB142_959:
	s_mov_b32 s0, -1
                                        ; implicit-def: $sgpr28
	s_branch .LBB142_964
.LBB142_960:
	s_mov_b32 s0, -1
                                        ; implicit-def: $sgpr28
.LBB142_961:
	s_delay_alu instid0(SALU_CYCLE_1)
	s_and_b32 vcc_lo, exec_lo, s0
	s_cbranch_vccz .LBB142_963
; %bb.962:
	global_load_u8 v5, v[0:1], off
	s_and_not1_b32 s28, s28, exec_lo
	s_waitcnt vmcnt(0)
	v_lshlrev_b32_e32 v5, 24, v5
	s_delay_alu instid0(VALU_DEP_1) | instskip(NEXT) | instid1(VALU_DEP_1)
	v_and_b32_e32 v5, 0x7f000000, v5
	v_clz_i32_u32_e32 v6, v5
	v_add_nc_u32_e32 v8, 0x1000000, v5
	v_cmp_ne_u32_e32 vcc_lo, 0, v5
	s_delay_alu instid0(VALU_DEP_3) | instskip(NEXT) | instid1(VALU_DEP_3)
	v_min_u32_e32 v6, 32, v6
	v_ashrrev_i32_e32 v8, 8, v8
	s_delay_alu instid0(VALU_DEP_2) | instskip(NEXT) | instid1(VALU_DEP_1)
	v_sub_nc_u32_e64 v6, v6, 4 clamp
	v_lshlrev_b32_e32 v7, v6, v5
	v_lshlrev_b32_e32 v6, 23, v6
	s_delay_alu instid0(VALU_DEP_2) | instskip(NEXT) | instid1(VALU_DEP_1)
	v_lshrrev_b32_e32 v7, 4, v7
	v_sub_nc_u32_e32 v6, v7, v6
	v_and_b32_e32 v7, 0x7f800000, v8
	s_delay_alu instid0(VALU_DEP_2) | instskip(NEXT) | instid1(VALU_DEP_1)
	v_add_nc_u32_e32 v6, 0x3c000000, v6
	v_and_or_b32 v6, 0x7ff00000, v6, v7
	s_delay_alu instid0(VALU_DEP_1) | instskip(NEXT) | instid1(VALU_DEP_1)
	v_cmp_ne_u32_e64 s0, 0, v6
	s_and_b32 s0, vcc_lo, s0
	s_delay_alu instid0(SALU_CYCLE_1) | instskip(NEXT) | instid1(SALU_CYCLE_1)
	s_and_b32 s0, s0, exec_lo
	s_or_b32 s28, s28, s0
.LBB142_963:
	s_mov_b32 s0, 0
.LBB142_964:
	s_delay_alu instid0(SALU_CYCLE_1)
	s_and_not1_b32 vcc_lo, exec_lo, s0
	s_cbranch_vccnz .LBB142_966
; %bb.965:
	global_load_u8 v5, v[0:1], off
	s_and_not1_b32 s0, s28, exec_lo
	s_waitcnt vmcnt(0)
	v_lshlrev_b32_e32 v6, 25, v5
	v_lshlrev_b32_e32 v5, 8, v5
	s_delay_alu instid0(VALU_DEP_2) | instskip(NEXT) | instid1(VALU_DEP_2)
	v_lshrrev_b32_e32 v7, 4, v6
	v_and_or_b32 v5, 0x7f00, v5, 0.5
	s_delay_alu instid0(VALU_DEP_2) | instskip(NEXT) | instid1(VALU_DEP_2)
	v_or_b32_e32 v7, 0x70000000, v7
	v_add_f32_e32 v5, -0.5, v5
	s_delay_alu instid0(VALU_DEP_2) | instskip(SKIP_1) | instid1(VALU_DEP_2)
	v_mul_f32_e32 v7, 0x7800000, v7
	v_cmp_gt_u32_e32 vcc_lo, 0x8000000, v6
	v_cndmask_b32_e32 v5, v7, v5, vcc_lo
	s_delay_alu instid0(VALU_DEP_1) | instskip(SKIP_1) | instid1(SALU_CYCLE_1)
	v_cmp_neq_f32_e32 vcc_lo, 0, v5
	s_and_b32 s28, vcc_lo, exec_lo
	s_or_b32 s28, s0, s28
.LBB142_966:
	s_mov_b32 s29, 0
	s_mov_b32 s0, -1
.LBB142_967:
	s_and_not1_b32 vcc_lo, exec_lo, s29
	s_cbranch_vccnz .LBB142_980
; %bb.968:
	v_cmp_lt_i16_e32 vcc_lo, 14, v4
	s_cbranch_vccz .LBB142_971
; %bb.969:
	v_cmp_eq_u16_e32 vcc_lo, 15, v4
	s_cbranch_vccz .LBB142_974
; %bb.970:
	global_load_u16 v5, v[0:1], off
	s_mov_b32 s27, 0
	s_mov_b32 s0, -1
	s_waitcnt vmcnt(0)
	v_and_b32_e32 v5, 0x7fff, v5
	s_delay_alu instid0(VALU_DEP_1)
	v_cmp_ne_u16_e32 vcc_lo, 0, v5
	s_and_b32 s28, vcc_lo, exec_lo
	s_branch .LBB142_975
.LBB142_971:
	s_mov_b32 s29, -1
                                        ; implicit-def: $sgpr28
	s_branch .LBB142_976
.LBB142_972:
	s_and_not1_saveexec_b32 s29, s29
	s_cbranch_execz .LBB142_953
.LBB142_973:
	v_cmp_ne_u16_e32 vcc_lo, 0, v5
	s_and_not1_b32 s0, s0, exec_lo
	s_and_not1_b32 s28, s28, exec_lo
	s_and_b32 s30, vcc_lo, exec_lo
	s_delay_alu instid0(SALU_CYCLE_1)
	s_or_b32 s0, s0, s30
	s_or_b32 exec_lo, exec_lo, s29
	s_and_saveexec_b32 s29, s0
	s_cbranch_execnz .LBB142_954
	s_branch .LBB142_955
.LBB142_974:
	s_mov_b32 s27, -1
                                        ; implicit-def: $sgpr28
.LBB142_975:
	s_mov_b32 s29, 0
.LBB142_976:
	s_delay_alu instid0(SALU_CYCLE_1)
	s_and_b32 vcc_lo, exec_lo, s29
	s_cbranch_vccz .LBB142_980
; %bb.977:
	v_cmp_eq_u16_e32 vcc_lo, 11, v4
	s_cbranch_vccz .LBB142_979
; %bb.978:
	global_load_u8 v5, v[0:1], off
	s_mov_b32 s27, 0
	s_mov_b32 s0, -1
	s_waitcnt vmcnt(0)
	v_cmp_ne_u16_e32 vcc_lo, 0, v5
	s_and_b32 s28, vcc_lo, exec_lo
	s_branch .LBB142_980
.LBB142_979:
	s_mov_b32 s27, -1
                                        ; implicit-def: $sgpr28
.LBB142_980:
	s_mov_b32 s29, 0
.LBB142_981:
	s_delay_alu instid0(SALU_CYCLE_1)
	s_and_b32 vcc_lo, exec_lo, s29
	s_cbranch_vccz .LBB142_1030
; %bb.982:
	v_cmp_gt_i16_e32 vcc_lo, 5, v4
	s_cbranch_vccnz .LBB142_987
; %bb.983:
	v_cmp_gt_i16_e32 vcc_lo, 8, v4
	s_cbranch_vccnz .LBB142_988
	;; [unrolled: 3-line block ×3, first 2 shown]
; %bb.985:
	v_cmp_lt_i16_e32 vcc_lo, 9, v4
	s_cbranch_vccz .LBB142_990
; %bb.986:
	global_load_b128 v[5:8], v[0:1], off
	s_waitcnt vmcnt(0)
	v_cmp_neq_f64_e32 vcc_lo, 0, v[5:6]
	v_cmp_neq_f64_e64 s0, 0, v[7:8]
	s_delay_alu instid0(VALU_DEP_1)
	s_or_b32 s28, vcc_lo, s0
	s_mov_b32 s0, 0
	s_and_b32 s28, s28, exec_lo
	s_branch .LBB142_991
.LBB142_987:
	s_mov_b32 s0, -1
                                        ; implicit-def: $sgpr28
	s_branch .LBB142_1009
.LBB142_988:
	s_mov_b32 s0, -1
                                        ; implicit-def: $sgpr28
	s_branch .LBB142_997
.LBB142_989:
	s_mov_b32 s0, -1
                                        ; implicit-def: $sgpr28
	s_branch .LBB142_994
.LBB142_990:
	s_mov_b32 s0, -1
                                        ; implicit-def: $sgpr28
.LBB142_991:
	s_delay_alu instid0(SALU_CYCLE_1)
	s_and_not1_b32 vcc_lo, exec_lo, s0
	s_cbranch_vccnz .LBB142_993
; %bb.992:
	global_load_b64 v[5:6], v[0:1], off
	s_and_not1_b32 s0, s28, exec_lo
	s_waitcnt vmcnt(0)
	v_or_b32_e32 v5, v5, v6
	s_delay_alu instid0(VALU_DEP_1) | instskip(NEXT) | instid1(VALU_DEP_1)
	v_and_b32_e32 v5, 0x7fffffff, v5
	v_cmp_ne_u32_e32 vcc_lo, 0, v5
	s_and_b32 s28, vcc_lo, exec_lo
	s_delay_alu instid0(SALU_CYCLE_1)
	s_or_b32 s28, s0, s28
.LBB142_993:
	s_mov_b32 s0, 0
.LBB142_994:
	s_delay_alu instid0(SALU_CYCLE_1)
	s_and_not1_b32 vcc_lo, exec_lo, s0
	s_cbranch_vccnz .LBB142_996
; %bb.995:
	global_load_b32 v5, v[0:1], off
	s_and_not1_b32 s0, s28, exec_lo
	s_waitcnt vmcnt(0)
	v_and_b32_e32 v5, 0x7fff7fff, v5
	s_delay_alu instid0(VALU_DEP_1) | instskip(SKIP_1) | instid1(SALU_CYCLE_1)
	v_cmp_ne_u32_e32 vcc_lo, 0, v5
	s_and_b32 s28, vcc_lo, exec_lo
	s_or_b32 s28, s0, s28
.LBB142_996:
	s_mov_b32 s0, 0
.LBB142_997:
	s_delay_alu instid0(SALU_CYCLE_1)
	s_and_not1_b32 vcc_lo, exec_lo, s0
	s_cbranch_vccnz .LBB142_1008
; %bb.998:
	v_cmp_gt_i16_e32 vcc_lo, 6, v4
	s_cbranch_vccnz .LBB142_1001
; %bb.999:
	v_cmp_lt_i16_e32 vcc_lo, 6, v4
	s_cbranch_vccz .LBB142_1002
; %bb.1000:
	global_load_b64 v[5:6], v[0:1], off
	s_mov_b32 s0, 0
	s_waitcnt vmcnt(0)
	v_cmp_neq_f64_e32 vcc_lo, 0, v[5:6]
	s_and_b32 s28, vcc_lo, exec_lo
	s_branch .LBB142_1003
.LBB142_1001:
	s_mov_b32 s0, -1
                                        ; implicit-def: $sgpr28
	s_branch .LBB142_1006
.LBB142_1002:
	s_mov_b32 s0, -1
                                        ; implicit-def: $sgpr28
.LBB142_1003:
	s_delay_alu instid0(SALU_CYCLE_1)
	s_and_not1_b32 vcc_lo, exec_lo, s0
	s_cbranch_vccnz .LBB142_1005
; %bb.1004:
	global_load_b32 v5, v[0:1], off
	s_and_not1_b32 s0, s28, exec_lo
	s_waitcnt vmcnt(0)
	v_cmp_neq_f32_e32 vcc_lo, 0, v5
	s_and_b32 s28, vcc_lo, exec_lo
	s_delay_alu instid0(SALU_CYCLE_1)
	s_or_b32 s28, s0, s28
.LBB142_1005:
	s_mov_b32 s0, 0
.LBB142_1006:
	s_delay_alu instid0(SALU_CYCLE_1)
	s_and_not1_b32 vcc_lo, exec_lo, s0
	s_cbranch_vccnz .LBB142_1008
; %bb.1007:
	global_load_u16 v5, v[0:1], off
	s_and_not1_b32 s0, s28, exec_lo
	s_waitcnt vmcnt(0)
	v_and_b32_e32 v5, 0x7fff, v5
	s_delay_alu instid0(VALU_DEP_1) | instskip(SKIP_1) | instid1(SALU_CYCLE_1)
	v_cmp_ne_u16_e32 vcc_lo, 0, v5
	s_and_b32 s28, vcc_lo, exec_lo
	s_or_b32 s28, s0, s28
.LBB142_1008:
	s_mov_b32 s0, 0
.LBB142_1009:
	s_delay_alu instid0(SALU_CYCLE_1)
	s_and_not1_b32 vcc_lo, exec_lo, s0
	s_cbranch_vccnz .LBB142_1029
; %bb.1010:
	v_cmp_gt_i16_e32 vcc_lo, 2, v4
	s_cbranch_vccnz .LBB142_1014
; %bb.1011:
	v_cmp_gt_i16_e32 vcc_lo, 3, v4
	s_cbranch_vccnz .LBB142_1015
; %bb.1012:
	v_cmp_lt_i16_e32 vcc_lo, 3, v4
	s_cbranch_vccz .LBB142_1016
; %bb.1013:
	global_load_b64 v[5:6], v[0:1], off
	s_mov_b32 s0, 0
	s_waitcnt vmcnt(0)
	v_cmp_ne_u64_e32 vcc_lo, 0, v[5:6]
	s_and_b32 s28, vcc_lo, exec_lo
	s_branch .LBB142_1017
.LBB142_1014:
	s_mov_b32 s0, -1
                                        ; implicit-def: $sgpr28
	s_branch .LBB142_1023
.LBB142_1015:
	s_mov_b32 s0, -1
                                        ; implicit-def: $sgpr28
	s_branch .LBB142_1020
.LBB142_1016:
	s_mov_b32 s0, -1
                                        ; implicit-def: $sgpr28
.LBB142_1017:
	s_delay_alu instid0(SALU_CYCLE_1)
	s_and_not1_b32 vcc_lo, exec_lo, s0
	s_cbranch_vccnz .LBB142_1019
; %bb.1018:
	global_load_b32 v5, v[0:1], off
	s_and_not1_b32 s0, s28, exec_lo
	s_waitcnt vmcnt(0)
	v_cmp_ne_u32_e32 vcc_lo, 0, v5
	s_and_b32 s28, vcc_lo, exec_lo
	s_delay_alu instid0(SALU_CYCLE_1)
	s_or_b32 s28, s0, s28
.LBB142_1019:
	s_mov_b32 s0, 0
.LBB142_1020:
	s_delay_alu instid0(SALU_CYCLE_1)
	s_and_not1_b32 vcc_lo, exec_lo, s0
	s_cbranch_vccnz .LBB142_1022
; %bb.1021:
	global_load_u16 v5, v[0:1], off
	s_and_not1_b32 s0, s28, exec_lo
	s_waitcnt vmcnt(0)
	v_cmp_ne_u16_e32 vcc_lo, 0, v5
	s_and_b32 s28, vcc_lo, exec_lo
	s_delay_alu instid0(SALU_CYCLE_1)
	s_or_b32 s28, s0, s28
.LBB142_1022:
	s_mov_b32 s0, 0
.LBB142_1023:
	s_delay_alu instid0(SALU_CYCLE_1)
	s_and_not1_b32 vcc_lo, exec_lo, s0
	s_cbranch_vccnz .LBB142_1029
; %bb.1024:
	v_cmp_lt_i16_e32 vcc_lo, 0, v4
	s_mov_b32 s0, 0
	s_cbranch_vccz .LBB142_1026
; %bb.1025:
	global_load_u8 v4, v[0:1], off
	s_waitcnt vmcnt(0)
	v_cmp_ne_u16_e32 vcc_lo, 0, v4
	s_and_b32 s28, vcc_lo, exec_lo
	s_branch .LBB142_1027
.LBB142_1026:
	s_mov_b32 s0, -1
                                        ; implicit-def: $sgpr28
.LBB142_1027:
	s_delay_alu instid0(SALU_CYCLE_1)
	s_and_not1_b32 vcc_lo, exec_lo, s0
	s_cbranch_vccnz .LBB142_1029
; %bb.1028:
	global_load_u8 v0, v[0:1], off
	s_and_not1_b32 s0, s28, exec_lo
	s_waitcnt vmcnt(0)
	v_cmp_ne_u16_e32 vcc_lo, 0, v0
	s_and_b32 s28, vcc_lo, exec_lo
	s_delay_alu instid0(SALU_CYCLE_1)
	s_or_b32 s28, s0, s28
.LBB142_1029:
	s_mov_b32 s0, -1
.LBB142_1030:
	s_delay_alu instid0(SALU_CYCLE_1)
	s_and_not1_b32 vcc_lo, exec_lo, s0
	s_cbranch_vccnz .LBB142_1038
; %bb.1031:
	v_cndmask_b32_e64 v0, 0, 1.0, s28
	s_waitcnt vmcnt(0)
	v_lshlrev_b32_e32 v1, 16, v3
	v_and_b32_e64 v4, 0xff, s12
	s_delay_alu instid0(VALU_DEP_2) | instskip(SKIP_1) | instid1(VALU_DEP_3)
	v_mul_f32_e32 v0, v1, v0
	v_mul_lo_u32 v1, v2, s8
	v_cmp_gt_i16_e32 vcc_lo, 11, v4
	s_delay_alu instid0(VALU_DEP_3) | instskip(SKIP_1) | instid1(VALU_DEP_3)
	v_mul_f32_e32 v3, s11, v0
	s_and_b32 vcc_lo, exec_lo, vcc_lo
	v_ashrrev_i32_e32 v5, 31, v1
	s_delay_alu instid0(VALU_DEP_2) | instskip(NEXT) | instid1(VALU_DEP_1)
	v_bfe_u32 v0, v3, 16, 1
	v_add3_u32 v0, v3, v0, 0x7fff
	s_delay_alu instid0(VALU_DEP_1) | instskip(SKIP_1) | instid1(VALU_DEP_1)
	v_lshrrev_b32_e32 v6, 16, v0
	v_add_co_u32 v0, s0, s4, v1
	v_add_co_ci_u32_e64 v1, s0, s5, v5, s0
	v_cmp_o_f32_e64 s0, v3, v3
	s_delay_alu instid0(VALU_DEP_1)
	v_cndmask_b32_e64 v3, 0x7fc0, v6, s0
	s_cbranch_vccnz .LBB142_1039
; %bb.1032:
	v_cmp_lt_i16_e32 vcc_lo, 25, v4
	s_cbranch_vccz .LBB142_1040
; %bb.1033:
	v_cmp_lt_i16_e32 vcc_lo, 28, v4
	s_cbranch_vccz .LBB142_1041
	;; [unrolled: 3-line block ×4, first 2 shown]
; %bb.1036:
	v_cmp_eq_u16_e32 vcc_lo, 46, v4
	s_mov_b32 s28, 0
	s_mov_b32 s0, -1
	s_mov_b32 s27, 0
	s_cbranch_vccz .LBB142_1044
; %bb.1037:
	v_and_b32_e32 v5, 0xffff, v3
	s_mov_b32 s27, -1
	s_mov_b32 s0, 0
	global_store_b32 v[0:1], v5, off
	s_branch .LBB142_1044
.LBB142_1038:
	s_mov_b32 s29, 0
	s_mov_b32 s0, s22
	s_branch .LBB142_1155
.LBB142_1039:
	s_mov_b32 s28, -1
	s_mov_b32 s27, 0
	s_mov_b32 s0, s22
	s_branch .LBB142_1113
.LBB142_1040:
	s_mov_b32 s28, -1
	s_mov_b32 s27, 0
	s_mov_b32 s0, s22
	s_branch .LBB142_1071
.LBB142_1041:
	s_mov_b32 s28, -1
	s_mov_b32 s27, 0
	s_mov_b32 s0, s22
	s_branch .LBB142_1054
.LBB142_1042:
	s_mov_b32 s28, -1
	s_mov_b32 s27, 0
	s_mov_b32 s0, s22
	s_branch .LBB142_1050
.LBB142_1043:
	s_mov_b32 s28, -1
	s_mov_b32 s27, 0
	s_mov_b32 s0, s22
.LBB142_1044:
	s_and_b32 vcc_lo, exec_lo, s28
	s_cbranch_vccz .LBB142_1049
; %bb.1045:
	v_cmp_eq_u16_e32 vcc_lo, 44, v4
	s_mov_b32 s0, -1
	s_cbranch_vccz .LBB142_1049
; %bb.1046:
	v_and_b32_e32 v5, 0xffff, v3
	v_mov_b32_e32 v6, 0xff
	s_mov_b32 s27, exec_lo
	s_delay_alu instid0(VALU_DEP_2) | instskip(NEXT) | instid1(VALU_DEP_1)
	v_bfe_u32 v7, v5, 7, 8
	v_cmpx_ne_u32_e32 0xff, v7
; %bb.1047:
	v_lshlrev_b32_e32 v6, 16, v5
	v_and_b32_e32 v8, 64, v5
	v_lshrrev_b32_e32 v5, 7, v5
	s_delay_alu instid0(VALU_DEP_3) | instskip(NEXT) | instid1(VALU_DEP_3)
	v_and_or_b32 v6, 0x3f0000, v6, v7
	v_cmp_ne_u32_e32 vcc_lo, 0, v8
	s_delay_alu instid0(VALU_DEP_2) | instskip(NEXT) | instid1(VALU_DEP_1)
	v_cmp_ne_u32_e64 s0, 0, v6
	s_and_b32 s0, vcc_lo, s0
	s_delay_alu instid0(SALU_CYCLE_1) | instskip(NEXT) | instid1(VALU_DEP_1)
	v_cndmask_b32_e64 v6, 0, 1, s0
	v_add_nc_u32_e32 v6, v5, v6
; %bb.1048:
	s_or_b32 exec_lo, exec_lo, s27
	s_mov_b32 s27, -1
	s_mov_b32 s0, 0
	global_store_b8 v[0:1], v6, off
.LBB142_1049:
	s_mov_b32 s28, 0
.LBB142_1050:
	s_delay_alu instid0(SALU_CYCLE_1)
	s_and_b32 vcc_lo, exec_lo, s28
	s_cbranch_vccz .LBB142_1053
; %bb.1051:
	v_cmp_eq_u16_e32 vcc_lo, 29, v4
	s_mov_b32 s0, -1
	s_cbranch_vccz .LBB142_1053
; %bb.1052:
	v_lshlrev_b32_e32 v5, 16, v3
	s_mov_b32 s27, -1
	s_mov_b32 s0, 0
	s_mov_b32 s28, 0
	s_delay_alu instid0(VALU_DEP_1) | instskip(NEXT) | instid1(VALU_DEP_1)
	v_trunc_f32_e32 v5, v5
	v_mul_f32_e32 v6, 0x2f800000, v5
	s_delay_alu instid0(VALU_DEP_1) | instskip(NEXT) | instid1(VALU_DEP_1)
	v_floor_f32_e32 v6, v6
	v_fmamk_f32 v5, v6, 0xcf800000, v5
	v_cvt_u32_f32_e32 v6, v6
	s_delay_alu instid0(VALU_DEP_2)
	v_cvt_u32_f32_e32 v5, v5
	global_store_b64 v[0:1], v[5:6], off
	s_branch .LBB142_1054
.LBB142_1053:
	s_mov_b32 s28, 0
.LBB142_1054:
	s_delay_alu instid0(SALU_CYCLE_1)
	s_and_b32 vcc_lo, exec_lo, s28
	s_cbranch_vccz .LBB142_1070
; %bb.1055:
	v_cmp_gt_i16_e32 vcc_lo, 27, v4
	s_mov_b32 s27, -1
	s_cbranch_vccnz .LBB142_1061
; %bb.1056:
	v_cmp_lt_i16_e32 vcc_lo, 27, v4
	s_cbranch_vccz .LBB142_1058
; %bb.1057:
	v_lshlrev_b32_e32 v5, 16, v3
	s_mov_b32 s27, 0
	s_delay_alu instid0(VALU_DEP_1)
	v_cvt_u32_f32_e32 v5, v5
	global_store_b32 v[0:1], v5, off
.LBB142_1058:
	s_and_not1_b32 vcc_lo, exec_lo, s27
	s_cbranch_vccnz .LBB142_1060
; %bb.1059:
	v_lshlrev_b32_e32 v5, 16, v3
	s_delay_alu instid0(VALU_DEP_1)
	v_cvt_u32_f32_e32 v5, v5
	global_store_b16 v[0:1], v5, off
.LBB142_1060:
	s_mov_b32 s27, 0
.LBB142_1061:
	s_delay_alu instid0(SALU_CYCLE_1)
	s_and_not1_b32 vcc_lo, exec_lo, s27
	s_cbranch_vccnz .LBB142_1069
; %bb.1062:
	v_dual_mov_b32 v8, 0x80 :: v_dual_lshlrev_b32 v7, 16, v3
	s_mov_b32 s27, exec_lo
	s_delay_alu instid0(VALU_DEP_1) | instskip(NEXT) | instid1(VALU_DEP_1)
	v_and_b32_e32 v6, 0x7fffffff, v7
	v_cmpx_gt_u32_e32 0x43800000, v6
	s_cbranch_execz .LBB142_1068
; %bb.1063:
	v_and_b32_e32 v5, 0xffff, v3
	v_cmp_lt_u32_e32 vcc_lo, 0x3bffffff, v6
	s_mov_b32 s28, 0
                                        ; implicit-def: $vgpr6
	s_and_saveexec_b32 s29, vcc_lo
	s_delay_alu instid0(SALU_CYCLE_1)
	s_xor_b32 s29, exec_lo, s29
	s_cbranch_execz .LBB142_1171
; %bb.1064:
	v_bfe_u32 v6, v5, 4, 1
	s_mov_b32 s28, exec_lo
	s_delay_alu instid0(VALU_DEP_1) | instskip(NEXT) | instid1(VALU_DEP_1)
	v_add3_u32 v6, v7, v6, 0x487ffff
                                        ; implicit-def: $vgpr7
	v_lshrrev_b32_e32 v6, 20, v6
	s_or_saveexec_b32 s29, s29
                                        ; implicit-def: $sgpr30
	s_delay_alu instid0(SALU_CYCLE_1)
	s_xor_b32 exec_lo, exec_lo, s29
	s_cbranch_execnz .LBB142_1172
.LBB142_1065:
	s_or_b32 exec_lo, exec_lo, s29
	v_mov_b32_e32 v8, s30
	s_and_saveexec_b32 s29, s28
.LBB142_1066:
	v_lshrrev_b32_e32 v5, 8, v5
	s_delay_alu instid0(VALU_DEP_1)
	v_and_or_b32 v8, 0x80, v5, v6
.LBB142_1067:
	s_or_b32 exec_lo, exec_lo, s29
.LBB142_1068:
	s_delay_alu instid0(SALU_CYCLE_1)
	s_or_b32 exec_lo, exec_lo, s27
	global_store_b8 v[0:1], v8, off
.LBB142_1069:
	s_mov_b32 s27, -1
.LBB142_1070:
	s_mov_b32 s28, 0
.LBB142_1071:
	s_delay_alu instid0(SALU_CYCLE_1)
	s_and_b32 vcc_lo, exec_lo, s28
	s_cbranch_vccz .LBB142_1112
; %bb.1072:
	v_cmp_lt_i16_e32 vcc_lo, 22, v4
	s_mov_b32 s28, -1
	s_cbranch_vccz .LBB142_1104
; %bb.1073:
	v_cmp_gt_i16_e32 vcc_lo, 24, v4
	s_mov_b32 s27, -1
	s_cbranch_vccnz .LBB142_1093
; %bb.1074:
	v_cmp_lt_i16_e32 vcc_lo, 24, v4
	s_cbranch_vccz .LBB142_1082
; %bb.1075:
	v_dual_mov_b32 v8, 0x80 :: v_dual_lshlrev_b32 v7, 16, v3
	s_mov_b32 s27, exec_lo
	s_delay_alu instid0(VALU_DEP_1) | instskip(NEXT) | instid1(VALU_DEP_1)
	v_and_b32_e32 v6, 0x7fffffff, v7
	v_cmpx_gt_u32_e32 0x47800000, v6
	s_cbranch_execz .LBB142_1081
; %bb.1076:
	v_and_b32_e32 v5, 0xffff, v3
	v_cmp_lt_u32_e32 vcc_lo, 0x37ffffff, v6
	s_mov_b32 s28, 0
                                        ; implicit-def: $vgpr6
	s_and_saveexec_b32 s29, vcc_lo
	s_delay_alu instid0(SALU_CYCLE_1)
	s_xor_b32 s29, exec_lo, s29
	s_cbranch_execz .LBB142_2220
; %bb.1077:
	v_bfe_u32 v6, v5, 5, 1
	s_mov_b32 s28, exec_lo
	s_delay_alu instid0(VALU_DEP_1) | instskip(NEXT) | instid1(VALU_DEP_1)
	v_add3_u32 v6, v7, v6, 0x88fffff
                                        ; implicit-def: $vgpr7
	v_lshrrev_b32_e32 v6, 21, v6
	s_or_saveexec_b32 s29, s29
                                        ; implicit-def: $sgpr30
	s_delay_alu instid0(SALU_CYCLE_1)
	s_xor_b32 exec_lo, exec_lo, s29
	s_cbranch_execnz .LBB142_2221
.LBB142_1078:
	s_or_b32 exec_lo, exec_lo, s29
	v_mov_b32_e32 v8, s30
	s_and_saveexec_b32 s29, s28
.LBB142_1079:
	v_lshrrev_b32_e32 v5, 8, v5
	s_delay_alu instid0(VALU_DEP_1)
	v_and_or_b32 v8, 0x80, v5, v6
.LBB142_1080:
	s_or_b32 exec_lo, exec_lo, s29
.LBB142_1081:
	s_delay_alu instid0(SALU_CYCLE_1)
	s_or_b32 exec_lo, exec_lo, s27
	s_mov_b32 s27, 0
	global_store_b8 v[0:1], v8, off
.LBB142_1082:
	s_and_b32 vcc_lo, exec_lo, s27
	s_cbranch_vccz .LBB142_1092
; %bb.1083:
	v_lshlrev_b32_e32 v7, 16, v3
	v_and_b32_e32 v5, 0xffff, v3
	s_mov_b32 s27, exec_lo
                                        ; implicit-def: $vgpr6
	s_delay_alu instid0(VALU_DEP_2) | instskip(NEXT) | instid1(VALU_DEP_1)
	v_and_b32_e32 v8, 0x7fffffff, v7
	v_cmpx_gt_u32_e32 0x43f00000, v8
	s_xor_b32 s27, exec_lo, s27
	s_cbranch_execz .LBB142_1089
; %bb.1084:
	s_mov_b32 s28, exec_lo
                                        ; implicit-def: $vgpr6
	v_cmpx_lt_u32_e32 0x3c7fffff, v8
	s_xor_b32 s28, exec_lo, s28
; %bb.1085:
	v_bfe_u32 v6, v5, 4, 1
	s_delay_alu instid0(VALU_DEP_1) | instskip(NEXT) | instid1(VALU_DEP_1)
	v_add3_u32 v6, v7, v6, 0x407ffff
	v_and_b32_e32 v7, 0xff00000, v6
	v_lshrrev_b32_e32 v6, 20, v6
	s_delay_alu instid0(VALU_DEP_2) | instskip(NEXT) | instid1(VALU_DEP_2)
	v_cmp_ne_u32_e32 vcc_lo, 0x7f00000, v7
                                        ; implicit-def: $vgpr7
	v_cndmask_b32_e32 v6, 0x7e, v6, vcc_lo
; %bb.1086:
	s_and_not1_saveexec_b32 s28, s28
; %bb.1087:
	v_add_f32_e64 v6, 0x46800000, |v7|
; %bb.1088:
	s_or_b32 exec_lo, exec_lo, s28
                                        ; implicit-def: $vgpr8
.LBB142_1089:
	s_and_not1_saveexec_b32 s27, s27
; %bb.1090:
	v_mov_b32_e32 v6, 0x7f
	v_cmp_lt_u32_e32 vcc_lo, 0x7f800000, v8
	s_delay_alu instid0(VALU_DEP_2)
	v_cndmask_b32_e32 v6, 0x7e, v6, vcc_lo
; %bb.1091:
	s_or_b32 exec_lo, exec_lo, s27
	v_lshrrev_b32_e32 v5, 8, v5
	s_delay_alu instid0(VALU_DEP_1)
	v_and_or_b32 v5, 0x80, v5, v6
	global_store_b8 v[0:1], v5, off
.LBB142_1092:
	s_mov_b32 s27, 0
.LBB142_1093:
	s_delay_alu instid0(SALU_CYCLE_1)
	s_and_not1_b32 vcc_lo, exec_lo, s27
	s_cbranch_vccnz .LBB142_1103
; %bb.1094:
	v_lshlrev_b32_e32 v7, 16, v3
	v_and_b32_e32 v5, 0xffff, v3
	s_mov_b32 s27, exec_lo
                                        ; implicit-def: $vgpr6
	s_delay_alu instid0(VALU_DEP_2) | instskip(NEXT) | instid1(VALU_DEP_1)
	v_and_b32_e32 v8, 0x7fffffff, v7
	v_cmpx_gt_u32_e32 0x47800000, v8
	s_xor_b32 s27, exec_lo, s27
	s_cbranch_execz .LBB142_1100
; %bb.1095:
	s_mov_b32 s28, exec_lo
                                        ; implicit-def: $vgpr6
	v_cmpx_lt_u32_e32 0x387fffff, v8
	s_xor_b32 s28, exec_lo, s28
; %bb.1096:
	v_bfe_u32 v6, v5, 5, 1
	s_delay_alu instid0(VALU_DEP_1) | instskip(NEXT) | instid1(VALU_DEP_1)
	v_add3_u32 v6, v7, v6, 0x80fffff
                                        ; implicit-def: $vgpr7
	v_lshrrev_b32_e32 v6, 21, v6
; %bb.1097:
	s_and_not1_saveexec_b32 s28, s28
; %bb.1098:
	v_add_f32_e64 v6, 0x43000000, |v7|
; %bb.1099:
	s_or_b32 exec_lo, exec_lo, s28
                                        ; implicit-def: $vgpr8
.LBB142_1100:
	s_and_not1_saveexec_b32 s27, s27
; %bb.1101:
	v_mov_b32_e32 v6, 0x7f
	v_cmp_lt_u32_e32 vcc_lo, 0x7f800000, v8
	s_delay_alu instid0(VALU_DEP_2)
	v_cndmask_b32_e32 v6, 0x7c, v6, vcc_lo
; %bb.1102:
	s_or_b32 exec_lo, exec_lo, s27
	v_lshrrev_b32_e32 v5, 8, v5
	s_delay_alu instid0(VALU_DEP_1)
	v_and_or_b32 v5, 0x80, v5, v6
	global_store_b8 v[0:1], v5, off
.LBB142_1103:
	s_mov_b32 s28, 0
	s_mov_b32 s27, -1
.LBB142_1104:
	s_and_not1_b32 vcc_lo, exec_lo, s28
	s_cbranch_vccnz .LBB142_1112
; %bb.1105:
	v_cmp_lt_i16_e32 vcc_lo, 14, v4
	s_mov_b32 s28, -1
	s_cbranch_vccz .LBB142_1109
; %bb.1106:
	v_cmp_eq_u16_e32 vcc_lo, 15, v4
	s_mov_b32 s0, -1
	s_cbranch_vccz .LBB142_1108
; %bb.1107:
	s_mov_b32 s27, -1
	s_mov_b32 s0, 0
	global_store_b16 v[0:1], v3, off
.LBB142_1108:
	s_mov_b32 s28, 0
.LBB142_1109:
	s_delay_alu instid0(SALU_CYCLE_1)
	s_and_b32 vcc_lo, exec_lo, s28
	s_cbranch_vccz .LBB142_1112
; %bb.1110:
	v_cmp_eq_u16_e32 vcc_lo, 11, v4
	s_mov_b32 s0, -1
	s_cbranch_vccz .LBB142_1112
; %bb.1111:
	v_and_b32_e32 v5, 0x7fff, v3
	s_mov_b32 s0, 0
	s_mov_b32 s27, -1
	s_delay_alu instid0(VALU_DEP_1)
	v_cmp_ne_u16_e32 vcc_lo, 0, v5
	v_cndmask_b32_e64 v5, 0, 1, vcc_lo
	global_store_b8 v[0:1], v5, off
.LBB142_1112:
	s_mov_b32 s28, 0
.LBB142_1113:
	s_delay_alu instid0(SALU_CYCLE_1)
	s_and_b32 vcc_lo, exec_lo, s28
	s_cbranch_vccz .LBB142_1152
; %bb.1114:
	v_cmp_gt_i16_e32 vcc_lo, 5, v4
	s_mov_b32 s27, -1
	s_cbranch_vccnz .LBB142_1135
; %bb.1115:
	v_cmp_gt_i16_e32 vcc_lo, 8, v4
	s_cbranch_vccnz .LBB142_1125
; %bb.1116:
	v_cmp_gt_i16_e32 vcc_lo, 9, v4
	s_cbranch_vccnz .LBB142_1122
; %bb.1117:
	v_cmp_lt_i16_e32 vcc_lo, 9, v4
	s_cbranch_vccz .LBB142_1119
; %bb.1118:
	v_mov_b32_e32 v7, 0
	v_lshlrev_b32_e32 v5, 16, v3
	s_mov_b32 s27, 0
	s_delay_alu instid0(VALU_DEP_2) | instskip(NEXT) | instid1(VALU_DEP_2)
	v_mov_b32_e32 v8, v7
	v_cvt_f64_f32_e32 v[5:6], v5
	global_store_b128 v[0:1], v[5:8], off
.LBB142_1119:
	s_and_not1_b32 vcc_lo, exec_lo, s27
	s_cbranch_vccnz .LBB142_1121
; %bb.1120:
	v_dual_mov_b32 v6, 0 :: v_dual_lshlrev_b32 v5, 16, v3
	global_store_b64 v[0:1], v[5:6], off
.LBB142_1121:
	s_mov_b32 s27, 0
.LBB142_1122:
	s_delay_alu instid0(SALU_CYCLE_1)
	s_and_not1_b32 vcc_lo, exec_lo, s27
	s_cbranch_vccnz .LBB142_1124
; %bb.1123:
	v_lshlrev_b32_e32 v5, 16, v3
	s_delay_alu instid0(VALU_DEP_1) | instskip(NEXT) | instid1(VALU_DEP_1)
	v_cvt_f16_f32_e32 v5, v5
	v_and_b32_e32 v5, 0xffff, v5
	global_store_b32 v[0:1], v5, off
.LBB142_1124:
	s_mov_b32 s27, 0
.LBB142_1125:
	s_delay_alu instid0(SALU_CYCLE_1)
	s_and_not1_b32 vcc_lo, exec_lo, s27
	s_cbranch_vccnz .LBB142_1134
; %bb.1126:
	v_cmp_gt_i16_e32 vcc_lo, 6, v4
	s_mov_b32 s27, -1
	s_cbranch_vccnz .LBB142_1132
; %bb.1127:
	v_cmp_lt_i16_e32 vcc_lo, 6, v4
	s_cbranch_vccz .LBB142_1129
; %bb.1128:
	v_lshlrev_b32_e32 v5, 16, v3
	s_mov_b32 s27, 0
	s_delay_alu instid0(VALU_DEP_1)
	v_cvt_f64_f32_e32 v[5:6], v5
	global_store_b64 v[0:1], v[5:6], off
.LBB142_1129:
	s_and_not1_b32 vcc_lo, exec_lo, s27
	s_cbranch_vccnz .LBB142_1131
; %bb.1130:
	v_lshlrev_b32_e32 v5, 16, v3
	global_store_b32 v[0:1], v5, off
.LBB142_1131:
	s_mov_b32 s27, 0
.LBB142_1132:
	s_delay_alu instid0(SALU_CYCLE_1)
	s_and_not1_b32 vcc_lo, exec_lo, s27
	s_cbranch_vccnz .LBB142_1134
; %bb.1133:
	v_lshlrev_b32_e32 v5, 16, v3
	s_delay_alu instid0(VALU_DEP_1)
	v_cvt_f16_f32_e32 v5, v5
	global_store_b16 v[0:1], v5, off
.LBB142_1134:
	s_mov_b32 s27, 0
.LBB142_1135:
	s_delay_alu instid0(SALU_CYCLE_1)
	s_and_not1_b32 vcc_lo, exec_lo, s27
	s_cbranch_vccnz .LBB142_1151
; %bb.1136:
	v_cmp_gt_i16_e32 vcc_lo, 2, v4
	s_mov_b32 s27, -1
	s_cbranch_vccnz .LBB142_1146
; %bb.1137:
	v_cmp_gt_i16_e32 vcc_lo, 3, v4
	s_cbranch_vccnz .LBB142_1143
; %bb.1138:
	v_cmp_lt_i16_e32 vcc_lo, 3, v4
	s_cbranch_vccz .LBB142_1140
; %bb.1139:
	v_lshlrev_b32_e32 v5, 16, v3
	s_mov_b32 s27, 0
	s_delay_alu instid0(VALU_DEP_1) | instskip(NEXT) | instid1(VALU_DEP_1)
	v_trunc_f32_e32 v5, v5
	v_mul_f32_e64 v6, 0x2f800000, |v5|
	v_ashrrev_i32_e32 v8, 31, v5
	s_delay_alu instid0(VALU_DEP_2) | instskip(NEXT) | instid1(VALU_DEP_1)
	v_floor_f32_e32 v6, v6
	v_fma_f32 v7, 0xcf800000, v6, |v5|
	v_cvt_u32_f32_e32 v6, v6
	s_delay_alu instid0(VALU_DEP_2) | instskip(NEXT) | instid1(VALU_DEP_2)
	v_cvt_u32_f32_e32 v5, v7
	v_xor_b32_e32 v6, v6, v8
	s_delay_alu instid0(VALU_DEP_2) | instskip(NEXT) | instid1(VALU_DEP_1)
	v_xor_b32_e32 v5, v5, v8
	v_sub_co_u32 v5, vcc_lo, v5, v8
	s_delay_alu instid0(VALU_DEP_3)
	v_sub_co_ci_u32_e32 v6, vcc_lo, v6, v8, vcc_lo
	global_store_b64 v[0:1], v[5:6], off
.LBB142_1140:
	s_and_not1_b32 vcc_lo, exec_lo, s27
	s_cbranch_vccnz .LBB142_1142
; %bb.1141:
	v_lshlrev_b32_e32 v5, 16, v3
	s_delay_alu instid0(VALU_DEP_1)
	v_cvt_i32_f32_e32 v5, v5
	global_store_b32 v[0:1], v5, off
.LBB142_1142:
	s_mov_b32 s27, 0
.LBB142_1143:
	s_delay_alu instid0(SALU_CYCLE_1)
	s_and_not1_b32 vcc_lo, exec_lo, s27
	s_cbranch_vccnz .LBB142_1145
; %bb.1144:
	v_lshlrev_b32_e32 v5, 16, v3
	s_delay_alu instid0(VALU_DEP_1)
	v_cvt_i32_f32_e32 v5, v5
	global_store_b16 v[0:1], v5, off
.LBB142_1145:
	s_mov_b32 s27, 0
.LBB142_1146:
	s_delay_alu instid0(SALU_CYCLE_1)
	s_and_not1_b32 vcc_lo, exec_lo, s27
	s_cbranch_vccnz .LBB142_1151
; %bb.1147:
	v_cmp_lt_i16_e32 vcc_lo, 0, v4
	s_mov_b32 s27, -1
	s_cbranch_vccz .LBB142_1149
; %bb.1148:
	v_lshlrev_b32_e32 v4, 16, v3
	s_mov_b32 s27, 0
	s_delay_alu instid0(VALU_DEP_1)
	v_cvt_i32_f32_e32 v4, v4
	global_store_b8 v[0:1], v4, off
.LBB142_1149:
	s_and_not1_b32 vcc_lo, exec_lo, s27
	s_cbranch_vccnz .LBB142_1151
; %bb.1150:
	v_lshlrev_b32_e32 v3, 16, v3
	s_delay_alu instid0(VALU_DEP_1) | instskip(NEXT) | instid1(VALU_DEP_1)
	v_trunc_f32_e32 v3, v3
	v_mul_f32_e64 v4, 0x2f800000, |v3|
	s_delay_alu instid0(VALU_DEP_1) | instskip(NEXT) | instid1(VALU_DEP_1)
	v_floor_f32_e32 v4, v4
	v_fma_f32 v4, 0xcf800000, v4, |v3|
	v_ashrrev_i32_e32 v3, 31, v3
	s_delay_alu instid0(VALU_DEP_2) | instskip(NEXT) | instid1(VALU_DEP_1)
	v_cvt_u32_f32_e32 v4, v4
	v_xor_b32_e32 v4, v4, v3
	s_delay_alu instid0(VALU_DEP_1)
	v_sub_nc_u32_e32 v3, v4, v3
	global_store_b8 v[0:1], v3, off
.LBB142_1151:
	s_mov_b32 s27, -1
.LBB142_1152:
	s_delay_alu instid0(SALU_CYCLE_1)
	s_and_not1_b32 vcc_lo, exec_lo, s27
	s_mov_b32 s27, 0
	s_cbranch_vccnz .LBB142_1154
; %bb.1153:
	v_add_nc_u32_e32 v2, 0x80, v2
	s_mov_b32 s29, -1
	s_branch .LBB142_1156
.LBB142_1154:
	s_mov_b32 s29, 0
.LBB142_1155:
                                        ; implicit-def: $vgpr2
.LBB142_1156:
	s_and_not1_b32 s28, s22, exec_lo
	s_and_b32 s0, s0, exec_lo
	s_and_b32 s27, s27, exec_lo
	s_or_b32 s28, s28, s0
	s_and_not1_b32 s0, s23, exec_lo
	s_and_not1_b32 s30, s21, exec_lo
	s_and_b32 s26, s26, exec_lo
	s_or_b32 s27, s0, s27
	s_or_b32 s26, s30, s26
	s_or_not1_b32 s31, s29, exec_lo
.LBB142_1157:
	s_or_b32 exec_lo, exec_lo, s25
	s_mov_b32 s29, 0
	s_mov_b32 s30, 0
	;; [unrolled: 1-line block ×3, first 2 shown]
                                        ; implicit-def: $vgpr4
                                        ; implicit-def: $vgpr0_vgpr1
                                        ; implicit-def: $vgpr3
	s_and_saveexec_b32 s25, s31
	s_cbranch_execz .LBB142_1240
; %bb.1158:
	v_cmp_gt_i32_e32 vcc_lo, s17, v2
	s_mov_b32 s31, s26
	s_mov_b32 s33, 0
                                        ; implicit-def: $vgpr4
                                        ; implicit-def: $vgpr0_vgpr1
                                        ; implicit-def: $vgpr3
	s_and_saveexec_b32 s17, vcc_lo
	s_cbranch_execz .LBB142_1239
; %bb.1159:
	v_mul_lo_u32 v0, v2, s9
	v_and_b32_e64 v4, 0xff, s14
	s_delay_alu instid0(VALU_DEP_1) | instskip(NEXT) | instid1(VALU_DEP_3)
	v_cmp_gt_i16_e32 vcc_lo, 11, v4
	v_ashrrev_i32_e32 v1, 31, v0
	v_add_co_u32 v0, s0, s6, v0
	s_delay_alu instid0(VALU_DEP_1)
	v_add_co_ci_u32_e64 v1, s0, s7, v1, s0
	s_cbranch_vccnz .LBB142_1166
; %bb.1160:
	v_cmp_lt_i16_e32 vcc_lo, 25, v4
	s_cbranch_vccz .LBB142_1167
; %bb.1161:
	v_cmp_lt_i16_e32 vcc_lo, 28, v4
	s_cbranch_vccz .LBB142_1168
	;; [unrolled: 3-line block ×4, first 2 shown]
; %bb.1164:
	v_cmp_eq_u16_e32 vcc_lo, 46, v4
	s_mov_b32 s31, 0
	s_cbranch_vccz .LBB142_1173
; %bb.1165:
	global_load_b32 v3, v[0:1], off
	s_mov_b32 s0, 0
	s_mov_b32 s30, -1
	s_branch .LBB142_1175
.LBB142_1166:
	s_mov_b32 s31, -1
	s_mov_b32 s0, s26
                                        ; implicit-def: $vgpr3
	s_branch .LBB142_1238
.LBB142_1167:
	s_mov_b32 s31, -1
	s_mov_b32 s0, s26
                                        ; implicit-def: $vgpr3
	s_branch .LBB142_1204
.LBB142_1168:
	s_mov_b32 s31, -1
	s_mov_b32 s0, s26
                                        ; implicit-def: $vgpr3
	s_branch .LBB142_1185
.LBB142_1169:
	s_mov_b32 s31, -1
	s_mov_b32 s0, s26
                                        ; implicit-def: $vgpr3
	s_branch .LBB142_1180
.LBB142_1170:
	s_mov_b32 s31, -1
	s_mov_b32 s0, s26
	s_branch .LBB142_1174
.LBB142_1171:
	s_or_saveexec_b32 s29, s29
                                        ; implicit-def: $sgpr30
	s_delay_alu instid0(SALU_CYCLE_1)
	s_xor_b32 exec_lo, exec_lo, s29
	s_cbranch_execz .LBB142_1065
.LBB142_1172:
	v_add_f32_e64 v6, 0x46000000, |v7|
	s_and_not1_b32 s28, s28, exec_lo
	s_mov_b32 s30, 0
	s_delay_alu instid0(VALU_DEP_1) | instskip(NEXT) | instid1(VALU_DEP_1)
	v_and_b32_e32 v6, 0xff, v6
	v_cmp_ne_u32_e32 vcc_lo, 0, v6
	s_and_b32 s31, vcc_lo, exec_lo
	s_delay_alu instid0(SALU_CYCLE_1)
	s_or_b32 s28, s28, s31
	s_or_b32 exec_lo, exec_lo, s29
	v_mov_b32_e32 v8, s30
	s_and_saveexec_b32 s29, s28
	s_cbranch_execnz .LBB142_1066
	s_branch .LBB142_1067
.LBB142_1173:
	s_mov_b32 s0, -1
.LBB142_1174:
                                        ; implicit-def: $vgpr3
.LBB142_1175:
	s_and_b32 vcc_lo, exec_lo, s31
	s_cbranch_vccz .LBB142_1179
; %bb.1176:
	v_cmp_eq_u16_e32 vcc_lo, 44, v4
	s_cbranch_vccz .LBB142_1178
; %bb.1177:
	global_load_u8 v3, v[0:1], off
	s_mov_b32 s0, 0
	s_mov_b32 s30, -1
	s_waitcnt vmcnt(0)
	v_lshlrev_b32_e32 v5, 23, v3
	v_cmp_ne_u32_e32 vcc_lo, 0xff, v3
	s_delay_alu instid0(VALU_DEP_2) | instskip(SKIP_1) | instid1(VALU_DEP_2)
	v_cndmask_b32_e32 v5, 0x7f800001, v5, vcc_lo
	v_cmp_ne_u32_e32 vcc_lo, 0, v3
	v_cndmask_b32_e32 v3, 0x400000, v5, vcc_lo
	s_delay_alu instid0(VALU_DEP_1) | instskip(SKIP_1) | instid1(VALU_DEP_2)
	v_add_nc_u32_e32 v5, 0x7fff, v3
	v_cmp_o_f32_e32 vcc_lo, v3, v3
	v_lshrrev_b32_e32 v5, 16, v5
	s_delay_alu instid0(VALU_DEP_1)
	v_cndmask_b32_e32 v3, 0x7fc0, v5, vcc_lo
	s_branch .LBB142_1179
.LBB142_1178:
	s_mov_b32 s0, -1
                                        ; implicit-def: $vgpr3
.LBB142_1179:
	s_mov_b32 s31, 0
.LBB142_1180:
	s_delay_alu instid0(SALU_CYCLE_1)
	s_and_b32 vcc_lo, exec_lo, s31
	s_cbranch_vccz .LBB142_1184
; %bb.1181:
	v_cmp_eq_u16_e32 vcc_lo, 29, v4
	s_cbranch_vccz .LBB142_1183
; %bb.1182:
	global_load_b64 v[5:6], v[0:1], off
	s_mov_b32 s0, 0
	s_mov_b32 s30, -1
	s_mov_b32 s31, 0
	s_waitcnt vmcnt(0)
	v_clz_i32_u32_e32 v3, v6
	s_delay_alu instid0(VALU_DEP_1) | instskip(NEXT) | instid1(VALU_DEP_1)
	v_min_u32_e32 v3, 32, v3
	v_lshlrev_b64 v[5:6], v3, v[5:6]
	v_sub_nc_u32_e32 v3, 32, v3
	s_delay_alu instid0(VALU_DEP_2) | instskip(NEXT) | instid1(VALU_DEP_1)
	v_min_u32_e32 v5, 1, v5
	v_or_b32_e32 v5, v6, v5
	s_delay_alu instid0(VALU_DEP_1) | instskip(NEXT) | instid1(VALU_DEP_1)
	v_cvt_f32_u32_e32 v5, v5
	v_ldexp_f32 v3, v5, v3
	s_delay_alu instid0(VALU_DEP_1) | instskip(NEXT) | instid1(VALU_DEP_1)
	v_bfe_u32 v5, v3, 16, 1
	v_add3_u32 v3, v3, v5, 0x7fff
	s_delay_alu instid0(VALU_DEP_1)
	v_lshrrev_b32_e32 v3, 16, v3
	s_branch .LBB142_1185
.LBB142_1183:
	s_mov_b32 s0, -1
                                        ; implicit-def: $vgpr3
.LBB142_1184:
	s_mov_b32 s31, 0
.LBB142_1185:
	s_delay_alu instid0(SALU_CYCLE_1)
	s_and_b32 vcc_lo, exec_lo, s31
	s_cbranch_vccz .LBB142_1203
; %bb.1186:
	v_cmp_gt_i16_e32 vcc_lo, 27, v4
	s_cbranch_vccnz .LBB142_1189
; %bb.1187:
	v_cmp_lt_i16_e32 vcc_lo, 27, v4
	s_cbranch_vccz .LBB142_1190
; %bb.1188:
	global_load_b32 v3, v[0:1], off
	s_mov_b32 s30, 0
	s_waitcnt vmcnt(0)
	v_cvt_f32_u32_e32 v3, v3
	s_delay_alu instid0(VALU_DEP_1) | instskip(NEXT) | instid1(VALU_DEP_1)
	v_bfe_u32 v5, v3, 16, 1
	v_add3_u32 v3, v3, v5, 0x7fff
	s_delay_alu instid0(VALU_DEP_1)
	v_lshrrev_b32_e32 v3, 16, v3
	s_branch .LBB142_1191
.LBB142_1189:
	s_mov_b32 s30, -1
                                        ; implicit-def: $vgpr3
	s_branch .LBB142_1194
.LBB142_1190:
	s_mov_b32 s30, -1
                                        ; implicit-def: $vgpr3
.LBB142_1191:
	s_delay_alu instid0(SALU_CYCLE_1)
	s_and_not1_b32 vcc_lo, exec_lo, s30
	s_cbranch_vccnz .LBB142_1193
; %bb.1192:
	global_load_u16 v3, v[0:1], off
	s_waitcnt vmcnt(0)
	v_cvt_f32_u32_e32 v3, v3
	s_delay_alu instid0(VALU_DEP_1) | instskip(NEXT) | instid1(VALU_DEP_1)
	v_bfe_u32 v5, v3, 16, 1
	v_add3_u32 v3, v3, v5, 0x7fff
	s_delay_alu instid0(VALU_DEP_1)
	v_lshrrev_b32_e32 v3, 16, v3
.LBB142_1193:
	s_mov_b32 s30, 0
.LBB142_1194:
	s_delay_alu instid0(SALU_CYCLE_1)
	s_and_not1_b32 vcc_lo, exec_lo, s30
	s_cbranch_vccnz .LBB142_1202
; %bb.1195:
	global_load_u8 v3, v[0:1], off
	s_mov_b32 s30, 0
	s_mov_b32 s33, exec_lo
                                        ; implicit-def: $sgpr31
	s_waitcnt vmcnt(0)
	v_cmpx_lt_i16_e32 0x7f, v3
	s_xor_b32 s33, exec_lo, s33
	s_cbranch_execz .LBB142_1216
; %bb.1196:
	s_mov_b32 s30, -1
	s_mov_b32 s34, exec_lo
                                        ; implicit-def: $sgpr31
	v_cmpx_eq_u16_e32 0x80, v3
; %bb.1197:
	s_mov_b32 s31, 0x7f800001
	s_xor_b32 s30, exec_lo, -1
; %bb.1198:
	s_or_b32 exec_lo, exec_lo, s34
	s_delay_alu instid0(SALU_CYCLE_1)
	s_and_b32 s30, s30, exec_lo
	s_or_saveexec_b32 s33, s33
	v_mov_b32_e32 v5, s31
	s_xor_b32 exec_lo, exec_lo, s33
	s_cbranch_execnz .LBB142_1217
.LBB142_1199:
	s_or_b32 exec_lo, exec_lo, s33
	s_and_saveexec_b32 s31, s30
	s_cbranch_execz .LBB142_1201
.LBB142_1200:
	v_and_b32_e32 v5, 0xffff, v3
	v_lshlrev_b32_e32 v3, 24, v3
	s_delay_alu instid0(VALU_DEP_2) | instskip(NEXT) | instid1(VALU_DEP_2)
	v_and_b32_e32 v6, 7, v5
	v_and_b32_e32 v3, 0x80000000, v3
	s_delay_alu instid0(VALU_DEP_2) | instskip(NEXT) | instid1(VALU_DEP_1)
	v_clz_i32_u32_e32 v7, v6
	v_min_u32_e32 v7, 32, v7
	s_delay_alu instid0(VALU_DEP_1) | instskip(SKIP_1) | instid1(VALU_DEP_2)
	v_subrev_nc_u32_e32 v8, 28, v7
	v_sub_nc_u32_e32 v7, 29, v7
	v_lshlrev_b32_e32 v8, v8, v5
	v_bfe_u32 v5, v5, 3, 4
	s_delay_alu instid0(VALU_DEP_2) | instskip(NEXT) | instid1(VALU_DEP_2)
	v_and_b32_e32 v8, 7, v8
	v_cmp_eq_u32_e32 vcc_lo, 0, v5
	s_delay_alu instid0(VALU_DEP_2) | instskip(NEXT) | instid1(VALU_DEP_1)
	v_dual_cndmask_b32 v5, v5, v7 :: v_dual_cndmask_b32 v6, v6, v8
	v_lshl_add_u32 v5, v5, 23, 0x3b800000
	s_delay_alu instid0(VALU_DEP_2) | instskip(NEXT) | instid1(VALU_DEP_1)
	v_lshlrev_b32_e32 v6, 20, v6
	v_or3_b32 v5, v3, v5, v6
.LBB142_1201:
	s_or_b32 exec_lo, exec_lo, s31
	s_delay_alu instid0(VALU_DEP_1) | instskip(SKIP_1) | instid1(VALU_DEP_2)
	v_bfe_u32 v3, v5, 16, 1
	v_cmp_o_f32_e32 vcc_lo, v5, v5
	v_add3_u32 v3, v5, v3, 0x7fff
	s_delay_alu instid0(VALU_DEP_1) | instskip(NEXT) | instid1(VALU_DEP_1)
	v_lshrrev_b32_e32 v3, 16, v3
	v_cndmask_b32_e32 v3, 0x7fc0, v3, vcc_lo
.LBB142_1202:
	s_mov_b32 s30, -1
.LBB142_1203:
	s_mov_b32 s31, 0
.LBB142_1204:
	s_delay_alu instid0(SALU_CYCLE_1)
	s_and_b32 vcc_lo, exec_lo, s31
	s_cbranch_vccz .LBB142_1237
; %bb.1205:
	v_cmp_lt_i16_e32 vcc_lo, 22, v4
	s_cbranch_vccz .LBB142_1215
; %bb.1206:
	v_cmp_gt_i16_e32 vcc_lo, 24, v4
	s_cbranch_vccnz .LBB142_1218
; %bb.1207:
	v_cmp_lt_i16_e32 vcc_lo, 24, v4
	s_cbranch_vccz .LBB142_1219
; %bb.1208:
	global_load_u8 v3, v[0:1], off
	s_mov_b32 s31, exec_lo
                                        ; implicit-def: $sgpr30
	s_waitcnt vmcnt(0)
	v_cmpx_lt_i16_e32 0x7f, v3
	s_xor_b32 s31, exec_lo, s31
	s_cbranch_execz .LBB142_1231
; %bb.1209:
	s_mov_b32 s29, -1
	s_mov_b32 s33, exec_lo
                                        ; implicit-def: $sgpr30
	v_cmpx_eq_u16_e32 0x80, v3
; %bb.1210:
	s_mov_b32 s30, 0x7f800001
	s_xor_b32 s29, exec_lo, -1
; %bb.1211:
	s_or_b32 exec_lo, exec_lo, s33
	s_delay_alu instid0(SALU_CYCLE_1)
	s_and_b32 s29, s29, exec_lo
	s_or_saveexec_b32 s31, s31
	v_mov_b32_e32 v5, s30
	s_xor_b32 exec_lo, exec_lo, s31
	s_cbranch_execnz .LBB142_1232
.LBB142_1212:
	s_or_b32 exec_lo, exec_lo, s31
	s_and_saveexec_b32 s30, s29
	s_cbranch_execz .LBB142_1214
.LBB142_1213:
	v_and_b32_e32 v5, 0xffff, v3
	v_lshlrev_b32_e32 v3, 24, v3
	s_delay_alu instid0(VALU_DEP_2) | instskip(NEXT) | instid1(VALU_DEP_2)
	v_and_b32_e32 v6, 3, v5
	v_and_b32_e32 v3, 0x80000000, v3
	s_delay_alu instid0(VALU_DEP_2) | instskip(NEXT) | instid1(VALU_DEP_1)
	v_clz_i32_u32_e32 v7, v6
	v_min_u32_e32 v7, 32, v7
	s_delay_alu instid0(VALU_DEP_1) | instskip(SKIP_1) | instid1(VALU_DEP_2)
	v_subrev_nc_u32_e32 v8, 29, v7
	v_sub_nc_u32_e32 v7, 30, v7
	v_lshlrev_b32_e32 v8, v8, v5
	v_bfe_u32 v5, v5, 2, 5
	s_delay_alu instid0(VALU_DEP_2) | instskip(NEXT) | instid1(VALU_DEP_2)
	v_and_b32_e32 v8, 3, v8
	v_cmp_eq_u32_e32 vcc_lo, 0, v5
	s_delay_alu instid0(VALU_DEP_2) | instskip(NEXT) | instid1(VALU_DEP_1)
	v_dual_cndmask_b32 v5, v5, v7 :: v_dual_cndmask_b32 v6, v6, v8
	v_lshl_add_u32 v5, v5, 23, 0x37800000
	s_delay_alu instid0(VALU_DEP_2) | instskip(NEXT) | instid1(VALU_DEP_1)
	v_lshlrev_b32_e32 v6, 21, v6
	v_or3_b32 v5, v3, v5, v6
.LBB142_1214:
	s_or_b32 exec_lo, exec_lo, s30
	s_delay_alu instid0(VALU_DEP_1) | instskip(SKIP_2) | instid1(VALU_DEP_2)
	v_bfe_u32 v3, v5, 16, 1
	v_cmp_o_f32_e32 vcc_lo, v5, v5
	s_mov_b32 s29, 0
	v_add3_u32 v3, v5, v3, 0x7fff
	s_delay_alu instid0(VALU_DEP_1) | instskip(NEXT) | instid1(VALU_DEP_1)
	v_lshrrev_b32_e32 v3, 16, v3
	v_cndmask_b32_e32 v3, 0x7fc0, v3, vcc_lo
	s_branch .LBB142_1220
.LBB142_1215:
	s_mov_b32 s29, -1
                                        ; implicit-def: $vgpr3
	s_branch .LBB142_1226
.LBB142_1216:
	s_or_saveexec_b32 s33, s33
	v_mov_b32_e32 v5, s31
	s_xor_b32 exec_lo, exec_lo, s33
	s_cbranch_execz .LBB142_1199
.LBB142_1217:
	v_cmp_ne_u16_e32 vcc_lo, 0, v3
	v_mov_b32_e32 v5, 0
	s_and_not1_b32 s30, s30, exec_lo
	s_and_b32 s31, vcc_lo, exec_lo
	s_delay_alu instid0(SALU_CYCLE_1)
	s_or_b32 s30, s30, s31
	s_or_b32 exec_lo, exec_lo, s33
	s_and_saveexec_b32 s31, s30
	s_cbranch_execnz .LBB142_1200
	s_branch .LBB142_1201
.LBB142_1218:
	s_mov_b32 s29, -1
                                        ; implicit-def: $vgpr3
	s_branch .LBB142_1223
.LBB142_1219:
	s_mov_b32 s29, -1
                                        ; implicit-def: $vgpr3
.LBB142_1220:
	s_delay_alu instid0(SALU_CYCLE_1)
	s_and_b32 vcc_lo, exec_lo, s29
	s_cbranch_vccz .LBB142_1222
; %bb.1221:
	global_load_u8 v3, v[0:1], off
	s_waitcnt vmcnt(0)
	v_lshlrev_b32_e32 v3, 24, v3
	s_delay_alu instid0(VALU_DEP_1) | instskip(NEXT) | instid1(VALU_DEP_1)
	v_and_b32_e32 v5, 0x7f000000, v3
	v_clz_i32_u32_e32 v6, v5
	v_cmp_ne_u32_e32 vcc_lo, 0, v5
	v_add_nc_u32_e32 v8, 0x1000000, v5
	s_delay_alu instid0(VALU_DEP_3) | instskip(NEXT) | instid1(VALU_DEP_1)
	v_min_u32_e32 v6, 32, v6
	v_sub_nc_u32_e64 v6, v6, 4 clamp
	s_delay_alu instid0(VALU_DEP_1) | instskip(SKIP_1) | instid1(VALU_DEP_2)
	v_lshlrev_b32_e32 v7, v6, v5
	v_lshlrev_b32_e32 v6, 23, v6
	v_lshrrev_b32_e32 v7, 4, v7
	s_delay_alu instid0(VALU_DEP_1) | instskip(SKIP_1) | instid1(VALU_DEP_2)
	v_sub_nc_u32_e32 v6, v7, v6
	v_ashrrev_i32_e32 v7, 8, v8
	v_add_nc_u32_e32 v6, 0x3c000000, v6
	s_delay_alu instid0(VALU_DEP_1) | instskip(NEXT) | instid1(VALU_DEP_1)
	v_and_or_b32 v6, 0x7f800000, v7, v6
	v_cndmask_b32_e32 v5, 0, v6, vcc_lo
	s_delay_alu instid0(VALU_DEP_1) | instskip(SKIP_1) | instid1(VALU_DEP_2)
	v_and_or_b32 v3, 0x80000000, v3, v5
	v_bfe_u32 v5, v5, 16, 1
	v_cmp_o_f32_e32 vcc_lo, v3, v3
	s_delay_alu instid0(VALU_DEP_2) | instskip(NEXT) | instid1(VALU_DEP_1)
	v_add3_u32 v5, v3, v5, 0x7fff
	v_lshrrev_b32_e32 v5, 16, v5
	s_delay_alu instid0(VALU_DEP_1)
	v_cndmask_b32_e32 v3, 0x7fc0, v5, vcc_lo
.LBB142_1222:
	s_mov_b32 s29, 0
.LBB142_1223:
	s_delay_alu instid0(SALU_CYCLE_1)
	s_and_not1_b32 vcc_lo, exec_lo, s29
	s_cbranch_vccnz .LBB142_1225
; %bb.1224:
	global_load_u8 v3, v[0:1], off
	s_waitcnt vmcnt(0)
	v_lshlrev_b32_e32 v5, 25, v3
	v_lshlrev_b16 v3, 8, v3
	s_delay_alu instid0(VALU_DEP_2) | instskip(NEXT) | instid1(VALU_DEP_2)
	v_lshrrev_b32_e32 v6, 4, v5
	v_and_or_b32 v7, 0x7f00, v3, 0.5
	v_bfe_i32 v3, v3, 0, 16
	s_delay_alu instid0(VALU_DEP_3) | instskip(NEXT) | instid1(VALU_DEP_1)
	v_or_b32_e32 v6, 0x70000000, v6
	v_dual_add_f32 v7, -0.5, v7 :: v_dual_mul_f32 v6, 0x7800000, v6
	v_cmp_gt_u32_e32 vcc_lo, 0x8000000, v5
	s_delay_alu instid0(VALU_DEP_2) | instskip(NEXT) | instid1(VALU_DEP_1)
	v_cndmask_b32_e32 v5, v6, v7, vcc_lo
	v_and_or_b32 v3, 0x80000000, v3, v5
	v_bfe_u32 v5, v5, 16, 1
	s_delay_alu instid0(VALU_DEP_2) | instskip(NEXT) | instid1(VALU_DEP_2)
	v_cmp_o_f32_e32 vcc_lo, v3, v3
	v_add3_u32 v5, v3, v5, 0x7fff
	s_delay_alu instid0(VALU_DEP_1) | instskip(NEXT) | instid1(VALU_DEP_1)
	v_lshrrev_b32_e32 v5, 16, v5
	v_cndmask_b32_e32 v3, 0x7fc0, v5, vcc_lo
.LBB142_1225:
	s_mov_b32 s29, 0
	s_mov_b32 s30, -1
.LBB142_1226:
	s_and_not1_b32 vcc_lo, exec_lo, s29
	s_mov_b32 s29, 0
	s_cbranch_vccnz .LBB142_1237
; %bb.1227:
	v_cmp_lt_i16_e32 vcc_lo, 14, v4
	s_cbranch_vccz .LBB142_1230
; %bb.1228:
	v_cmp_eq_u16_e32 vcc_lo, 15, v4
	s_cbranch_vccz .LBB142_1233
; %bb.1229:
	global_load_u16 v3, v[0:1], off
	s_mov_b32 s0, 0
	s_mov_b32 s30, -1
	s_branch .LBB142_1235
.LBB142_1230:
	s_mov_b32 s29, -1
	s_branch .LBB142_1234
.LBB142_1231:
	s_or_saveexec_b32 s31, s31
	v_mov_b32_e32 v5, s30
	s_xor_b32 exec_lo, exec_lo, s31
	s_cbranch_execz .LBB142_1212
.LBB142_1232:
	v_cmp_ne_u16_e32 vcc_lo, 0, v3
	v_mov_b32_e32 v5, 0
	s_and_not1_b32 s29, s29, exec_lo
	s_and_b32 s30, vcc_lo, exec_lo
	s_delay_alu instid0(SALU_CYCLE_1)
	s_or_b32 s29, s29, s30
	s_or_b32 exec_lo, exec_lo, s31
	s_and_saveexec_b32 s30, s29
	s_cbranch_execnz .LBB142_1213
	s_branch .LBB142_1214
.LBB142_1233:
	s_mov_b32 s0, -1
.LBB142_1234:
                                        ; implicit-def: $vgpr3
.LBB142_1235:
	s_and_b32 vcc_lo, exec_lo, s29
	s_mov_b32 s29, 0
	s_cbranch_vccz .LBB142_1237
; %bb.1236:
	v_cmp_ne_u16_e32 vcc_lo, 11, v4
	s_and_not1_b32 s0, s0, exec_lo
	s_mov_b32 s29, -1
                                        ; implicit-def: $vgpr3
	s_and_b32 s31, vcc_lo, exec_lo
	s_delay_alu instid0(SALU_CYCLE_1)
	s_or_b32 s0, s0, s31
.LBB142_1237:
	s_mov_b32 s31, 0
.LBB142_1238:
	s_and_b32 s33, s30, exec_lo
	s_and_b32 s30, s31, exec_lo
	s_and_not1_b32 s31, s26, exec_lo
	s_and_b32 s0, s0, exec_lo
	s_and_b32 s29, s29, exec_lo
	s_or_b32 s31, s31, s0
.LBB142_1239:
	s_or_b32 exec_lo, exec_lo, s17
	s_delay_alu instid0(SALU_CYCLE_1)
	s_and_not1_b32 s17, s26, exec_lo
	s_and_b32 s26, s31, exec_lo
	s_and_b32 s0, s33, exec_lo
	s_and_b32 s30, s30, exec_lo
	s_and_b32 s29, s29, exec_lo
	s_or_b32 s26, s17, s26
.LBB142_1240:
	s_or_b32 exec_lo, exec_lo, s25
	s_delay_alu instid0(SALU_CYCLE_1)
	s_and_not1_b32 s17, s22, exec_lo
	s_and_b32 s22, s28, exec_lo
	s_and_not1_b32 s23, s23, exec_lo
	s_and_b32 s25, s27, exec_lo
	s_or_b32 s22, s17, s22
	s_and_not1_b32 s17, s21, exec_lo
	s_and_b32 s21, s26, exec_lo
	s_or_b32 s23, s23, s25
	s_and_b32 s0, s0, exec_lo
	s_and_b32 s27, s30, exec_lo
	;; [unrolled: 1-line block ×3, first 2 shown]
	s_or_b32 s21, s17, s21
.LBB142_1241:
	s_or_b32 exec_lo, exec_lo, s24
	s_delay_alu instid0(SALU_CYCLE_1)
	s_and_not1_b32 s16, s16, exec_lo
	s_and_b32 s17, s22, exec_lo
	s_and_not1_b32 s18, s18, exec_lo
	s_and_b32 s22, s23, exec_lo
	s_or_b32 s16, s16, s17
	s_and_not1_b32 s17, s19, exec_lo
	s_and_b32 s19, s21, exec_lo
	s_or_b32 s18, s18, s22
	s_and_b32 s0, s0, exec_lo
	s_and_b32 s22, s27, exec_lo
	;; [unrolled: 1-line block ×3, first 2 shown]
	s_or_b32 s19, s17, s19
.LBB142_1242:
	s_or_b32 exec_lo, exec_lo, s20
	s_mov_b32 s17, 0
	s_and_saveexec_b32 s20, s19
	s_cbranch_execnz .LBB142_1254
; %bb.1243:
	s_or_b32 exec_lo, exec_lo, s20
	s_and_saveexec_b32 s19, s21
	s_delay_alu instid0(SALU_CYCLE_1)
	s_xor_b32 s19, exec_lo, s19
	s_cbranch_execz .LBB142_1245
.LBB142_1244:
	global_load_u8 v3, v[0:1], off
	s_or_b32 s0, s0, exec_lo
	s_waitcnt vmcnt(0)
	v_cmp_ne_u16_e32 vcc_lo, 0, v3
	v_cndmask_b32_e64 v3, 0, 1.0, vcc_lo
	s_delay_alu instid0(VALU_DEP_1)
	v_lshrrev_b32_e32 v3, 16, v3
.LBB142_1245:
	s_or_b32 exec_lo, exec_lo, s19
	s_and_saveexec_b32 s19, s22
	s_cbranch_execz .LBB142_1293
; %bb.1246:
	v_cmp_gt_i16_e32 vcc_lo, 5, v4
	s_cbranch_vccnz .LBB142_1251
; %bb.1247:
	v_cmp_gt_i16_e32 vcc_lo, 8, v4
	s_cbranch_vccnz .LBB142_1252
	;; [unrolled: 3-line block ×3, first 2 shown]
; %bb.1249:
	v_cmp_lt_i16_e32 vcc_lo, 9, v4
	s_cbranch_vccz .LBB142_1256
; %bb.1250:
	global_load_b64 v[5:6], v[0:1], off
	s_mov_b32 s20, 0
	s_waitcnt vmcnt(0)
	v_cvt_f32_f64_e32 v3, v[5:6]
	s_delay_alu instid0(VALU_DEP_1) | instskip(SKIP_1) | instid1(VALU_DEP_2)
	v_bfe_u32 v5, v3, 16, 1
	v_cmp_o_f32_e32 vcc_lo, v3, v3
	v_add3_u32 v5, v3, v5, 0x7fff
	s_delay_alu instid0(VALU_DEP_1) | instskip(NEXT) | instid1(VALU_DEP_1)
	v_lshrrev_b32_e32 v5, 16, v5
	v_cndmask_b32_e32 v3, 0x7fc0, v5, vcc_lo
	s_branch .LBB142_1257
.LBB142_1251:
                                        ; implicit-def: $vgpr3
	s_branch .LBB142_1274
.LBB142_1252:
                                        ; implicit-def: $vgpr3
	s_branch .LBB142_1263
.LBB142_1253:
	s_mov_b32 s20, -1
                                        ; implicit-def: $vgpr3
	s_branch .LBB142_1260
.LBB142_1254:
	s_cbranch_execnz .LBB142_1305
; %bb.1255:
	s_mov_b32 s17, exec_lo
	s_and_not1_b32 s21, s21, exec_lo
                                        ; implicit-def: $vgpr3
	s_or_b32 exec_lo, exec_lo, s20
	s_and_saveexec_b32 s19, s21
	s_delay_alu instid0(SALU_CYCLE_1)
	s_xor_b32 s19, exec_lo, s19
	s_cbranch_execnz .LBB142_1244
	s_branch .LBB142_1245
.LBB142_1256:
	s_mov_b32 s20, -1
                                        ; implicit-def: $vgpr3
.LBB142_1257:
	s_delay_alu instid0(SALU_CYCLE_1)
	s_and_not1_b32 vcc_lo, exec_lo, s20
	s_cbranch_vccnz .LBB142_1259
; %bb.1258:
	global_load_b32 v3, v[0:1], off
	s_waitcnt vmcnt(0)
	v_bfe_u32 v5, v3, 16, 1
	v_cmp_o_f32_e32 vcc_lo, v3, v3
	s_delay_alu instid0(VALU_DEP_2) | instskip(NEXT) | instid1(VALU_DEP_1)
	v_add3_u32 v5, v3, v5, 0x7fff
	v_lshrrev_b32_e32 v5, 16, v5
	s_delay_alu instid0(VALU_DEP_1)
	v_cndmask_b32_e32 v3, 0x7fc0, v5, vcc_lo
.LBB142_1259:
	s_mov_b32 s20, 0
.LBB142_1260:
	s_delay_alu instid0(SALU_CYCLE_1)
	s_and_not1_b32 vcc_lo, exec_lo, s20
	s_cbranch_vccnz .LBB142_1262
; %bb.1261:
	global_load_b32 v3, v[0:1], off
	s_waitcnt vmcnt(0)
	v_cvt_f32_f16_e32 v5, v3
	v_cmp_o_f16_e32 vcc_lo, v3, v3
	s_delay_alu instid0(VALU_DEP_2) | instskip(NEXT) | instid1(VALU_DEP_1)
	v_bfe_u32 v6, v5, 16, 1
	v_add3_u32 v5, v5, v6, 0x7fff
	s_delay_alu instid0(VALU_DEP_1) | instskip(NEXT) | instid1(VALU_DEP_1)
	v_lshrrev_b32_e32 v5, 16, v5
	v_cndmask_b32_e32 v3, 0x7fc0, v5, vcc_lo
.LBB142_1262:
	s_cbranch_execnz .LBB142_1273
.LBB142_1263:
	v_cmp_gt_i16_e32 vcc_lo, 6, v4
	s_cbranch_vccnz .LBB142_1266
; %bb.1264:
	v_cmp_lt_i16_e32 vcc_lo, 6, v4
	s_cbranch_vccz .LBB142_1267
; %bb.1265:
	global_load_b64 v[5:6], v[0:1], off
	s_mov_b32 s20, 0
	s_waitcnt vmcnt(0)
	v_cvt_f32_f64_e32 v3, v[5:6]
	s_delay_alu instid0(VALU_DEP_1) | instskip(SKIP_1) | instid1(VALU_DEP_2)
	v_bfe_u32 v5, v3, 16, 1
	v_cmp_o_f32_e32 vcc_lo, v3, v3
	v_add3_u32 v5, v3, v5, 0x7fff
	s_delay_alu instid0(VALU_DEP_1) | instskip(NEXT) | instid1(VALU_DEP_1)
	v_lshrrev_b32_e32 v5, 16, v5
	v_cndmask_b32_e32 v3, 0x7fc0, v5, vcc_lo
	s_branch .LBB142_1268
.LBB142_1266:
	s_mov_b32 s20, -1
                                        ; implicit-def: $vgpr3
	s_branch .LBB142_1271
.LBB142_1267:
	s_mov_b32 s20, -1
                                        ; implicit-def: $vgpr3
.LBB142_1268:
	s_delay_alu instid0(SALU_CYCLE_1)
	s_and_not1_b32 vcc_lo, exec_lo, s20
	s_cbranch_vccnz .LBB142_1270
; %bb.1269:
	global_load_b32 v3, v[0:1], off
	s_waitcnt vmcnt(0)
	v_bfe_u32 v5, v3, 16, 1
	v_cmp_o_f32_e32 vcc_lo, v3, v3
	s_delay_alu instid0(VALU_DEP_2) | instskip(NEXT) | instid1(VALU_DEP_1)
	v_add3_u32 v5, v3, v5, 0x7fff
	v_lshrrev_b32_e32 v5, 16, v5
	s_delay_alu instid0(VALU_DEP_1)
	v_cndmask_b32_e32 v3, 0x7fc0, v5, vcc_lo
.LBB142_1270:
	s_mov_b32 s20, 0
.LBB142_1271:
	s_delay_alu instid0(SALU_CYCLE_1)
	s_and_not1_b32 vcc_lo, exec_lo, s20
	s_cbranch_vccnz .LBB142_1273
; %bb.1272:
	global_load_u16 v3, v[0:1], off
	s_waitcnt vmcnt(0)
	v_cvt_f32_f16_e32 v5, v3
	v_cmp_o_f16_e32 vcc_lo, v3, v3
	s_delay_alu instid0(VALU_DEP_2) | instskip(NEXT) | instid1(VALU_DEP_1)
	v_bfe_u32 v6, v5, 16, 1
	v_add3_u32 v5, v5, v6, 0x7fff
	s_delay_alu instid0(VALU_DEP_1) | instskip(NEXT) | instid1(VALU_DEP_1)
	v_lshrrev_b32_e32 v5, 16, v5
	v_cndmask_b32_e32 v3, 0x7fc0, v5, vcc_lo
.LBB142_1273:
	s_cbranch_execnz .LBB142_1292
.LBB142_1274:
	v_cmp_gt_i16_e32 vcc_lo, 2, v4
	s_cbranch_vccnz .LBB142_1278
; %bb.1275:
	v_cmp_gt_i16_e32 vcc_lo, 3, v4
	s_cbranch_vccnz .LBB142_1279
; %bb.1276:
	v_cmp_lt_i16_e32 vcc_lo, 3, v4
	s_cbranch_vccz .LBB142_1280
; %bb.1277:
	global_load_b64 v[5:6], v[0:1], off
	s_mov_b32 s20, 0
	s_waitcnt vmcnt(0)
	v_xor_b32_e32 v3, v5, v6
	v_cls_i32_e32 v7, v6
	s_delay_alu instid0(VALU_DEP_2) | instskip(NEXT) | instid1(VALU_DEP_2)
	v_ashrrev_i32_e32 v3, 31, v3
	v_add_nc_u32_e32 v7, -1, v7
	s_delay_alu instid0(VALU_DEP_2) | instskip(NEXT) | instid1(VALU_DEP_1)
	v_add_nc_u32_e32 v3, 32, v3
	v_min_u32_e32 v3, v7, v3
	s_delay_alu instid0(VALU_DEP_1) | instskip(SKIP_1) | instid1(VALU_DEP_2)
	v_lshlrev_b64 v[5:6], v3, v[5:6]
	v_sub_nc_u32_e32 v3, 32, v3
	v_min_u32_e32 v5, 1, v5
	s_delay_alu instid0(VALU_DEP_1) | instskip(NEXT) | instid1(VALU_DEP_1)
	v_or_b32_e32 v5, v6, v5
	v_cvt_f32_i32_e32 v5, v5
	s_delay_alu instid0(VALU_DEP_1) | instskip(NEXT) | instid1(VALU_DEP_1)
	v_ldexp_f32 v3, v5, v3
	v_bfe_u32 v5, v3, 16, 1
	s_delay_alu instid0(VALU_DEP_1) | instskip(NEXT) | instid1(VALU_DEP_1)
	v_add3_u32 v3, v3, v5, 0x7fff
	v_lshrrev_b32_e32 v3, 16, v3
	s_branch .LBB142_1281
.LBB142_1278:
                                        ; implicit-def: $vgpr3
	s_branch .LBB142_1287
.LBB142_1279:
	s_mov_b32 s20, -1
                                        ; implicit-def: $vgpr3
	s_branch .LBB142_1284
.LBB142_1280:
	s_mov_b32 s20, -1
                                        ; implicit-def: $vgpr3
.LBB142_1281:
	s_delay_alu instid0(SALU_CYCLE_1)
	s_and_not1_b32 vcc_lo, exec_lo, s20
	s_cbranch_vccnz .LBB142_1283
; %bb.1282:
	global_load_b32 v3, v[0:1], off
	s_waitcnt vmcnt(0)
	v_cvt_f32_i32_e32 v3, v3
	s_delay_alu instid0(VALU_DEP_1) | instskip(NEXT) | instid1(VALU_DEP_1)
	v_bfe_u32 v5, v3, 16, 1
	v_add3_u32 v3, v3, v5, 0x7fff
	s_delay_alu instid0(VALU_DEP_1)
	v_lshrrev_b32_e32 v3, 16, v3
.LBB142_1283:
	s_mov_b32 s20, 0
.LBB142_1284:
	s_delay_alu instid0(SALU_CYCLE_1)
	s_and_not1_b32 vcc_lo, exec_lo, s20
	s_cbranch_vccnz .LBB142_1286
; %bb.1285:
	global_load_i16 v3, v[0:1], off
	s_waitcnt vmcnt(0)
	v_cvt_f32_i32_e32 v3, v3
	s_delay_alu instid0(VALU_DEP_1) | instskip(NEXT) | instid1(VALU_DEP_1)
	v_bfe_u32 v5, v3, 16, 1
	v_add3_u32 v3, v3, v5, 0x7fff
	s_delay_alu instid0(VALU_DEP_1)
	v_lshrrev_b32_e32 v3, 16, v3
.LBB142_1286:
	s_cbranch_execnz .LBB142_1292
.LBB142_1287:
	v_cmp_lt_i16_e32 vcc_lo, 0, v4
	s_mov_b32 s20, 0
	s_cbranch_vccz .LBB142_1289
; %bb.1288:
	global_load_i8 v3, v[0:1], off
	s_waitcnt vmcnt(0)
	v_cvt_f32_i32_e32 v3, v3
	s_delay_alu instid0(VALU_DEP_1) | instskip(NEXT) | instid1(VALU_DEP_1)
	v_bfe_u32 v4, v3, 16, 1
	v_add3_u32 v3, v3, v4, 0x7fff
	s_delay_alu instid0(VALU_DEP_1)
	v_lshrrev_b32_e32 v3, 16, v3
	s_branch .LBB142_1290
.LBB142_1289:
	s_mov_b32 s20, -1
                                        ; implicit-def: $vgpr3
.LBB142_1290:
	s_delay_alu instid0(SALU_CYCLE_1)
	s_and_not1_b32 vcc_lo, exec_lo, s20
	s_cbranch_vccnz .LBB142_1292
; %bb.1291:
	global_load_u8 v0, v[0:1], off
	s_waitcnt vmcnt(0)
	v_cvt_f32_ubyte0_e32 v0, v0
	s_delay_alu instid0(VALU_DEP_1) | instskip(NEXT) | instid1(VALU_DEP_1)
	v_bfe_u32 v1, v0, 16, 1
	v_add3_u32 v0, v0, v1, 0x7fff
	s_delay_alu instid0(VALU_DEP_1)
	v_lshrrev_b32_e32 v3, 16, v0
.LBB142_1292:
	s_or_b32 s0, s0, exec_lo
.LBB142_1293:
	s_or_b32 exec_lo, exec_lo, s19
	s_mov_b32 s20, 0
	s_mov_b32 s23, 0
	;; [unrolled: 1-line block ×3, first 2 shown]
                                        ; implicit-def: $sgpr21
                                        ; implicit-def: $vgpr4
                                        ; implicit-def: $vgpr0_vgpr1
	s_and_saveexec_b32 s19, s0
	s_cbranch_execz .LBB142_1371
; %bb.1294:
	v_mul_lo_u32 v0, v2, s10
	v_and_b32_e64 v4, 0xff, s1
	s_delay_alu instid0(VALU_DEP_1) | instskip(NEXT) | instid1(VALU_DEP_3)
	v_cmp_gt_i16_e32 vcc_lo, 11, v4
	v_ashrrev_i32_e32 v1, 31, v0
	v_add_co_u32 v0, s0, s2, v0
	s_delay_alu instid0(VALU_DEP_1)
	v_add_co_ci_u32_e64 v1, s0, s3, v1, s0
	s_cbranch_vccnz .LBB142_1301
; %bb.1295:
	v_cmp_lt_i16_e32 vcc_lo, 25, v4
	s_mov_b32 s0, 0
	s_cbranch_vccz .LBB142_1302
; %bb.1296:
	v_cmp_lt_i16_e32 vcc_lo, 28, v4
	s_cbranch_vccz .LBB142_1303
; %bb.1297:
	v_cmp_lt_i16_e32 vcc_lo, 43, v4
	;; [unrolled: 3-line block ×3, first 2 shown]
	s_cbranch_vccz .LBB142_1307
; %bb.1299:
	v_cmp_eq_u16_e32 vcc_lo, 46, v4
	s_cbranch_vccz .LBB142_1308
; %bb.1300:
	global_load_b32 v5, v[0:1], off
	s_mov_b32 s22, -1
	s_waitcnt vmcnt(0)
	v_and_b32_e32 v5, 0x7fff7fff, v5
	s_delay_alu instid0(VALU_DEP_1)
	v_cmp_ne_u32_e32 vcc_lo, 0, v5
	s_and_b32 s21, vcc_lo, exec_lo
	s_branch .LBB142_1310
.LBB142_1301:
	s_mov_b32 s23, -1
	s_mov_b32 s0, 0
	s_mov_b32 s20, s18
                                        ; implicit-def: $sgpr21
	s_branch .LBB142_1370
.LBB142_1302:
	s_mov_b32 s20, s18
                                        ; implicit-def: $sgpr21
	s_cbranch_execnz .LBB142_1337
	s_branch .LBB142_1369
.LBB142_1303:
	s_mov_b32 s23, -1
	s_mov_b32 s20, s18
                                        ; implicit-def: $sgpr21
	s_branch .LBB142_1318
.LBB142_1304:
	s_mov_b32 s23, -1
	s_mov_b32 s20, s18
                                        ; implicit-def: $sgpr21
	s_branch .LBB142_1313
.LBB142_1305:
	s_trap 2
	s_sendmsg_rtn_b32 s0, sendmsg(MSG_RTN_GET_DOORBELL)
	s_mov_b32 ttmp2, m0
	s_waitcnt lgkmcnt(0)
	s_and_b32 s0, s0, 0x3ff
	s_delay_alu instid0(SALU_CYCLE_1) | instskip(NEXT) | instid1(SALU_CYCLE_1)
	s_bitset1_b32 s0, 10
	s_mov_b32 m0, s0
	s_sendmsg sendmsg(MSG_INTERRUPT)
	s_mov_b32 m0, ttmp2
.LBB142_1306:                           ; =>This Inner Loop Header: Depth=1
	s_sethalt 5
	s_branch .LBB142_1306
.LBB142_1307:
	s_mov_b32 s23, -1
	s_mov_b32 s20, s18
	s_branch .LBB142_1309
.LBB142_1308:
	s_mov_b32 s20, -1
.LBB142_1309:
                                        ; implicit-def: $sgpr21
.LBB142_1310:
	s_and_b32 vcc_lo, exec_lo, s23
	s_cbranch_vccz .LBB142_1312
; %bb.1311:
	v_cmp_ne_u16_e32 vcc_lo, 44, v4
	s_and_not1_b32 s20, s20, exec_lo
	s_mov_b32 s22, -1
	s_or_b32 s21, s21, exec_lo
	s_and_b32 s23, vcc_lo, exec_lo
	s_delay_alu instid0(SALU_CYCLE_1)
	s_or_b32 s20, s20, s23
.LBB142_1312:
	s_mov_b32 s23, 0
.LBB142_1313:
	s_delay_alu instid0(SALU_CYCLE_1)
	s_and_b32 vcc_lo, exec_lo, s23
	s_cbranch_vccz .LBB142_1317
; %bb.1314:
	v_cmp_eq_u16_e32 vcc_lo, 29, v4
	s_cbranch_vccz .LBB142_1316
; %bb.1315:
	global_load_b64 v[5:6], v[0:1], off
	s_mov_b32 s20, 0
	s_mov_b32 s22, -1
	s_mov_b32 s23, 0
	s_waitcnt vmcnt(0)
	v_cmp_ne_u64_e32 vcc_lo, 0, v[5:6]
	s_and_b32 s21, vcc_lo, exec_lo
	s_branch .LBB142_1318
.LBB142_1316:
	s_mov_b32 s20, -1
                                        ; implicit-def: $sgpr21
.LBB142_1317:
	s_mov_b32 s23, 0
.LBB142_1318:
	s_delay_alu instid0(SALU_CYCLE_1)
	s_and_b32 vcc_lo, exec_lo, s23
	s_cbranch_vccz .LBB142_1336
; %bb.1319:
	v_cmp_gt_i16_e32 vcc_lo, 27, v4
	s_cbranch_vccnz .LBB142_1322
; %bb.1320:
	v_cmp_lt_i16_e32 vcc_lo, 27, v4
	s_cbranch_vccz .LBB142_1323
; %bb.1321:
	global_load_b32 v5, v[0:1], off
	s_mov_b32 s22, 0
	s_waitcnt vmcnt(0)
	v_cmp_ne_u32_e32 vcc_lo, 0, v5
	s_and_b32 s21, vcc_lo, exec_lo
	s_branch .LBB142_1324
.LBB142_1322:
	s_mov_b32 s22, -1
                                        ; implicit-def: $sgpr21
	s_branch .LBB142_1327
.LBB142_1323:
	s_mov_b32 s22, -1
                                        ; implicit-def: $sgpr21
.LBB142_1324:
	s_delay_alu instid0(SALU_CYCLE_1)
	s_and_not1_b32 vcc_lo, exec_lo, s22
	s_cbranch_vccnz .LBB142_1326
; %bb.1325:
	global_load_u16 v5, v[0:1], off
	s_and_not1_b32 s21, s21, exec_lo
	s_waitcnt vmcnt(0)
	v_cmp_ne_u16_e32 vcc_lo, 0, v5
	s_and_b32 s22, vcc_lo, exec_lo
	s_delay_alu instid0(SALU_CYCLE_1)
	s_or_b32 s21, s21, s22
.LBB142_1326:
	s_mov_b32 s22, 0
.LBB142_1327:
	s_delay_alu instid0(SALU_CYCLE_1)
	s_and_not1_b32 vcc_lo, exec_lo, s22
	s_cbranch_vccnz .LBB142_1335
; %bb.1328:
	global_load_u8 v5, v[0:1], off
	s_mov_b32 s22, 0
	s_mov_b32 s23, exec_lo
                                        ; implicit-def: $sgpr21
	s_waitcnt vmcnt(0)
	v_cmpx_lt_i16_e32 0x7f, v5
	s_xor_b32 s23, exec_lo, s23
	s_cbranch_execz .LBB142_1348
; %bb.1329:
	s_mov_b32 s22, -1
	s_mov_b32 s24, exec_lo
                                        ; implicit-def: $sgpr21
	v_cmpx_eq_u16_e32 0x80, v5
; %bb.1330:
	s_mov_b32 s21, -1
	s_xor_b32 s22, exec_lo, -1
; %bb.1331:
	s_or_b32 exec_lo, exec_lo, s24
	s_delay_alu instid0(SALU_CYCLE_1)
	s_and_b32 s22, s22, exec_lo
	s_and_not1_saveexec_b32 s23, s23
	s_cbranch_execnz .LBB142_1349
.LBB142_1332:
	s_or_b32 exec_lo, exec_lo, s23
	s_and_saveexec_b32 s23, s22
	s_cbranch_execz .LBB142_1334
.LBB142_1333:
	v_and_b32_e32 v5, 0xffff, v5
	s_and_not1_b32 s21, s21, exec_lo
	s_delay_alu instid0(VALU_DEP_1) | instskip(NEXT) | instid1(VALU_DEP_1)
	v_and_b32_e32 v6, 7, v5
	v_clz_i32_u32_e32 v7, v6
	s_delay_alu instid0(VALU_DEP_1) | instskip(NEXT) | instid1(VALU_DEP_1)
	v_min_u32_e32 v7, 32, v7
	v_subrev_nc_u32_e32 v8, 28, v7
	v_sub_nc_u32_e32 v7, 29, v7
	s_delay_alu instid0(VALU_DEP_2) | instskip(SKIP_1) | instid1(VALU_DEP_2)
	v_lshlrev_b32_e32 v8, v8, v5
	v_bfe_u32 v5, v5, 3, 4
	v_and_b32_e32 v8, 7, v8
	s_delay_alu instid0(VALU_DEP_2) | instskip(NEXT) | instid1(VALU_DEP_2)
	v_cmp_eq_u32_e32 vcc_lo, 0, v5
	v_dual_cndmask_b32 v5, v5, v7 :: v_dual_cndmask_b32 v6, v6, v8
	s_delay_alu instid0(VALU_DEP_1) | instskip(NEXT) | instid1(VALU_DEP_2)
	v_lshl_add_u32 v5, v5, 23, 0x3b800000
	v_lshlrev_b32_e32 v6, 20, v6
	s_delay_alu instid0(VALU_DEP_1) | instskip(NEXT) | instid1(VALU_DEP_1)
	v_and_or_b32 v5, 0x7f800000, v5, v6
	v_cmp_ne_u32_e32 vcc_lo, 0, v5
	s_and_b32 s22, vcc_lo, exec_lo
	s_delay_alu instid0(SALU_CYCLE_1)
	s_or_b32 s21, s21, s22
.LBB142_1334:
	s_or_b32 exec_lo, exec_lo, s23
.LBB142_1335:
	s_mov_b32 s22, -1
.LBB142_1336:
	s_branch .LBB142_1369
.LBB142_1337:
	v_cmp_lt_i16_e32 vcc_lo, 22, v4
	s_cbranch_vccz .LBB142_1347
; %bb.1338:
	v_cmp_gt_i16_e32 vcc_lo, 24, v4
	s_cbranch_vccnz .LBB142_1350
; %bb.1339:
	v_cmp_lt_i16_e32 vcc_lo, 24, v4
	s_cbranch_vccz .LBB142_1351
; %bb.1340:
	global_load_u8 v5, v[0:1], off
	s_mov_b32 s22, exec_lo
                                        ; implicit-def: $sgpr21
	s_waitcnt vmcnt(0)
	v_cmpx_lt_i16_e32 0x7f, v5
	s_xor_b32 s22, exec_lo, s22
	s_cbranch_execz .LBB142_1363
; %bb.1341:
	s_mov_b32 s0, -1
	s_mov_b32 s23, exec_lo
                                        ; implicit-def: $sgpr21
	v_cmpx_eq_u16_e32 0x80, v5
; %bb.1342:
	s_mov_b32 s21, -1
	s_xor_b32 s0, exec_lo, -1
; %bb.1343:
	s_or_b32 exec_lo, exec_lo, s23
	s_delay_alu instid0(SALU_CYCLE_1)
	s_and_b32 s0, s0, exec_lo
	s_and_not1_saveexec_b32 s22, s22
	s_cbranch_execnz .LBB142_1364
.LBB142_1344:
	s_or_b32 exec_lo, exec_lo, s22
	s_and_saveexec_b32 s22, s0
	s_cbranch_execz .LBB142_1346
.LBB142_1345:
	v_and_b32_e32 v5, 0xffff, v5
	s_and_not1_b32 s0, s21, exec_lo
	s_delay_alu instid0(VALU_DEP_1) | instskip(NEXT) | instid1(VALU_DEP_1)
	v_and_b32_e32 v6, 3, v5
	v_clz_i32_u32_e32 v7, v6
	s_delay_alu instid0(VALU_DEP_1) | instskip(NEXT) | instid1(VALU_DEP_1)
	v_min_u32_e32 v7, 32, v7
	v_subrev_nc_u32_e32 v8, 29, v7
	v_sub_nc_u32_e32 v7, 30, v7
	s_delay_alu instid0(VALU_DEP_2) | instskip(SKIP_1) | instid1(VALU_DEP_2)
	v_lshlrev_b32_e32 v8, v8, v5
	v_bfe_u32 v5, v5, 2, 5
	v_and_b32_e32 v8, 3, v8
	s_delay_alu instid0(VALU_DEP_2) | instskip(NEXT) | instid1(VALU_DEP_2)
	v_cmp_eq_u32_e32 vcc_lo, 0, v5
	v_dual_cndmask_b32 v5, v5, v7 :: v_dual_cndmask_b32 v6, v6, v8
	s_delay_alu instid0(VALU_DEP_1) | instskip(NEXT) | instid1(VALU_DEP_2)
	v_lshl_add_u32 v5, v5, 23, 0x37800000
	v_lshlrev_b32_e32 v6, 21, v6
	s_delay_alu instid0(VALU_DEP_1) | instskip(NEXT) | instid1(VALU_DEP_1)
	v_and_or_b32 v5, 0x7f800000, v5, v6
	v_cmp_ne_u32_e32 vcc_lo, 0, v5
	s_and_b32 s21, vcc_lo, exec_lo
	s_delay_alu instid0(SALU_CYCLE_1)
	s_or_b32 s21, s0, s21
.LBB142_1346:
	s_or_b32 exec_lo, exec_lo, s22
	s_mov_b32 s0, 0
	s_branch .LBB142_1352
.LBB142_1347:
	s_mov_b32 s0, -1
                                        ; implicit-def: $sgpr21
	s_branch .LBB142_1358
.LBB142_1348:
	s_and_not1_saveexec_b32 s23, s23
	s_cbranch_execz .LBB142_1332
.LBB142_1349:
	v_cmp_ne_u16_e32 vcc_lo, 0, v5
	s_and_not1_b32 s22, s22, exec_lo
	s_and_not1_b32 s21, s21, exec_lo
	s_and_b32 s24, vcc_lo, exec_lo
	s_delay_alu instid0(SALU_CYCLE_1)
	s_or_b32 s22, s22, s24
	s_or_b32 exec_lo, exec_lo, s23
	s_and_saveexec_b32 s23, s22
	s_cbranch_execnz .LBB142_1333
	s_branch .LBB142_1334
.LBB142_1350:
	s_mov_b32 s0, -1
                                        ; implicit-def: $sgpr21
	s_branch .LBB142_1355
.LBB142_1351:
	s_mov_b32 s0, -1
                                        ; implicit-def: $sgpr21
.LBB142_1352:
	s_delay_alu instid0(SALU_CYCLE_1)
	s_and_b32 vcc_lo, exec_lo, s0
	s_cbranch_vccz .LBB142_1354
; %bb.1353:
	global_load_u8 v5, v[0:1], off
	s_and_not1_b32 s21, s21, exec_lo
	s_waitcnt vmcnt(0)
	v_lshlrev_b32_e32 v5, 24, v5
	s_delay_alu instid0(VALU_DEP_1) | instskip(NEXT) | instid1(VALU_DEP_1)
	v_and_b32_e32 v5, 0x7f000000, v5
	v_clz_i32_u32_e32 v6, v5
	v_add_nc_u32_e32 v8, 0x1000000, v5
	v_cmp_ne_u32_e32 vcc_lo, 0, v5
	s_delay_alu instid0(VALU_DEP_3) | instskip(NEXT) | instid1(VALU_DEP_3)
	v_min_u32_e32 v6, 32, v6
	v_ashrrev_i32_e32 v8, 8, v8
	s_delay_alu instid0(VALU_DEP_2) | instskip(NEXT) | instid1(VALU_DEP_1)
	v_sub_nc_u32_e64 v6, v6, 4 clamp
	v_lshlrev_b32_e32 v7, v6, v5
	v_lshlrev_b32_e32 v6, 23, v6
	s_delay_alu instid0(VALU_DEP_2) | instskip(NEXT) | instid1(VALU_DEP_1)
	v_lshrrev_b32_e32 v7, 4, v7
	v_sub_nc_u32_e32 v6, v7, v6
	v_and_b32_e32 v7, 0x7f800000, v8
	s_delay_alu instid0(VALU_DEP_2) | instskip(NEXT) | instid1(VALU_DEP_1)
	v_add_nc_u32_e32 v6, 0x3c000000, v6
	v_and_or_b32 v6, 0x7ff00000, v6, v7
	s_delay_alu instid0(VALU_DEP_1) | instskip(NEXT) | instid1(VALU_DEP_1)
	v_cmp_ne_u32_e64 s0, 0, v6
	s_and_b32 s0, vcc_lo, s0
	s_delay_alu instid0(SALU_CYCLE_1) | instskip(NEXT) | instid1(SALU_CYCLE_1)
	s_and_b32 s0, s0, exec_lo
	s_or_b32 s21, s21, s0
.LBB142_1354:
	s_mov_b32 s0, 0
.LBB142_1355:
	s_delay_alu instid0(SALU_CYCLE_1)
	s_and_not1_b32 vcc_lo, exec_lo, s0
	s_cbranch_vccnz .LBB142_1357
; %bb.1356:
	global_load_u8 v5, v[0:1], off
	s_and_not1_b32 s0, s21, exec_lo
	s_waitcnt vmcnt(0)
	v_lshlrev_b32_e32 v6, 25, v5
	v_lshlrev_b32_e32 v5, 8, v5
	s_delay_alu instid0(VALU_DEP_2) | instskip(NEXT) | instid1(VALU_DEP_2)
	v_lshrrev_b32_e32 v7, 4, v6
	v_and_or_b32 v5, 0x7f00, v5, 0.5
	s_delay_alu instid0(VALU_DEP_2) | instskip(NEXT) | instid1(VALU_DEP_2)
	v_or_b32_e32 v7, 0x70000000, v7
	v_add_f32_e32 v5, -0.5, v5
	s_delay_alu instid0(VALU_DEP_2) | instskip(SKIP_1) | instid1(VALU_DEP_2)
	v_mul_f32_e32 v7, 0x7800000, v7
	v_cmp_gt_u32_e32 vcc_lo, 0x8000000, v6
	v_cndmask_b32_e32 v5, v7, v5, vcc_lo
	s_delay_alu instid0(VALU_DEP_1) | instskip(SKIP_1) | instid1(SALU_CYCLE_1)
	v_cmp_neq_f32_e32 vcc_lo, 0, v5
	s_and_b32 s21, vcc_lo, exec_lo
	s_or_b32 s21, s0, s21
.LBB142_1357:
	s_mov_b32 s0, 0
	s_mov_b32 s22, -1
.LBB142_1358:
	s_and_not1_b32 vcc_lo, exec_lo, s0
	s_mov_b32 s0, 0
	s_cbranch_vccnz .LBB142_1369
; %bb.1359:
	v_cmp_lt_i16_e32 vcc_lo, 14, v4
	s_cbranch_vccz .LBB142_1362
; %bb.1360:
	v_cmp_eq_u16_e32 vcc_lo, 15, v4
	s_cbranch_vccz .LBB142_1365
; %bb.1361:
	global_load_u16 v5, v[0:1], off
	s_mov_b32 s20, 0
	s_mov_b32 s22, -1
	s_waitcnt vmcnt(0)
	v_and_b32_e32 v5, 0x7fff, v5
	s_delay_alu instid0(VALU_DEP_1)
	v_cmp_ne_u16_e32 vcc_lo, 0, v5
	s_and_b32 s21, vcc_lo, exec_lo
	s_branch .LBB142_1367
.LBB142_1362:
	s_mov_b32 s0, -1
	s_branch .LBB142_1366
.LBB142_1363:
	s_and_not1_saveexec_b32 s22, s22
	s_cbranch_execz .LBB142_1344
.LBB142_1364:
	v_cmp_ne_u16_e32 vcc_lo, 0, v5
	s_and_not1_b32 s0, s0, exec_lo
	s_and_not1_b32 s21, s21, exec_lo
	s_and_b32 s23, vcc_lo, exec_lo
	s_delay_alu instid0(SALU_CYCLE_1)
	s_or_b32 s0, s0, s23
	s_or_b32 exec_lo, exec_lo, s22
	s_and_saveexec_b32 s22, s0
	s_cbranch_execnz .LBB142_1345
	s_branch .LBB142_1346
.LBB142_1365:
	s_mov_b32 s20, -1
.LBB142_1366:
                                        ; implicit-def: $sgpr21
.LBB142_1367:
	s_and_b32 vcc_lo, exec_lo, s0
	s_mov_b32 s0, 0
	s_cbranch_vccz .LBB142_1369
; %bb.1368:
	v_cmp_ne_u16_e32 vcc_lo, 11, v4
	s_and_not1_b32 s20, s20, exec_lo
	s_mov_b32 s0, -1
	s_and_not1_b32 s21, s21, exec_lo
	s_and_b32 s23, vcc_lo, exec_lo
	s_delay_alu instid0(SALU_CYCLE_1)
	s_or_b32 s20, s20, s23
.LBB142_1369:
	s_mov_b32 s23, 0
.LBB142_1370:
	s_and_not1_b32 s18, s18, exec_lo
	s_and_b32 s24, s20, exec_lo
	s_and_b32 s21, s21, exec_lo
	;; [unrolled: 1-line block ×5, first 2 shown]
	s_or_b32 s18, s18, s24
.LBB142_1371:
	s_or_b32 exec_lo, exec_lo, s19
	s_and_saveexec_b32 s0, s18
	s_cbranch_execnz .LBB142_1383
; %bb.1372:
	s_or_b32 exec_lo, exec_lo, s0
	s_and_saveexec_b32 s0, s20
	s_delay_alu instid0(SALU_CYCLE_1)
	s_xor_b32 s0, exec_lo, s0
	s_cbranch_execz .LBB142_1374
.LBB142_1373:
	global_load_u8 v5, v[0:1], off
	s_and_not1_b32 s18, s21, exec_lo
	s_or_b32 s22, s22, exec_lo
	s_waitcnt vmcnt(0)
	v_cmp_ne_u16_e32 vcc_lo, 0, v5
	s_and_b32 s19, vcc_lo, exec_lo
	s_delay_alu instid0(SALU_CYCLE_1)
	s_or_b32 s21, s18, s19
.LBB142_1374:
	s_or_b32 exec_lo, exec_lo, s0
	s_and_saveexec_b32 s18, s23
	s_cbranch_execz .LBB142_1422
; %bb.1375:
	v_cmp_gt_i16_e32 vcc_lo, 5, v4
	s_cbranch_vccnz .LBB142_1380
; %bb.1376:
	v_cmp_gt_i16_e32 vcc_lo, 8, v4
	s_cbranch_vccnz .LBB142_1381
	;; [unrolled: 3-line block ×3, first 2 shown]
; %bb.1378:
	v_cmp_lt_i16_e32 vcc_lo, 9, v4
	s_cbranch_vccz .LBB142_1385
; %bb.1379:
	global_load_b128 v[5:8], v[0:1], off
	s_mov_b32 s19, 0
	s_waitcnt vmcnt(0)
	v_cmp_neq_f64_e32 vcc_lo, 0, v[5:6]
	v_cmp_neq_f64_e64 s0, 0, v[7:8]
	s_delay_alu instid0(VALU_DEP_1) | instskip(NEXT) | instid1(SALU_CYCLE_1)
	s_or_b32 s0, vcc_lo, s0
	s_and_b32 s0, s0, exec_lo
	s_branch .LBB142_1386
.LBB142_1380:
                                        ; implicit-def: $sgpr0
	s_branch .LBB142_1403
.LBB142_1381:
                                        ; implicit-def: $sgpr0
	s_branch .LBB142_1392
.LBB142_1382:
	s_mov_b32 s19, -1
                                        ; implicit-def: $sgpr0
	s_branch .LBB142_1389
.LBB142_1383:
	s_cbranch_execnz .LBB142_1431
; %bb.1384:
	s_and_not1_b32 s21, s21, exec_lo
	s_or_b32 s17, s17, exec_lo
	s_and_not1_b32 s22, s22, exec_lo
	s_and_not1_b32 s20, s20, exec_lo
	s_or_b32 exec_lo, exec_lo, s0
	s_and_saveexec_b32 s0, s20
	s_delay_alu instid0(SALU_CYCLE_1)
	s_xor_b32 s0, exec_lo, s0
	s_cbranch_execnz .LBB142_1373
	s_branch .LBB142_1374
.LBB142_1385:
	s_mov_b32 s19, -1
                                        ; implicit-def: $sgpr0
.LBB142_1386:
	s_delay_alu instid0(SALU_CYCLE_1)
	s_and_not1_b32 vcc_lo, exec_lo, s19
	s_cbranch_vccnz .LBB142_1388
; %bb.1387:
	global_load_b64 v[5:6], v[0:1], off
	s_and_not1_b32 s0, s0, exec_lo
	s_waitcnt vmcnt(0)
	v_or_b32_e32 v5, v5, v6
	s_delay_alu instid0(VALU_DEP_1) | instskip(NEXT) | instid1(VALU_DEP_1)
	v_and_b32_e32 v5, 0x7fffffff, v5
	v_cmp_ne_u32_e32 vcc_lo, 0, v5
	s_and_b32 s19, vcc_lo, exec_lo
	s_delay_alu instid0(SALU_CYCLE_1)
	s_or_b32 s0, s0, s19
.LBB142_1388:
	s_mov_b32 s19, 0
.LBB142_1389:
	s_delay_alu instid0(SALU_CYCLE_1)
	s_and_not1_b32 vcc_lo, exec_lo, s19
	s_cbranch_vccnz .LBB142_1391
; %bb.1390:
	global_load_b32 v5, v[0:1], off
	s_and_not1_b32 s0, s0, exec_lo
	s_waitcnt vmcnt(0)
	v_and_b32_e32 v5, 0x7fff7fff, v5
	s_delay_alu instid0(VALU_DEP_1) | instskip(SKIP_1) | instid1(SALU_CYCLE_1)
	v_cmp_ne_u32_e32 vcc_lo, 0, v5
	s_and_b32 s19, vcc_lo, exec_lo
	s_or_b32 s0, s0, s19
.LBB142_1391:
	s_cbranch_execnz .LBB142_1402
.LBB142_1392:
	v_cmp_gt_i16_e32 vcc_lo, 6, v4
	s_cbranch_vccnz .LBB142_1395
; %bb.1393:
	v_cmp_lt_i16_e32 vcc_lo, 6, v4
	s_cbranch_vccz .LBB142_1396
; %bb.1394:
	global_load_b64 v[5:6], v[0:1], off
	s_mov_b32 s19, 0
	s_waitcnt vmcnt(0)
	v_cmp_neq_f64_e32 vcc_lo, 0, v[5:6]
	s_and_b32 s0, vcc_lo, exec_lo
	s_branch .LBB142_1397
.LBB142_1395:
	s_mov_b32 s19, -1
                                        ; implicit-def: $sgpr0
	s_branch .LBB142_1400
.LBB142_1396:
	s_mov_b32 s19, -1
                                        ; implicit-def: $sgpr0
.LBB142_1397:
	s_delay_alu instid0(SALU_CYCLE_1)
	s_and_not1_b32 vcc_lo, exec_lo, s19
	s_cbranch_vccnz .LBB142_1399
; %bb.1398:
	global_load_b32 v5, v[0:1], off
	s_and_not1_b32 s0, s0, exec_lo
	s_waitcnt vmcnt(0)
	v_cmp_neq_f32_e32 vcc_lo, 0, v5
	s_and_b32 s19, vcc_lo, exec_lo
	s_delay_alu instid0(SALU_CYCLE_1)
	s_or_b32 s0, s0, s19
.LBB142_1399:
	s_mov_b32 s19, 0
.LBB142_1400:
	s_delay_alu instid0(SALU_CYCLE_1)
	s_and_not1_b32 vcc_lo, exec_lo, s19
	s_cbranch_vccnz .LBB142_1402
; %bb.1401:
	global_load_u16 v5, v[0:1], off
	s_and_not1_b32 s0, s0, exec_lo
	s_waitcnt vmcnt(0)
	v_and_b32_e32 v5, 0x7fff, v5
	s_delay_alu instid0(VALU_DEP_1) | instskip(SKIP_1) | instid1(SALU_CYCLE_1)
	v_cmp_ne_u16_e32 vcc_lo, 0, v5
	s_and_b32 s19, vcc_lo, exec_lo
	s_or_b32 s0, s0, s19
.LBB142_1402:
	s_cbranch_execnz .LBB142_1421
.LBB142_1403:
	v_cmp_gt_i16_e32 vcc_lo, 2, v4
	s_cbranch_vccnz .LBB142_1407
; %bb.1404:
	v_cmp_gt_i16_e32 vcc_lo, 3, v4
	s_cbranch_vccnz .LBB142_1408
; %bb.1405:
	v_cmp_lt_i16_e32 vcc_lo, 3, v4
	s_cbranch_vccz .LBB142_1409
; %bb.1406:
	global_load_b64 v[5:6], v[0:1], off
	s_mov_b32 s19, 0
	s_waitcnt vmcnt(0)
	v_cmp_ne_u64_e32 vcc_lo, 0, v[5:6]
	s_and_b32 s0, vcc_lo, exec_lo
	s_branch .LBB142_1410
.LBB142_1407:
                                        ; implicit-def: $sgpr0
	s_branch .LBB142_1416
.LBB142_1408:
	s_mov_b32 s19, -1
                                        ; implicit-def: $sgpr0
	s_branch .LBB142_1413
.LBB142_1409:
	s_mov_b32 s19, -1
                                        ; implicit-def: $sgpr0
.LBB142_1410:
	s_delay_alu instid0(SALU_CYCLE_1)
	s_and_not1_b32 vcc_lo, exec_lo, s19
	s_cbranch_vccnz .LBB142_1412
; %bb.1411:
	global_load_b32 v5, v[0:1], off
	s_and_not1_b32 s0, s0, exec_lo
	s_waitcnt vmcnt(0)
	v_cmp_ne_u32_e32 vcc_lo, 0, v5
	s_and_b32 s19, vcc_lo, exec_lo
	s_delay_alu instid0(SALU_CYCLE_1)
	s_or_b32 s0, s0, s19
.LBB142_1412:
	s_mov_b32 s19, 0
.LBB142_1413:
	s_delay_alu instid0(SALU_CYCLE_1)
	s_and_not1_b32 vcc_lo, exec_lo, s19
	s_cbranch_vccnz .LBB142_1415
; %bb.1414:
	global_load_u16 v5, v[0:1], off
	s_and_not1_b32 s0, s0, exec_lo
	s_waitcnt vmcnt(0)
	v_cmp_ne_u16_e32 vcc_lo, 0, v5
	s_and_b32 s19, vcc_lo, exec_lo
	s_delay_alu instid0(SALU_CYCLE_1)
	s_or_b32 s0, s0, s19
.LBB142_1415:
	s_cbranch_execnz .LBB142_1421
.LBB142_1416:
	v_cmp_lt_i16_e32 vcc_lo, 0, v4
	s_mov_b32 s19, 0
	s_cbranch_vccz .LBB142_1418
; %bb.1417:
	global_load_u8 v4, v[0:1], off
	s_waitcnt vmcnt(0)
	v_cmp_ne_u16_e32 vcc_lo, 0, v4
	s_and_b32 s0, vcc_lo, exec_lo
	s_branch .LBB142_1419
.LBB142_1418:
	s_mov_b32 s19, -1
                                        ; implicit-def: $sgpr0
.LBB142_1419:
	s_delay_alu instid0(SALU_CYCLE_1)
	s_and_not1_b32 vcc_lo, exec_lo, s19
	s_cbranch_vccnz .LBB142_1421
; %bb.1420:
	global_load_u8 v0, v[0:1], off
	s_and_not1_b32 s0, s0, exec_lo
	s_waitcnt vmcnt(0)
	v_cmp_ne_u16_e32 vcc_lo, 0, v0
	s_and_b32 s19, vcc_lo, exec_lo
	s_delay_alu instid0(SALU_CYCLE_1)
	s_or_b32 s0, s0, s19
.LBB142_1421:
	s_and_not1_b32 s19, s21, exec_lo
	s_and_b32 s0, s0, exec_lo
	s_or_b32 s22, s22, exec_lo
	s_or_b32 s21, s19, s0
.LBB142_1422:
	s_or_b32 exec_lo, exec_lo, s18
	s_mov_b32 s0, 0
	s_mov_b32 s19, 0
                                        ; implicit-def: $vgpr4
                                        ; implicit-def: $vgpr0_vgpr1
                                        ; implicit-def: $vgpr5
	s_and_saveexec_b32 s18, s22
	s_cbranch_execz .LBB142_1502
; %bb.1423:
	v_cndmask_b32_e64 v0, 0, 1.0, s21
	s_waitcnt vmcnt(0)
	v_lshlrev_b32_e32 v1, 16, v3
	v_and_b32_e64 v4, 0xff, s12
	s_delay_alu instid0(VALU_DEP_2) | instskip(SKIP_1) | instid1(VALU_DEP_3)
	v_mul_f32_e32 v0, v1, v0
	v_mul_lo_u32 v1, v2, s8
	v_cmp_gt_i16_e32 vcc_lo, 11, v4
	s_delay_alu instid0(VALU_DEP_3) | instskip(SKIP_1) | instid1(VALU_DEP_3)
	v_mul_f32_e32 v3, s11, v0
	s_and_b32 vcc_lo, exec_lo, vcc_lo
	v_ashrrev_i32_e32 v2, 31, v1
	s_delay_alu instid0(VALU_DEP_2) | instskip(NEXT) | instid1(VALU_DEP_1)
	v_bfe_u32 v0, v3, 16, 1
	v_add3_u32 v0, v3, v0, 0x7fff
	s_delay_alu instid0(VALU_DEP_1) | instskip(SKIP_1) | instid1(VALU_DEP_1)
	v_lshrrev_b32_e32 v5, 16, v0
	v_add_co_u32 v0, s0, s4, v1
	v_add_co_ci_u32_e64 v1, s0, s5, v2, s0
	v_cmp_o_f32_e64 s0, v3, v3
	s_delay_alu instid0(VALU_DEP_1)
	v_cndmask_b32_e64 v5, 0x7fc0, v5, s0
	s_cbranch_vccnz .LBB142_1430
; %bb.1424:
	v_cmp_lt_i16_e32 vcc_lo, 25, v4
	s_mov_b32 s19, -1
	s_mov_b32 s0, s16
	s_cbranch_vccz .LBB142_1460
; %bb.1425:
	v_cmp_lt_i16_e32 vcc_lo, 28, v4
	s_mov_b32 s0, s16
	s_cbranch_vccz .LBB142_1444
; %bb.1426:
	v_cmp_lt_i16_e32 vcc_lo, 43, v4
	;; [unrolled: 4-line block ×3, first 2 shown]
	s_mov_b32 s0, s16
	s_cbranch_vccz .LBB142_1434
; %bb.1428:
	v_cmp_eq_u16_e32 vcc_lo, 46, v4
	s_mov_b32 s0, -1
	s_cbranch_vccz .LBB142_1433
; %bb.1429:
	v_and_b32_e32 v2, 0xffff, v5
	s_mov_b32 s0, 0
	s_mov_b32 s19, 0
	global_store_b32 v[0:1], v2, off
	s_branch .LBB142_1434
.LBB142_1430:
	s_mov_b32 s20, 0
	s_mov_b32 s19, -1
	s_mov_b32 s0, s16
	s_branch .LBB142_1501
.LBB142_1431:
	s_trap 2
	s_sendmsg_rtn_b32 s0, sendmsg(MSG_RTN_GET_DOORBELL)
	s_mov_b32 ttmp2, m0
	s_waitcnt lgkmcnt(0)
	s_and_b32 s0, s0, 0x3ff
	s_delay_alu instid0(SALU_CYCLE_1) | instskip(NEXT) | instid1(SALU_CYCLE_1)
	s_bitset1_b32 s0, 10
	s_mov_b32 m0, s0
	s_sendmsg sendmsg(MSG_INTERRUPT)
	s_mov_b32 m0, ttmp2
.LBB142_1432:                           ; =>This Inner Loop Header: Depth=1
	s_sethalt 5
	s_branch .LBB142_1432
.LBB142_1433:
	s_mov_b32 s19, 0
.LBB142_1434:
	s_delay_alu instid0(SALU_CYCLE_1)
	s_and_b32 vcc_lo, exec_lo, s19
	s_cbranch_vccz .LBB142_1439
; %bb.1435:
	v_cmp_eq_u16_e32 vcc_lo, 44, v4
	s_mov_b32 s0, -1
	s_cbranch_vccz .LBB142_1439
; %bb.1436:
	v_and_b32_e32 v2, 0xffff, v5
	v_mov_b32_e32 v3, 0xff
	s_mov_b32 s19, exec_lo
	s_delay_alu instid0(VALU_DEP_2) | instskip(NEXT) | instid1(VALU_DEP_1)
	v_bfe_u32 v6, v2, 7, 8
	v_cmpx_ne_u32_e32 0xff, v6
; %bb.1437:
	v_lshlrev_b32_e32 v3, 16, v2
	v_and_b32_e32 v7, 64, v2
	v_lshrrev_b32_e32 v2, 7, v2
	s_delay_alu instid0(VALU_DEP_3) | instskip(NEXT) | instid1(VALU_DEP_3)
	v_and_or_b32 v3, 0x3f0000, v3, v6
	v_cmp_ne_u32_e32 vcc_lo, 0, v7
	s_delay_alu instid0(VALU_DEP_2) | instskip(NEXT) | instid1(VALU_DEP_1)
	v_cmp_ne_u32_e64 s0, 0, v3
	s_and_b32 s0, vcc_lo, s0
	s_delay_alu instid0(SALU_CYCLE_1) | instskip(NEXT) | instid1(VALU_DEP_1)
	v_cndmask_b32_e64 v3, 0, 1, s0
	v_add_nc_u32_e32 v3, v2, v3
; %bb.1438:
	s_or_b32 exec_lo, exec_lo, s19
	s_mov_b32 s0, 0
	global_store_b8 v[0:1], v3, off
.LBB142_1439:
	s_mov_b32 s19, 0
.LBB142_1440:
	s_delay_alu instid0(SALU_CYCLE_1)
	s_and_b32 vcc_lo, exec_lo, s19
	s_cbranch_vccz .LBB142_1443
; %bb.1441:
	v_cmp_eq_u16_e32 vcc_lo, 29, v4
	s_mov_b32 s0, -1
	s_cbranch_vccz .LBB142_1443
; %bb.1442:
	v_lshlrev_b32_e32 v2, 16, v5
	s_mov_b32 s0, 0
	s_mov_b32 s19, 0
	s_delay_alu instid0(VALU_DEP_1) | instskip(NEXT) | instid1(VALU_DEP_1)
	v_trunc_f32_e32 v2, v2
	v_mul_f32_e32 v3, 0x2f800000, v2
	s_delay_alu instid0(VALU_DEP_1) | instskip(NEXT) | instid1(VALU_DEP_1)
	v_floor_f32_e32 v3, v3
	v_fmamk_f32 v2, v3, 0xcf800000, v2
	v_cvt_u32_f32_e32 v3, v3
	s_delay_alu instid0(VALU_DEP_2)
	v_cvt_u32_f32_e32 v2, v2
	global_store_b64 v[0:1], v[2:3], off
	s_branch .LBB142_1444
.LBB142_1443:
	s_mov_b32 s19, 0
.LBB142_1444:
	s_delay_alu instid0(SALU_CYCLE_1)
	s_and_b32 vcc_lo, exec_lo, s19
	s_cbranch_vccz .LBB142_1459
; %bb.1445:
	v_cmp_gt_i16_e32 vcc_lo, 27, v4
	s_mov_b32 s19, -1
	s_cbranch_vccnz .LBB142_1451
; %bb.1446:
	v_cmp_lt_i16_e32 vcc_lo, 27, v4
	s_cbranch_vccz .LBB142_1448
; %bb.1447:
	v_lshlrev_b32_e32 v2, 16, v5
	s_mov_b32 s19, 0
	s_delay_alu instid0(VALU_DEP_1)
	v_cvt_u32_f32_e32 v2, v2
	global_store_b32 v[0:1], v2, off
.LBB142_1448:
	s_and_not1_b32 vcc_lo, exec_lo, s19
	s_cbranch_vccnz .LBB142_1450
; %bb.1449:
	v_lshlrev_b32_e32 v2, 16, v5
	s_delay_alu instid0(VALU_DEP_1)
	v_cvt_u32_f32_e32 v2, v2
	global_store_b16 v[0:1], v2, off
.LBB142_1450:
	s_mov_b32 s19, 0
.LBB142_1451:
	s_delay_alu instid0(SALU_CYCLE_1)
	s_and_not1_b32 vcc_lo, exec_lo, s19
	s_cbranch_vccnz .LBB142_1459
; %bb.1452:
	v_dual_mov_b32 v7, 0x80 :: v_dual_lshlrev_b32 v6, 16, v5
	s_mov_b32 s19, exec_lo
	s_delay_alu instid0(VALU_DEP_1) | instskip(NEXT) | instid1(VALU_DEP_1)
	v_and_b32_e32 v3, 0x7fffffff, v6
	v_cmpx_gt_u32_e32 0x43800000, v3
	s_cbranch_execz .LBB142_1458
; %bb.1453:
	v_and_b32_e32 v2, 0xffff, v5
	v_cmp_lt_u32_e32 vcc_lo, 0x3bffffff, v3
	s_mov_b32 s20, 0
                                        ; implicit-def: $vgpr3
	s_and_saveexec_b32 s21, vcc_lo
	s_delay_alu instid0(SALU_CYCLE_1)
	s_xor_b32 s21, exec_lo, s21
	s_cbranch_execz .LBB142_1694
; %bb.1454:
	v_bfe_u32 v3, v2, 4, 1
	s_mov_b32 s20, exec_lo
	s_delay_alu instid0(VALU_DEP_1) | instskip(NEXT) | instid1(VALU_DEP_1)
	v_add3_u32 v3, v6, v3, 0x487ffff
                                        ; implicit-def: $vgpr6
	v_lshrrev_b32_e32 v3, 20, v3
	s_or_saveexec_b32 s21, s21
                                        ; implicit-def: $sgpr22
	s_delay_alu instid0(SALU_CYCLE_1)
	s_xor_b32 exec_lo, exec_lo, s21
	s_cbranch_execnz .LBB142_1695
.LBB142_1455:
	s_or_b32 exec_lo, exec_lo, s21
	v_mov_b32_e32 v7, s22
	s_and_saveexec_b32 s21, s20
.LBB142_1456:
	v_lshrrev_b32_e32 v2, 8, v2
	s_delay_alu instid0(VALU_DEP_1)
	v_and_or_b32 v7, 0x80, v2, v3
.LBB142_1457:
	s_or_b32 exec_lo, exec_lo, s21
.LBB142_1458:
	s_delay_alu instid0(SALU_CYCLE_1)
	s_or_b32 exec_lo, exec_lo, s19
	global_store_b8 v[0:1], v7, off
.LBB142_1459:
	s_mov_b32 s19, 0
.LBB142_1460:
	s_delay_alu instid0(SALU_CYCLE_1)
	s_and_b32 vcc_lo, exec_lo, s19
	s_mov_b32 s19, 0
	s_cbranch_vccz .LBB142_1500
; %bb.1461:
	v_cmp_lt_i16_e32 vcc_lo, 22, v4
	s_mov_b32 s20, -1
	s_cbranch_vccz .LBB142_1493
; %bb.1462:
	v_cmp_gt_i16_e32 vcc_lo, 24, v4
	s_cbranch_vccnz .LBB142_1482
; %bb.1463:
	v_cmp_lt_i16_e32 vcc_lo, 24, v4
	s_cbranch_vccz .LBB142_1471
; %bb.1464:
	v_dual_mov_b32 v7, 0x80 :: v_dual_lshlrev_b32 v6, 16, v5
	s_mov_b32 s20, exec_lo
	s_delay_alu instid0(VALU_DEP_1) | instskip(NEXT) | instid1(VALU_DEP_1)
	v_and_b32_e32 v3, 0x7fffffff, v6
	v_cmpx_gt_u32_e32 0x47800000, v3
	s_cbranch_execz .LBB142_1470
; %bb.1465:
	v_and_b32_e32 v2, 0xffff, v5
	v_cmp_lt_u32_e32 vcc_lo, 0x37ffffff, v3
	s_mov_b32 s21, 0
                                        ; implicit-def: $vgpr3
	s_and_saveexec_b32 s22, vcc_lo
	s_delay_alu instid0(SALU_CYCLE_1)
	s_xor_b32 s22, exec_lo, s22
	s_cbranch_execz .LBB142_1824
; %bb.1466:
	v_bfe_u32 v3, v2, 5, 1
	s_mov_b32 s21, exec_lo
	s_delay_alu instid0(VALU_DEP_1) | instskip(NEXT) | instid1(VALU_DEP_1)
	v_add3_u32 v3, v6, v3, 0x88fffff
                                        ; implicit-def: $vgpr6
	v_lshrrev_b32_e32 v3, 21, v3
	s_or_saveexec_b32 s22, s22
                                        ; implicit-def: $sgpr23
	s_delay_alu instid0(SALU_CYCLE_1)
	s_xor_b32 exec_lo, exec_lo, s22
	s_cbranch_execnz .LBB142_1825
.LBB142_1467:
	s_or_b32 exec_lo, exec_lo, s22
	v_mov_b32_e32 v7, s23
	s_and_saveexec_b32 s22, s21
.LBB142_1468:
	v_lshrrev_b32_e32 v2, 8, v2
	s_delay_alu instid0(VALU_DEP_1)
	v_and_or_b32 v7, 0x80, v2, v3
.LBB142_1469:
	s_or_b32 exec_lo, exec_lo, s22
.LBB142_1470:
	s_delay_alu instid0(SALU_CYCLE_1)
	s_or_b32 exec_lo, exec_lo, s20
	s_mov_b32 s20, 0
	global_store_b8 v[0:1], v7, off
.LBB142_1471:
	s_and_b32 vcc_lo, exec_lo, s20
	s_cbranch_vccz .LBB142_1481
; %bb.1472:
	v_lshlrev_b32_e32 v6, 16, v5
	v_and_b32_e32 v2, 0xffff, v5
	s_mov_b32 s20, exec_lo
                                        ; implicit-def: $vgpr3
	s_delay_alu instid0(VALU_DEP_2) | instskip(NEXT) | instid1(VALU_DEP_1)
	v_and_b32_e32 v7, 0x7fffffff, v6
	v_cmpx_gt_u32_e32 0x43f00000, v7
	s_xor_b32 s20, exec_lo, s20
	s_cbranch_execz .LBB142_1478
; %bb.1473:
	s_mov_b32 s21, exec_lo
                                        ; implicit-def: $vgpr3
	v_cmpx_lt_u32_e32 0x3c7fffff, v7
	s_xor_b32 s21, exec_lo, s21
; %bb.1474:
	v_bfe_u32 v3, v2, 4, 1
	s_delay_alu instid0(VALU_DEP_1) | instskip(NEXT) | instid1(VALU_DEP_1)
	v_add3_u32 v3, v6, v3, 0x407ffff
	v_and_b32_e32 v6, 0xff00000, v3
	v_lshrrev_b32_e32 v3, 20, v3
	s_delay_alu instid0(VALU_DEP_2) | instskip(NEXT) | instid1(VALU_DEP_2)
	v_cmp_ne_u32_e32 vcc_lo, 0x7f00000, v6
                                        ; implicit-def: $vgpr6
	v_cndmask_b32_e32 v3, 0x7e, v3, vcc_lo
; %bb.1475:
	s_and_not1_saveexec_b32 s21, s21
; %bb.1476:
	v_add_f32_e64 v3, 0x46800000, |v6|
; %bb.1477:
	s_or_b32 exec_lo, exec_lo, s21
                                        ; implicit-def: $vgpr7
.LBB142_1478:
	s_and_not1_saveexec_b32 s20, s20
; %bb.1479:
	v_mov_b32_e32 v3, 0x7f
	v_cmp_lt_u32_e32 vcc_lo, 0x7f800000, v7
	s_delay_alu instid0(VALU_DEP_2)
	v_cndmask_b32_e32 v3, 0x7e, v3, vcc_lo
; %bb.1480:
	s_or_b32 exec_lo, exec_lo, s20
	v_lshrrev_b32_e32 v2, 8, v2
	s_delay_alu instid0(VALU_DEP_1)
	v_and_or_b32 v2, 0x80, v2, v3
	global_store_b8 v[0:1], v2, off
.LBB142_1481:
	s_mov_b32 s20, 0
.LBB142_1482:
	s_delay_alu instid0(SALU_CYCLE_1)
	s_and_not1_b32 vcc_lo, exec_lo, s20
	s_cbranch_vccnz .LBB142_1492
; %bb.1483:
	v_lshlrev_b32_e32 v6, 16, v5
	v_and_b32_e32 v2, 0xffff, v5
	s_mov_b32 s20, exec_lo
                                        ; implicit-def: $vgpr3
	s_delay_alu instid0(VALU_DEP_2) | instskip(NEXT) | instid1(VALU_DEP_1)
	v_and_b32_e32 v7, 0x7fffffff, v6
	v_cmpx_gt_u32_e32 0x47800000, v7
	s_xor_b32 s20, exec_lo, s20
	s_cbranch_execz .LBB142_1489
; %bb.1484:
	s_mov_b32 s21, exec_lo
                                        ; implicit-def: $vgpr3
	v_cmpx_lt_u32_e32 0x387fffff, v7
	s_xor_b32 s21, exec_lo, s21
; %bb.1485:
	v_bfe_u32 v3, v2, 5, 1
	s_delay_alu instid0(VALU_DEP_1) | instskip(NEXT) | instid1(VALU_DEP_1)
	v_add3_u32 v3, v6, v3, 0x80fffff
                                        ; implicit-def: $vgpr6
	v_lshrrev_b32_e32 v3, 21, v3
; %bb.1486:
	s_and_not1_saveexec_b32 s21, s21
; %bb.1487:
	v_add_f32_e64 v3, 0x43000000, |v6|
; %bb.1488:
	s_or_b32 exec_lo, exec_lo, s21
                                        ; implicit-def: $vgpr7
.LBB142_1489:
	s_and_not1_saveexec_b32 s20, s20
; %bb.1490:
	v_mov_b32_e32 v3, 0x7f
	v_cmp_lt_u32_e32 vcc_lo, 0x7f800000, v7
	s_delay_alu instid0(VALU_DEP_2)
	v_cndmask_b32_e32 v3, 0x7c, v3, vcc_lo
; %bb.1491:
	s_or_b32 exec_lo, exec_lo, s20
	v_lshrrev_b32_e32 v2, 8, v2
	s_delay_alu instid0(VALU_DEP_1)
	v_and_or_b32 v2, 0x80, v2, v3
	global_store_b8 v[0:1], v2, off
.LBB142_1492:
	s_mov_b32 s20, 0
.LBB142_1493:
	s_delay_alu instid0(SALU_CYCLE_1)
	s_and_not1_b32 vcc_lo, exec_lo, s20
	s_mov_b32 s20, 0
	s_cbranch_vccnz .LBB142_1501
; %bb.1494:
	v_cmp_lt_i16_e32 vcc_lo, 14, v4
	s_mov_b32 s20, -1
	s_cbranch_vccz .LBB142_1498
; %bb.1495:
	v_cmp_eq_u16_e32 vcc_lo, 15, v4
	s_mov_b32 s0, -1
	s_cbranch_vccz .LBB142_1497
; %bb.1496:
	s_mov_b32 s0, 0
	global_store_b16 v[0:1], v5, off
.LBB142_1497:
	s_mov_b32 s20, 0
.LBB142_1498:
	s_delay_alu instid0(SALU_CYCLE_1)
	s_and_b32 vcc_lo, exec_lo, s20
	s_mov_b32 s20, 0
	s_cbranch_vccz .LBB142_1501
; %bb.1499:
	v_cmp_ne_u16_e32 vcc_lo, 11, v4
	s_and_not1_b32 s0, s0, exec_lo
	s_mov_b32 s20, -1
	s_and_b32 s21, vcc_lo, exec_lo
	s_delay_alu instid0(SALU_CYCLE_1)
	s_or_b32 s0, s0, s21
	s_branch .LBB142_1501
.LBB142_1500:
	s_mov_b32 s20, 0
.LBB142_1501:
	s_and_not1_b32 s16, s16, exec_lo
	s_and_b32 s21, s0, exec_lo
	s_and_b32 s19, s19, exec_lo
	;; [unrolled: 1-line block ×3, first 2 shown]
	s_or_b32 s16, s16, s21
.LBB142_1502:
	s_or_b32 exec_lo, exec_lo, s18
	s_and_saveexec_b32 s18, s16
	s_cbranch_execnz .LBB142_1564
; %bb.1503:
	s_or_b32 exec_lo, exec_lo, s18
	s_and_saveexec_b32 s16, s0
	s_delay_alu instid0(SALU_CYCLE_1)
	s_xor_b32 s0, exec_lo, s16
	s_cbranch_execz .LBB142_1505
.LBB142_1504:
	v_and_b32_e32 v2, 0x7fff, v5
	s_delay_alu instid0(VALU_DEP_1)
	v_cmp_ne_u16_e32 vcc_lo, 0, v2
	v_cndmask_b32_e64 v2, 0, 1, vcc_lo
	global_store_b8 v[0:1], v2, off
.LBB142_1505:
	s_or_b32 exec_lo, exec_lo, s0
	s_and_saveexec_b32 s0, s19
	s_delay_alu instid0(SALU_CYCLE_1)
	s_xor_b32 s0, exec_lo, s0
	s_cbranch_execz .LBB142_1543
; %bb.1506:
	v_cmp_gt_i16_e32 vcc_lo, 5, v4
	s_mov_b32 s16, -1
	s_cbranch_vccnz .LBB142_1527
; %bb.1507:
	v_cmp_gt_i16_e32 vcc_lo, 8, v4
	s_cbranch_vccnz .LBB142_1517
; %bb.1508:
	v_cmp_gt_i16_e32 vcc_lo, 9, v4
	s_cbranch_vccnz .LBB142_1514
; %bb.1509:
	v_cmp_lt_i16_e32 vcc_lo, 9, v4
	s_cbranch_vccz .LBB142_1511
; %bb.1510:
	v_mov_b32_e32 v8, 0
	v_lshlrev_b32_e32 v2, 16, v5
	s_mov_b32 s16, 0
	s_delay_alu instid0(VALU_DEP_2) | instskip(NEXT) | instid1(VALU_DEP_2)
	v_mov_b32_e32 v9, v8
	v_cvt_f64_f32_e32 v[6:7], v2
	global_store_b128 v[0:1], v[6:9], off
.LBB142_1511:
	s_and_not1_b32 vcc_lo, exec_lo, s16
	s_cbranch_vccnz .LBB142_1513
; %bb.1512:
	s_waitcnt vmcnt(0)
	v_dual_mov_b32 v3, 0 :: v_dual_lshlrev_b32 v2, 16, v5
	global_store_b64 v[0:1], v[2:3], off
.LBB142_1513:
	s_mov_b32 s16, 0
.LBB142_1514:
	s_delay_alu instid0(SALU_CYCLE_1)
	s_and_not1_b32 vcc_lo, exec_lo, s16
	s_cbranch_vccnz .LBB142_1516
; %bb.1515:
	v_lshlrev_b32_e32 v2, 16, v5
	s_delay_alu instid0(VALU_DEP_1) | instskip(NEXT) | instid1(VALU_DEP_1)
	v_cvt_f16_f32_e32 v2, v2
	v_and_b32_e32 v2, 0xffff, v2
	global_store_b32 v[0:1], v2, off
.LBB142_1516:
	s_mov_b32 s16, 0
.LBB142_1517:
	s_delay_alu instid0(SALU_CYCLE_1)
	s_and_not1_b32 vcc_lo, exec_lo, s16
	s_cbranch_vccnz .LBB142_1526
; %bb.1518:
	v_cmp_gt_i16_e32 vcc_lo, 6, v4
	s_mov_b32 s16, -1
	s_cbranch_vccnz .LBB142_1524
; %bb.1519:
	v_cmp_lt_i16_e32 vcc_lo, 6, v4
	s_cbranch_vccz .LBB142_1521
; %bb.1520:
	v_lshlrev_b32_e32 v2, 16, v5
	s_mov_b32 s16, 0
	s_waitcnt vmcnt(0)
	s_delay_alu instid0(VALU_DEP_1)
	v_cvt_f64_f32_e32 v[2:3], v2
	global_store_b64 v[0:1], v[2:3], off
.LBB142_1521:
	s_and_not1_b32 vcc_lo, exec_lo, s16
	s_cbranch_vccnz .LBB142_1523
; %bb.1522:
	v_lshlrev_b32_e32 v2, 16, v5
	global_store_b32 v[0:1], v2, off
.LBB142_1523:
	s_mov_b32 s16, 0
.LBB142_1524:
	s_delay_alu instid0(SALU_CYCLE_1)
	s_and_not1_b32 vcc_lo, exec_lo, s16
	s_cbranch_vccnz .LBB142_1526
; %bb.1525:
	v_lshlrev_b32_e32 v2, 16, v5
	s_delay_alu instid0(VALU_DEP_1)
	v_cvt_f16_f32_e32 v2, v2
	global_store_b16 v[0:1], v2, off
.LBB142_1526:
	s_mov_b32 s16, 0
.LBB142_1527:
	s_delay_alu instid0(SALU_CYCLE_1)
	s_and_not1_b32 vcc_lo, exec_lo, s16
	s_cbranch_vccnz .LBB142_1543
; %bb.1528:
	v_cmp_gt_i16_e32 vcc_lo, 2, v4
	s_mov_b32 s16, -1
	s_cbranch_vccnz .LBB142_1538
; %bb.1529:
	v_cmp_gt_i16_e32 vcc_lo, 3, v4
	s_cbranch_vccnz .LBB142_1535
; %bb.1530:
	v_cmp_lt_i16_e32 vcc_lo, 3, v4
	s_cbranch_vccz .LBB142_1532
; %bb.1531:
	v_lshlrev_b32_e32 v2, 16, v5
	s_mov_b32 s16, 0
	s_delay_alu instid0(VALU_DEP_1) | instskip(SKIP_1) | instid1(VALU_DEP_1)
	v_trunc_f32_e32 v2, v2
	s_waitcnt vmcnt(0)
	v_mul_f32_e64 v3, 0x2f800000, |v2|
	v_ashrrev_i32_e32 v7, 31, v2
	s_delay_alu instid0(VALU_DEP_2) | instskip(NEXT) | instid1(VALU_DEP_1)
	v_floor_f32_e32 v3, v3
	v_fma_f32 v6, 0xcf800000, v3, |v2|
	v_cvt_u32_f32_e32 v3, v3
	s_delay_alu instid0(VALU_DEP_2) | instskip(NEXT) | instid1(VALU_DEP_2)
	v_cvt_u32_f32_e32 v2, v6
	v_xor_b32_e32 v3, v3, v7
	s_delay_alu instid0(VALU_DEP_2) | instskip(NEXT) | instid1(VALU_DEP_1)
	v_xor_b32_e32 v2, v2, v7
	v_sub_co_u32 v2, vcc_lo, v2, v7
	s_delay_alu instid0(VALU_DEP_3)
	v_sub_co_ci_u32_e32 v3, vcc_lo, v3, v7, vcc_lo
	global_store_b64 v[0:1], v[2:3], off
.LBB142_1532:
	s_and_not1_b32 vcc_lo, exec_lo, s16
	s_cbranch_vccnz .LBB142_1534
; %bb.1533:
	v_lshlrev_b32_e32 v2, 16, v5
	s_delay_alu instid0(VALU_DEP_1)
	v_cvt_i32_f32_e32 v2, v2
	global_store_b32 v[0:1], v2, off
.LBB142_1534:
	s_mov_b32 s16, 0
.LBB142_1535:
	s_delay_alu instid0(SALU_CYCLE_1)
	s_and_not1_b32 vcc_lo, exec_lo, s16
	s_cbranch_vccnz .LBB142_1537
; %bb.1536:
	v_lshlrev_b32_e32 v2, 16, v5
	s_delay_alu instid0(VALU_DEP_1)
	v_cvt_i32_f32_e32 v2, v2
	global_store_b16 v[0:1], v2, off
.LBB142_1537:
	s_mov_b32 s16, 0
.LBB142_1538:
	s_delay_alu instid0(SALU_CYCLE_1)
	s_and_not1_b32 vcc_lo, exec_lo, s16
	s_cbranch_vccnz .LBB142_1543
; %bb.1539:
	v_cmp_lt_i16_e32 vcc_lo, 0, v4
	v_lshlrev_b32_e32 v2, 16, v5
	s_mov_b32 s16, -1
	s_cbranch_vccz .LBB142_1541
; %bb.1540:
	s_waitcnt vmcnt(0)
	s_delay_alu instid0(VALU_DEP_1)
	v_cvt_i32_f32_e32 v3, v2
	s_mov_b32 s16, 0
	global_store_b8 v[0:1], v3, off
.LBB142_1541:
	s_and_not1_b32 vcc_lo, exec_lo, s16
	s_cbranch_vccnz .LBB142_1543
; %bb.1542:
	v_trunc_f32_e32 v2, v2
	s_waitcnt vmcnt(0)
	s_delay_alu instid0(VALU_DEP_1) | instskip(NEXT) | instid1(VALU_DEP_1)
	v_mul_f32_e64 v3, 0x2f800000, |v2|
	v_floor_f32_e32 v3, v3
	s_delay_alu instid0(VALU_DEP_1) | instskip(SKIP_1) | instid1(VALU_DEP_2)
	v_fma_f32 v3, 0xcf800000, v3, |v2|
	v_ashrrev_i32_e32 v2, 31, v2
	v_cvt_u32_f32_e32 v3, v3
	s_delay_alu instid0(VALU_DEP_1) | instskip(NEXT) | instid1(VALU_DEP_1)
	v_xor_b32_e32 v3, v3, v2
	v_sub_nc_u32_e32 v2, v3, v2
	global_store_b8 v[0:1], v2, off
.LBB142_1543:
	s_or_b32 exec_lo, exec_lo, s0
	s_delay_alu instid0(SALU_CYCLE_1)
	s_and_b32 s16, s17, exec_lo
                                        ; implicit-def: $vgpr2
.LBB142_1544:
	s_or_saveexec_b32 s15, s15
	s_mov_b32 s0, 0
                                        ; implicit-def: $vgpr3
                                        ; implicit-def: $vgpr0_vgpr1
                                        ; implicit-def: $vgpr4
	s_xor_b32 exec_lo, exec_lo, s15
	s_cbranch_execz .LBB142_3039
; %bb.1545:
	v_mul_lo_u32 v6, s9, v2
	v_and_b32_e64 v4, 0xff, s14
	s_delay_alu instid0(VALU_DEP_1) | instskip(NEXT) | instid1(VALU_DEP_3)
	v_cmp_gt_i16_e32 vcc_lo, 11, v4
	v_ashrrev_i32_e32 v1, 31, v6
	v_add_co_u32 v0, s0, s6, v6
	s_delay_alu instid0(VALU_DEP_1)
	v_add_co_ci_u32_e64 v1, s0, s7, v1, s0
	s_cbranch_vccnz .LBB142_1552
; %bb.1546:
	v_cmp_lt_i16_e32 vcc_lo, 25, v4
	s_mov_b32 s14, 0
	s_cbranch_vccz .LBB142_1558
; %bb.1547:
	v_cmp_lt_i16_e32 vcc_lo, 28, v4
	s_cbranch_vccz .LBB142_1560
; %bb.1548:
	v_cmp_lt_i16_e32 vcc_lo, 43, v4
	;; [unrolled: 3-line block ×3, first 2 shown]
	s_cbranch_vccz .LBB142_1566
; %bb.1550:
	v_cmp_eq_u16_e32 vcc_lo, 46, v4
	s_cbranch_vccz .LBB142_1606
; %bb.1551:
	global_load_b32 v3, v[0:1], off
	s_mov_b32 s0, 0
	s_mov_b32 s17, -1
	s_branch .LBB142_1608
.LBB142_1552:
	s_mov_b32 s17, 0
	s_mov_b32 s13, s16
                                        ; implicit-def: $vgpr3
	s_cbranch_execz .LBB142_1671
; %bb.1553:
	v_cmp_gt_i16_e32 vcc_lo, 5, v4
	s_cbranch_vccnz .LBB142_1559
; %bb.1554:
	v_cmp_gt_i16_e32 vcc_lo, 8, v4
	s_cbranch_vccnz .LBB142_1561
	;; [unrolled: 3-line block ×3, first 2 shown]
; %bb.1556:
	v_cmp_lt_i16_e32 vcc_lo, 9, v4
	s_cbranch_vccz .LBB142_1567
; %bb.1557:
	global_load_b64 v[7:8], v[0:1], off
	s_mov_b32 s0, 0
	s_waitcnt vmcnt(0)
	v_cvt_f32_f64_e32 v3, v[7:8]
	s_delay_alu instid0(VALU_DEP_1) | instskip(SKIP_1) | instid1(VALU_DEP_2)
	v_bfe_u32 v5, v3, 16, 1
	v_cmp_o_f32_e32 vcc_lo, v3, v3
	v_add3_u32 v5, v3, v5, 0x7fff
	s_delay_alu instid0(VALU_DEP_1) | instskip(NEXT) | instid1(VALU_DEP_1)
	v_lshrrev_b32_e32 v5, 16, v5
	v_cndmask_b32_e32 v3, 0x7fc0, v5, vcc_lo
	s_branch .LBB142_1568
.LBB142_1558:
	s_mov_b32 s17, 0
	s_mov_b32 s0, 0
                                        ; implicit-def: $vgpr3
	s_cbranch_execnz .LBB142_1636
	s_branch .LBB142_1667
.LBB142_1559:
                                        ; implicit-def: $vgpr3
	s_branch .LBB142_1585
.LBB142_1560:
	s_mov_b32 s13, -1
	s_mov_b32 s17, 0
	s_mov_b32 s0, 0
                                        ; implicit-def: $vgpr3
	s_branch .LBB142_1617
.LBB142_1561:
                                        ; implicit-def: $vgpr3
	s_branch .LBB142_1574
.LBB142_1562:
	s_mov_b32 s17, 0
	s_mov_b32 s0, 0
                                        ; implicit-def: $vgpr3
	s_cbranch_execnz .LBB142_1613
	s_branch .LBB142_1616
.LBB142_1563:
	s_mov_b32 s0, -1
                                        ; implicit-def: $vgpr3
	s_branch .LBB142_1571
.LBB142_1564:
	s_cbranch_execnz .LBB142_1604
; %bb.1565:
	s_or_b32 s17, s17, exec_lo
	s_and_not1_b32 s0, s0, exec_lo
	s_or_b32 exec_lo, exec_lo, s18
	s_and_saveexec_b32 s16, s0
	s_delay_alu instid0(SALU_CYCLE_1)
	s_xor_b32 s0, exec_lo, s16
	s_cbranch_execnz .LBB142_1504
	s_branch .LBB142_1505
.LBB142_1566:
	s_mov_b32 s13, -1
	s_mov_b32 s17, 0
	s_mov_b32 s0, 0
	s_branch .LBB142_1607
.LBB142_1567:
	s_mov_b32 s0, -1
                                        ; implicit-def: $vgpr3
.LBB142_1568:
	s_delay_alu instid0(SALU_CYCLE_1)
	s_and_not1_b32 vcc_lo, exec_lo, s0
	s_cbranch_vccnz .LBB142_1570
; %bb.1569:
	global_load_b32 v3, v[0:1], off
	s_waitcnt vmcnt(0)
	v_bfe_u32 v5, v3, 16, 1
	v_cmp_o_f32_e32 vcc_lo, v3, v3
	s_delay_alu instid0(VALU_DEP_2) | instskip(NEXT) | instid1(VALU_DEP_1)
	v_add3_u32 v5, v3, v5, 0x7fff
	v_lshrrev_b32_e32 v5, 16, v5
	s_delay_alu instid0(VALU_DEP_1)
	v_cndmask_b32_e32 v3, 0x7fc0, v5, vcc_lo
.LBB142_1570:
	s_mov_b32 s0, 0
.LBB142_1571:
	s_delay_alu instid0(SALU_CYCLE_1)
	s_and_not1_b32 vcc_lo, exec_lo, s0
	s_cbranch_vccnz .LBB142_1573
; %bb.1572:
	global_load_b32 v3, v[0:1], off
	s_waitcnt vmcnt(0)
	v_cvt_f32_f16_e32 v5, v3
	v_cmp_o_f16_e32 vcc_lo, v3, v3
	s_delay_alu instid0(VALU_DEP_2) | instskip(NEXT) | instid1(VALU_DEP_1)
	v_bfe_u32 v7, v5, 16, 1
	v_add3_u32 v5, v5, v7, 0x7fff
	s_delay_alu instid0(VALU_DEP_1) | instskip(NEXT) | instid1(VALU_DEP_1)
	v_lshrrev_b32_e32 v5, 16, v5
	v_cndmask_b32_e32 v3, 0x7fc0, v5, vcc_lo
.LBB142_1573:
	s_cbranch_execnz .LBB142_1584
.LBB142_1574:
	v_cmp_gt_i16_e32 vcc_lo, 6, v4
	s_cbranch_vccnz .LBB142_1577
; %bb.1575:
	v_cmp_lt_i16_e32 vcc_lo, 6, v4
	s_cbranch_vccz .LBB142_1578
; %bb.1576:
	global_load_b64 v[7:8], v[0:1], off
	s_mov_b32 s0, 0
	s_waitcnt vmcnt(0)
	v_cvt_f32_f64_e32 v3, v[7:8]
	s_delay_alu instid0(VALU_DEP_1) | instskip(SKIP_1) | instid1(VALU_DEP_2)
	v_bfe_u32 v5, v3, 16, 1
	v_cmp_o_f32_e32 vcc_lo, v3, v3
	v_add3_u32 v5, v3, v5, 0x7fff
	s_delay_alu instid0(VALU_DEP_1) | instskip(NEXT) | instid1(VALU_DEP_1)
	v_lshrrev_b32_e32 v5, 16, v5
	v_cndmask_b32_e32 v3, 0x7fc0, v5, vcc_lo
	s_branch .LBB142_1579
.LBB142_1577:
	s_mov_b32 s0, -1
                                        ; implicit-def: $vgpr3
	s_branch .LBB142_1582
.LBB142_1578:
	s_mov_b32 s0, -1
                                        ; implicit-def: $vgpr3
.LBB142_1579:
	s_delay_alu instid0(SALU_CYCLE_1)
	s_and_not1_b32 vcc_lo, exec_lo, s0
	s_cbranch_vccnz .LBB142_1581
; %bb.1580:
	global_load_b32 v3, v[0:1], off
	s_waitcnt vmcnt(0)
	v_bfe_u32 v5, v3, 16, 1
	v_cmp_o_f32_e32 vcc_lo, v3, v3
	s_delay_alu instid0(VALU_DEP_2) | instskip(NEXT) | instid1(VALU_DEP_1)
	v_add3_u32 v5, v3, v5, 0x7fff
	v_lshrrev_b32_e32 v5, 16, v5
	s_delay_alu instid0(VALU_DEP_1)
	v_cndmask_b32_e32 v3, 0x7fc0, v5, vcc_lo
.LBB142_1581:
	s_mov_b32 s0, 0
.LBB142_1582:
	s_delay_alu instid0(SALU_CYCLE_1)
	s_and_not1_b32 vcc_lo, exec_lo, s0
	s_cbranch_vccnz .LBB142_1584
; %bb.1583:
	global_load_u16 v3, v[0:1], off
	s_waitcnt vmcnt(0)
	v_cvt_f32_f16_e32 v5, v3
	v_cmp_o_f16_e32 vcc_lo, v3, v3
	s_delay_alu instid0(VALU_DEP_2) | instskip(NEXT) | instid1(VALU_DEP_1)
	v_bfe_u32 v7, v5, 16, 1
	v_add3_u32 v5, v5, v7, 0x7fff
	s_delay_alu instid0(VALU_DEP_1) | instskip(NEXT) | instid1(VALU_DEP_1)
	v_lshrrev_b32_e32 v5, 16, v5
	v_cndmask_b32_e32 v3, 0x7fc0, v5, vcc_lo
.LBB142_1584:
	s_cbranch_execnz .LBB142_1603
.LBB142_1585:
	v_cmp_gt_i16_e32 vcc_lo, 2, v4
	s_cbranch_vccnz .LBB142_1589
; %bb.1586:
	v_cmp_gt_i16_e32 vcc_lo, 3, v4
	s_cbranch_vccnz .LBB142_1590
; %bb.1587:
	v_cmp_lt_i16_e32 vcc_lo, 3, v4
	s_cbranch_vccz .LBB142_1591
; %bb.1588:
	global_load_b64 v[7:8], v[0:1], off
	s_mov_b32 s0, 0
	s_waitcnt vmcnt(0)
	v_xor_b32_e32 v3, v7, v8
	v_cls_i32_e32 v5, v8
	s_delay_alu instid0(VALU_DEP_2) | instskip(NEXT) | instid1(VALU_DEP_2)
	v_ashrrev_i32_e32 v3, 31, v3
	v_add_nc_u32_e32 v5, -1, v5
	s_delay_alu instid0(VALU_DEP_2) | instskip(NEXT) | instid1(VALU_DEP_1)
	v_add_nc_u32_e32 v3, 32, v3
	v_min_u32_e32 v3, v5, v3
	s_delay_alu instid0(VALU_DEP_1) | instskip(SKIP_1) | instid1(VALU_DEP_2)
	v_lshlrev_b64 v[7:8], v3, v[7:8]
	v_sub_nc_u32_e32 v3, 32, v3
	v_min_u32_e32 v5, 1, v7
	s_delay_alu instid0(VALU_DEP_1) | instskip(NEXT) | instid1(VALU_DEP_1)
	v_or_b32_e32 v5, v8, v5
	v_cvt_f32_i32_e32 v5, v5
	s_delay_alu instid0(VALU_DEP_1) | instskip(NEXT) | instid1(VALU_DEP_1)
	v_ldexp_f32 v3, v5, v3
	v_bfe_u32 v5, v3, 16, 1
	s_delay_alu instid0(VALU_DEP_1) | instskip(NEXT) | instid1(VALU_DEP_1)
	v_add3_u32 v3, v3, v5, 0x7fff
	v_lshrrev_b32_e32 v3, 16, v3
	s_branch .LBB142_1592
.LBB142_1589:
                                        ; implicit-def: $vgpr3
	s_branch .LBB142_1598
.LBB142_1590:
	s_mov_b32 s0, -1
                                        ; implicit-def: $vgpr3
	s_branch .LBB142_1595
.LBB142_1591:
	s_mov_b32 s0, -1
                                        ; implicit-def: $vgpr3
.LBB142_1592:
	s_delay_alu instid0(SALU_CYCLE_1)
	s_and_not1_b32 vcc_lo, exec_lo, s0
	s_cbranch_vccnz .LBB142_1594
; %bb.1593:
	global_load_b32 v3, v[0:1], off
	s_waitcnt vmcnt(0)
	v_cvt_f32_i32_e32 v3, v3
	s_delay_alu instid0(VALU_DEP_1) | instskip(NEXT) | instid1(VALU_DEP_1)
	v_bfe_u32 v5, v3, 16, 1
	v_add3_u32 v3, v3, v5, 0x7fff
	s_delay_alu instid0(VALU_DEP_1)
	v_lshrrev_b32_e32 v3, 16, v3
.LBB142_1594:
	s_mov_b32 s0, 0
.LBB142_1595:
	s_delay_alu instid0(SALU_CYCLE_1)
	s_and_not1_b32 vcc_lo, exec_lo, s0
	s_cbranch_vccnz .LBB142_1597
; %bb.1596:
	global_load_i16 v3, v[0:1], off
	s_waitcnt vmcnt(0)
	v_cvt_f32_i32_e32 v3, v3
	s_delay_alu instid0(VALU_DEP_1) | instskip(NEXT) | instid1(VALU_DEP_1)
	v_bfe_u32 v5, v3, 16, 1
	v_add3_u32 v3, v3, v5, 0x7fff
	s_delay_alu instid0(VALU_DEP_1)
	v_lshrrev_b32_e32 v3, 16, v3
.LBB142_1597:
	s_cbranch_execnz .LBB142_1603
.LBB142_1598:
	v_cmp_lt_i16_e32 vcc_lo, 0, v4
	s_mov_b32 s0, 0
	s_cbranch_vccz .LBB142_1600
; %bb.1599:
	global_load_i8 v3, v[0:1], off
	s_waitcnt vmcnt(0)
	v_cvt_f32_i32_e32 v3, v3
	s_delay_alu instid0(VALU_DEP_1) | instskip(NEXT) | instid1(VALU_DEP_1)
	v_bfe_u32 v5, v3, 16, 1
	v_add3_u32 v3, v3, v5, 0x7fff
	s_delay_alu instid0(VALU_DEP_1)
	v_lshrrev_b32_e32 v3, 16, v3
	s_branch .LBB142_1601
.LBB142_1600:
	s_mov_b32 s0, -1
                                        ; implicit-def: $vgpr3
.LBB142_1601:
	s_delay_alu instid0(SALU_CYCLE_1)
	s_and_not1_b32 vcc_lo, exec_lo, s0
	s_cbranch_vccnz .LBB142_1603
; %bb.1602:
	global_load_u8 v0, v[0:1], off
	s_waitcnt vmcnt(0)
	v_cvt_f32_ubyte0_e32 v0, v0
	s_delay_alu instid0(VALU_DEP_1) | instskip(NEXT) | instid1(VALU_DEP_1)
	v_bfe_u32 v1, v0, 16, 1
	v_add3_u32 v0, v0, v1, 0x7fff
	s_delay_alu instid0(VALU_DEP_1)
	v_lshrrev_b32_e32 v3, 16, v0
.LBB142_1603:
	s_branch .LBB142_1672
.LBB142_1604:
	s_trap 2
	s_sendmsg_rtn_b32 s0, sendmsg(MSG_RTN_GET_DOORBELL)
	s_mov_b32 ttmp2, m0
	s_waitcnt lgkmcnt(0)
	s_and_b32 s0, s0, 0x3ff
	s_delay_alu instid0(SALU_CYCLE_1) | instskip(NEXT) | instid1(SALU_CYCLE_1)
	s_bitset1_b32 s0, 10
	s_mov_b32 m0, s0
	s_sendmsg sendmsg(MSG_INTERRUPT)
	s_mov_b32 m0, ttmp2
.LBB142_1605:                           ; =>This Inner Loop Header: Depth=1
	s_sethalt 5
	s_branch .LBB142_1605
.LBB142_1606:
	s_mov_b32 s0, -1
	s_mov_b32 s17, 0
.LBB142_1607:
                                        ; implicit-def: $vgpr3
.LBB142_1608:
	s_and_b32 vcc_lo, exec_lo, s13
	s_cbranch_vccz .LBB142_1611
; %bb.1609:
	v_cmp_eq_u16_e32 vcc_lo, 44, v4
	s_cbranch_vccz .LBB142_1612
; %bb.1610:
	global_load_u8 v3, v[0:1], off
	s_mov_b32 s0, 0
	s_mov_b32 s17, -1
	s_waitcnt vmcnt(0)
	v_lshlrev_b32_e32 v5, 23, v3
	v_cmp_ne_u32_e32 vcc_lo, 0xff, v3
	s_delay_alu instid0(VALU_DEP_2) | instskip(SKIP_1) | instid1(VALU_DEP_2)
	v_cndmask_b32_e32 v5, 0x7f800001, v5, vcc_lo
	v_cmp_ne_u32_e32 vcc_lo, 0, v3
	v_cndmask_b32_e32 v3, 0x400000, v5, vcc_lo
	s_delay_alu instid0(VALU_DEP_1) | instskip(SKIP_1) | instid1(VALU_DEP_2)
	v_add_nc_u32_e32 v5, 0x7fff, v3
	v_cmp_o_f32_e32 vcc_lo, v3, v3
	v_lshrrev_b32_e32 v5, 16, v5
	s_delay_alu instid0(VALU_DEP_1)
	v_cndmask_b32_e32 v3, 0x7fc0, v5, vcc_lo
.LBB142_1611:
	s_branch .LBB142_1616
.LBB142_1612:
	s_mov_b32 s0, -1
                                        ; implicit-def: $vgpr3
	s_branch .LBB142_1616
.LBB142_1613:
	v_cmp_eq_u16_e32 vcc_lo, 29, v4
	s_cbranch_vccz .LBB142_1615
; %bb.1614:
	global_load_b64 v[7:8], v[0:1], off
	s_mov_b32 s0, 0
	s_mov_b32 s17, -1
	s_mov_b32 s13, 0
	s_waitcnt vmcnt(0)
	v_clz_i32_u32_e32 v3, v8
	s_delay_alu instid0(VALU_DEP_1) | instskip(NEXT) | instid1(VALU_DEP_1)
	v_min_u32_e32 v3, 32, v3
	v_lshlrev_b64 v[7:8], v3, v[7:8]
	v_sub_nc_u32_e32 v3, 32, v3
	s_delay_alu instid0(VALU_DEP_2) | instskip(NEXT) | instid1(VALU_DEP_1)
	v_min_u32_e32 v5, 1, v7
	v_or_b32_e32 v5, v8, v5
	s_delay_alu instid0(VALU_DEP_1) | instskip(NEXT) | instid1(VALU_DEP_1)
	v_cvt_f32_u32_e32 v5, v5
	v_ldexp_f32 v3, v5, v3
	s_delay_alu instid0(VALU_DEP_1) | instskip(NEXT) | instid1(VALU_DEP_1)
	v_bfe_u32 v5, v3, 16, 1
	v_add3_u32 v3, v3, v5, 0x7fff
	s_delay_alu instid0(VALU_DEP_1)
	v_lshrrev_b32_e32 v3, 16, v3
	s_branch .LBB142_1617
.LBB142_1615:
	s_mov_b32 s0, -1
                                        ; implicit-def: $vgpr3
.LBB142_1616:
	s_mov_b32 s13, 0
.LBB142_1617:
	s_delay_alu instid0(SALU_CYCLE_1)
	s_and_b32 vcc_lo, exec_lo, s13
	s_cbranch_vccz .LBB142_1635
; %bb.1618:
	v_cmp_gt_i16_e32 vcc_lo, 27, v4
	s_cbranch_vccnz .LBB142_1621
; %bb.1619:
	v_cmp_lt_i16_e32 vcc_lo, 27, v4
	s_cbranch_vccz .LBB142_1622
; %bb.1620:
	global_load_b32 v3, v[0:1], off
	s_mov_b32 s13, 0
	s_waitcnt vmcnt(0)
	v_cvt_f32_u32_e32 v3, v3
	s_delay_alu instid0(VALU_DEP_1) | instskip(NEXT) | instid1(VALU_DEP_1)
	v_bfe_u32 v5, v3, 16, 1
	v_add3_u32 v3, v3, v5, 0x7fff
	s_delay_alu instid0(VALU_DEP_1)
	v_lshrrev_b32_e32 v3, 16, v3
	s_branch .LBB142_1623
.LBB142_1621:
	s_mov_b32 s13, -1
                                        ; implicit-def: $vgpr3
	s_branch .LBB142_1626
.LBB142_1622:
	s_mov_b32 s13, -1
                                        ; implicit-def: $vgpr3
.LBB142_1623:
	s_delay_alu instid0(SALU_CYCLE_1)
	s_and_not1_b32 vcc_lo, exec_lo, s13
	s_cbranch_vccnz .LBB142_1625
; %bb.1624:
	global_load_u16 v3, v[0:1], off
	s_waitcnt vmcnt(0)
	v_cvt_f32_u32_e32 v3, v3
	s_delay_alu instid0(VALU_DEP_1) | instskip(NEXT) | instid1(VALU_DEP_1)
	v_bfe_u32 v5, v3, 16, 1
	v_add3_u32 v3, v3, v5, 0x7fff
	s_delay_alu instid0(VALU_DEP_1)
	v_lshrrev_b32_e32 v3, 16, v3
.LBB142_1625:
	s_mov_b32 s13, 0
.LBB142_1626:
	s_delay_alu instid0(SALU_CYCLE_1)
	s_and_not1_b32 vcc_lo, exec_lo, s13
	s_cbranch_vccnz .LBB142_1634
; %bb.1627:
	global_load_u8 v3, v[0:1], off
	s_mov_b32 s13, 0
	s_mov_b32 s18, exec_lo
                                        ; implicit-def: $sgpr17
	s_waitcnt vmcnt(0)
	v_cmpx_lt_i16_e32 0x7f, v3
	s_xor_b32 s18, exec_lo, s18
	s_cbranch_execz .LBB142_1647
; %bb.1628:
	s_mov_b32 s13, -1
	s_mov_b32 s19, exec_lo
                                        ; implicit-def: $sgpr17
	v_cmpx_eq_u16_e32 0x80, v3
; %bb.1629:
	s_mov_b32 s17, 0x7f800001
	s_xor_b32 s13, exec_lo, -1
; %bb.1630:
	s_or_b32 exec_lo, exec_lo, s19
	s_delay_alu instid0(SALU_CYCLE_1)
	s_and_b32 s13, s13, exec_lo
	s_or_saveexec_b32 s18, s18
	v_mov_b32_e32 v5, s17
	s_xor_b32 exec_lo, exec_lo, s18
	s_cbranch_execnz .LBB142_1648
.LBB142_1631:
	s_or_b32 exec_lo, exec_lo, s18
	s_and_saveexec_b32 s17, s13
	s_cbranch_execz .LBB142_1633
.LBB142_1632:
	v_and_b32_e32 v5, 0xffff, v3
	v_lshlrev_b32_e32 v3, 24, v3
	s_delay_alu instid0(VALU_DEP_2) | instskip(NEXT) | instid1(VALU_DEP_2)
	v_and_b32_e32 v7, 7, v5
	v_and_b32_e32 v3, 0x80000000, v3
	s_delay_alu instid0(VALU_DEP_2) | instskip(NEXT) | instid1(VALU_DEP_1)
	v_clz_i32_u32_e32 v8, v7
	v_min_u32_e32 v8, 32, v8
	s_delay_alu instid0(VALU_DEP_1) | instskip(SKIP_1) | instid1(VALU_DEP_2)
	v_subrev_nc_u32_e32 v9, 28, v8
	v_sub_nc_u32_e32 v8, 29, v8
	v_lshlrev_b32_e32 v9, v9, v5
	v_bfe_u32 v5, v5, 3, 4
	s_delay_alu instid0(VALU_DEP_2) | instskip(NEXT) | instid1(VALU_DEP_2)
	v_and_b32_e32 v9, 7, v9
	v_cmp_eq_u32_e32 vcc_lo, 0, v5
	v_cndmask_b32_e32 v5, v5, v8, vcc_lo
	s_delay_alu instid0(VALU_DEP_3) | instskip(NEXT) | instid1(VALU_DEP_2)
	v_cndmask_b32_e32 v7, v7, v9, vcc_lo
	v_lshl_add_u32 v5, v5, 23, 0x3b800000
	s_delay_alu instid0(VALU_DEP_2) | instskip(NEXT) | instid1(VALU_DEP_1)
	v_lshlrev_b32_e32 v7, 20, v7
	v_or3_b32 v5, v3, v5, v7
.LBB142_1633:
	s_or_b32 exec_lo, exec_lo, s17
	s_delay_alu instid0(VALU_DEP_1) | instskip(SKIP_1) | instid1(VALU_DEP_2)
	v_bfe_u32 v3, v5, 16, 1
	v_cmp_o_f32_e32 vcc_lo, v5, v5
	v_add3_u32 v3, v5, v3, 0x7fff
	s_delay_alu instid0(VALU_DEP_1) | instskip(NEXT) | instid1(VALU_DEP_1)
	v_lshrrev_b32_e32 v3, 16, v3
	v_cndmask_b32_e32 v3, 0x7fc0, v3, vcc_lo
.LBB142_1634:
	s_mov_b32 s17, -1
.LBB142_1635:
	s_branch .LBB142_1667
.LBB142_1636:
	v_cmp_lt_i16_e32 vcc_lo, 22, v4
	s_cbranch_vccz .LBB142_1646
; %bb.1637:
	v_cmp_gt_i16_e32 vcc_lo, 24, v4
	s_cbranch_vccnz .LBB142_1649
; %bb.1638:
	v_cmp_lt_i16_e32 vcc_lo, 24, v4
	s_cbranch_vccz .LBB142_1650
; %bb.1639:
	global_load_u8 v3, v[0:1], off
	s_mov_b32 s13, 0
	s_mov_b32 s17, exec_lo
                                        ; implicit-def: $sgpr14
	s_waitcnt vmcnt(0)
	v_cmpx_lt_i16_e32 0x7f, v3
	s_xor_b32 s17, exec_lo, s17
	s_cbranch_execz .LBB142_1661
; %bb.1640:
	s_mov_b32 s13, -1
	s_mov_b32 s18, exec_lo
                                        ; implicit-def: $sgpr14
	v_cmpx_eq_u16_e32 0x80, v3
; %bb.1641:
	s_mov_b32 s14, 0x7f800001
	s_xor_b32 s13, exec_lo, -1
; %bb.1642:
	s_or_b32 exec_lo, exec_lo, s18
	s_delay_alu instid0(SALU_CYCLE_1)
	s_and_b32 s13, s13, exec_lo
	s_or_saveexec_b32 s17, s17
	v_mov_b32_e32 v5, s14
	s_xor_b32 exec_lo, exec_lo, s17
	s_cbranch_execnz .LBB142_1662
.LBB142_1643:
	s_or_b32 exec_lo, exec_lo, s17
	s_and_saveexec_b32 s14, s13
	s_cbranch_execz .LBB142_1645
.LBB142_1644:
	v_and_b32_e32 v5, 0xffff, v3
	v_lshlrev_b32_e32 v3, 24, v3
	s_delay_alu instid0(VALU_DEP_2) | instskip(NEXT) | instid1(VALU_DEP_2)
	v_and_b32_e32 v7, 3, v5
	v_and_b32_e32 v3, 0x80000000, v3
	s_delay_alu instid0(VALU_DEP_2) | instskip(NEXT) | instid1(VALU_DEP_1)
	v_clz_i32_u32_e32 v8, v7
	v_min_u32_e32 v8, 32, v8
	s_delay_alu instid0(VALU_DEP_1) | instskip(SKIP_1) | instid1(VALU_DEP_2)
	v_subrev_nc_u32_e32 v9, 29, v8
	v_sub_nc_u32_e32 v8, 30, v8
	v_lshlrev_b32_e32 v9, v9, v5
	v_bfe_u32 v5, v5, 2, 5
	s_delay_alu instid0(VALU_DEP_2) | instskip(NEXT) | instid1(VALU_DEP_2)
	v_and_b32_e32 v9, 3, v9
	v_cmp_eq_u32_e32 vcc_lo, 0, v5
	v_cndmask_b32_e32 v5, v5, v8, vcc_lo
	s_delay_alu instid0(VALU_DEP_3) | instskip(NEXT) | instid1(VALU_DEP_2)
	v_cndmask_b32_e32 v7, v7, v9, vcc_lo
	v_lshl_add_u32 v5, v5, 23, 0x37800000
	s_delay_alu instid0(VALU_DEP_2) | instskip(NEXT) | instid1(VALU_DEP_1)
	v_lshlrev_b32_e32 v7, 21, v7
	v_or3_b32 v5, v3, v5, v7
.LBB142_1645:
	s_or_b32 exec_lo, exec_lo, s14
	s_delay_alu instid0(VALU_DEP_1) | instskip(SKIP_2) | instid1(VALU_DEP_2)
	v_bfe_u32 v3, v5, 16, 1
	v_cmp_o_f32_e32 vcc_lo, v5, v5
	s_mov_b32 s13, 0
	v_add3_u32 v3, v5, v3, 0x7fff
	s_delay_alu instid0(VALU_DEP_1) | instskip(NEXT) | instid1(VALU_DEP_1)
	v_lshrrev_b32_e32 v3, 16, v3
	v_cndmask_b32_e32 v3, 0x7fc0, v3, vcc_lo
	s_branch .LBB142_1651
.LBB142_1646:
                                        ; implicit-def: $vgpr3
	s_mov_b32 s14, 0
	s_branch .LBB142_1657
.LBB142_1647:
	s_or_saveexec_b32 s18, s18
	v_mov_b32_e32 v5, s17
	s_xor_b32 exec_lo, exec_lo, s18
	s_cbranch_execz .LBB142_1631
.LBB142_1648:
	v_cmp_ne_u16_e32 vcc_lo, 0, v3
	v_mov_b32_e32 v5, 0
	s_and_not1_b32 s13, s13, exec_lo
	s_and_b32 s17, vcc_lo, exec_lo
	s_delay_alu instid0(SALU_CYCLE_1)
	s_or_b32 s13, s13, s17
	s_or_b32 exec_lo, exec_lo, s18
	s_and_saveexec_b32 s17, s13
	s_cbranch_execnz .LBB142_1632
	s_branch .LBB142_1633
.LBB142_1649:
	s_mov_b32 s13, -1
                                        ; implicit-def: $vgpr3
	s_branch .LBB142_1654
.LBB142_1650:
	s_mov_b32 s13, -1
                                        ; implicit-def: $vgpr3
.LBB142_1651:
	s_delay_alu instid0(SALU_CYCLE_1)
	s_and_b32 vcc_lo, exec_lo, s13
	s_cbranch_vccz .LBB142_1653
; %bb.1652:
	global_load_u8 v3, v[0:1], off
	s_waitcnt vmcnt(0)
	v_lshlrev_b32_e32 v3, 24, v3
	s_delay_alu instid0(VALU_DEP_1) | instskip(NEXT) | instid1(VALU_DEP_1)
	v_and_b32_e32 v5, 0x7f000000, v3
	v_clz_i32_u32_e32 v7, v5
	v_cmp_ne_u32_e32 vcc_lo, 0, v5
	v_add_nc_u32_e32 v9, 0x1000000, v5
	s_delay_alu instid0(VALU_DEP_3) | instskip(NEXT) | instid1(VALU_DEP_1)
	v_min_u32_e32 v7, 32, v7
	v_sub_nc_u32_e64 v7, v7, 4 clamp
	s_delay_alu instid0(VALU_DEP_1) | instskip(SKIP_1) | instid1(VALU_DEP_2)
	v_lshlrev_b32_e32 v8, v7, v5
	v_lshlrev_b32_e32 v7, 23, v7
	v_lshrrev_b32_e32 v8, 4, v8
	s_delay_alu instid0(VALU_DEP_1) | instskip(SKIP_1) | instid1(VALU_DEP_2)
	v_sub_nc_u32_e32 v7, v8, v7
	v_ashrrev_i32_e32 v8, 8, v9
	v_add_nc_u32_e32 v7, 0x3c000000, v7
	s_delay_alu instid0(VALU_DEP_1) | instskip(NEXT) | instid1(VALU_DEP_1)
	v_and_or_b32 v7, 0x7f800000, v8, v7
	v_cndmask_b32_e32 v5, 0, v7, vcc_lo
	s_delay_alu instid0(VALU_DEP_1) | instskip(SKIP_1) | instid1(VALU_DEP_2)
	v_and_or_b32 v3, 0x80000000, v3, v5
	v_bfe_u32 v5, v5, 16, 1
	v_cmp_o_f32_e32 vcc_lo, v3, v3
	s_delay_alu instid0(VALU_DEP_2) | instskip(NEXT) | instid1(VALU_DEP_1)
	v_add3_u32 v5, v3, v5, 0x7fff
	v_lshrrev_b32_e32 v5, 16, v5
	s_delay_alu instid0(VALU_DEP_1)
	v_cndmask_b32_e32 v3, 0x7fc0, v5, vcc_lo
.LBB142_1653:
	s_mov_b32 s13, 0
.LBB142_1654:
	s_delay_alu instid0(SALU_CYCLE_1)
	s_and_not1_b32 vcc_lo, exec_lo, s13
	s_cbranch_vccnz .LBB142_1656
; %bb.1655:
	global_load_u8 v3, v[0:1], off
	s_waitcnt vmcnt(0)
	v_lshlrev_b32_e32 v5, 25, v3
	v_lshlrev_b16 v3, 8, v3
	s_delay_alu instid0(VALU_DEP_1) | instskip(SKIP_1) | instid1(VALU_DEP_2)
	v_and_or_b32 v8, 0x7f00, v3, 0.5
	v_bfe_i32 v3, v3, 0, 16
	v_add_f32_e32 v8, -0.5, v8
	v_lshrrev_b32_e32 v7, 4, v5
	v_cmp_gt_u32_e32 vcc_lo, 0x8000000, v5
	s_delay_alu instid0(VALU_DEP_2) | instskip(NEXT) | instid1(VALU_DEP_1)
	v_or_b32_e32 v7, 0x70000000, v7
	v_mul_f32_e32 v7, 0x7800000, v7
	s_delay_alu instid0(VALU_DEP_1) | instskip(NEXT) | instid1(VALU_DEP_1)
	v_cndmask_b32_e32 v5, v7, v8, vcc_lo
	v_and_or_b32 v3, 0x80000000, v3, v5
	v_bfe_u32 v5, v5, 16, 1
	s_delay_alu instid0(VALU_DEP_2) | instskip(NEXT) | instid1(VALU_DEP_2)
	v_cmp_o_f32_e32 vcc_lo, v3, v3
	v_add3_u32 v5, v3, v5, 0x7fff
	s_delay_alu instid0(VALU_DEP_1) | instskip(NEXT) | instid1(VALU_DEP_1)
	v_lshrrev_b32_e32 v5, 16, v5
	v_cndmask_b32_e32 v3, 0x7fc0, v5, vcc_lo
.LBB142_1656:
	s_mov_b32 s17, -1
	s_mov_b32 s14, 0
	s_cbranch_execnz .LBB142_1667
.LBB142_1657:
	v_cmp_lt_i16_e32 vcc_lo, 14, v4
	s_cbranch_vccz .LBB142_1660
; %bb.1658:
	v_cmp_eq_u16_e32 vcc_lo, 15, v4
	s_cbranch_vccz .LBB142_1663
; %bb.1659:
	global_load_u16 v3, v[0:1], off
	s_mov_b32 s0, 0
	s_mov_b32 s17, -1
	s_branch .LBB142_1664
.LBB142_1660:
	s_mov_b32 s13, -1
                                        ; implicit-def: $vgpr3
	s_branch .LBB142_1665
.LBB142_1661:
	s_or_saveexec_b32 s17, s17
	v_mov_b32_e32 v5, s14
	s_xor_b32 exec_lo, exec_lo, s17
	s_cbranch_execz .LBB142_1643
.LBB142_1662:
	v_cmp_ne_u16_e32 vcc_lo, 0, v3
	v_mov_b32_e32 v5, 0
	s_and_not1_b32 s13, s13, exec_lo
	s_and_b32 s14, vcc_lo, exec_lo
	s_delay_alu instid0(SALU_CYCLE_1)
	s_or_b32 s13, s13, s14
	s_or_b32 exec_lo, exec_lo, s17
	s_and_saveexec_b32 s14, s13
	s_cbranch_execnz .LBB142_1644
	s_branch .LBB142_1645
.LBB142_1663:
	s_mov_b32 s0, -1
                                        ; implicit-def: $vgpr3
.LBB142_1664:
	s_mov_b32 s13, 0
.LBB142_1665:
	s_delay_alu instid0(SALU_CYCLE_1)
	s_and_b32 vcc_lo, exec_lo, s13
	s_cbranch_vccz .LBB142_1667
; %bb.1666:
	v_cmp_ne_u16_e64 s0, 11, v4
	s_mov_b32 s14, -1
                                        ; implicit-def: $vgpr3
.LBB142_1667:
	s_delay_alu instid0(VALU_DEP_1)
	s_and_b32 vcc_lo, exec_lo, s0
	s_mov_b32 s13, s16
	s_cbranch_vccnz .LBB142_1691
; %bb.1668:
	s_and_not1_b32 vcc_lo, exec_lo, s14
	s_cbranch_vccnz .LBB142_1670
.LBB142_1669:
	global_load_u8 v3, v[0:1], off
	s_mov_b32 s17, -1
	s_waitcnt vmcnt(0)
	v_cmp_ne_u16_e32 vcc_lo, 0, v3
	v_cndmask_b32_e64 v3, 0, 1.0, vcc_lo
	s_delay_alu instid0(VALU_DEP_1)
	v_lshrrev_b32_e32 v3, 16, v3
.LBB142_1670:
.LBB142_1671:
	s_and_not1_b32 vcc_lo, exec_lo, s17
	s_cbranch_vccnz .LBB142_3037
.LBB142_1672:
	v_mul_lo_u32 v7, s10, v2
	v_and_b32_e64 v5, 0xff, s1
	s_delay_alu instid0(VALU_DEP_1) | instskip(NEXT) | instid1(VALU_DEP_3)
	v_cmp_gt_i16_e32 vcc_lo, 11, v5
	v_ashrrev_i32_e32 v1, 31, v7
	v_add_co_u32 v0, s0, s2, v7
	s_delay_alu instid0(VALU_DEP_1)
	v_add_co_ci_u32_e64 v1, s0, s3, v1, s0
	s_cbranch_vccnz .LBB142_1679
; %bb.1673:
	v_cmp_lt_i16_e32 vcc_lo, 25, v5
	s_mov_b32 s0, 0
	s_cbranch_vccz .LBB142_1685
; %bb.1674:
	v_cmp_lt_i16_e32 vcc_lo, 28, v5
	s_cbranch_vccz .LBB142_1687
; %bb.1675:
	v_cmp_lt_i16_e32 vcc_lo, 43, v5
	;; [unrolled: 3-line block ×3, first 2 shown]
	s_cbranch_vccz .LBB142_1693
; %bb.1677:
	v_cmp_eq_u16_e32 vcc_lo, 46, v5
	s_mov_b32 s18, 0
	s_cbranch_vccz .LBB142_1737
; %bb.1678:
	global_load_b32 v8, v[0:1], off
	s_mov_b32 s14, 0
	s_mov_b32 s17, -1
	s_waitcnt vmcnt(0)
	v_and_b32_e32 v8, 0x7fff7fff, v8
	s_delay_alu instid0(VALU_DEP_1)
	v_cmp_ne_u32_e32 vcc_lo, 0, v8
	s_and_b32 s1, vcc_lo, exec_lo
	s_branch .LBB142_1739
.LBB142_1679:
	s_mov_b32 s17, 0
                                        ; implicit-def: $sgpr1
	s_cbranch_execz .LBB142_1802
; %bb.1680:
	v_cmp_gt_i16_e32 vcc_lo, 5, v5
	s_cbranch_vccnz .LBB142_1686
; %bb.1681:
	v_cmp_gt_i16_e32 vcc_lo, 8, v5
	s_cbranch_vccnz .LBB142_1688
	;; [unrolled: 3-line block ×3, first 2 shown]
; %bb.1683:
	v_cmp_lt_i16_e32 vcc_lo, 9, v5
	s_cbranch_vccz .LBB142_1696
; %bb.1684:
	global_load_b128 v[8:11], v[0:1], off
	s_waitcnt vmcnt(0)
	v_cmp_neq_f64_e32 vcc_lo, 0, v[8:9]
	v_cmp_neq_f64_e64 s0, 0, v[10:11]
	s_delay_alu instid0(VALU_DEP_1)
	s_or_b32 s1, vcc_lo, s0
	s_mov_b32 s0, 0
	s_and_b32 s1, s1, exec_lo
	s_branch .LBB142_1697
.LBB142_1685:
	s_mov_b32 s17, 0
	s_mov_b32 s14, 0
                                        ; implicit-def: $sgpr1
	s_cbranch_execnz .LBB142_1766
	s_branch .LBB142_1798
.LBB142_1686:
                                        ; implicit-def: $sgpr1
	s_branch .LBB142_1715
.LBB142_1687:
	s_mov_b32 s18, -1
	s_mov_b32 s17, 0
	s_mov_b32 s14, 0
                                        ; implicit-def: $sgpr1
	s_branch .LBB142_1747
.LBB142_1688:
	s_mov_b32 s0, -1
                                        ; implicit-def: $sgpr1
	s_branch .LBB142_1703
.LBB142_1689:
	s_mov_b32 s18, -1
	s_mov_b32 s17, 0
	s_mov_b32 s14, 0
                                        ; implicit-def: $sgpr1
	s_branch .LBB142_1742
.LBB142_1690:
	s_mov_b32 s0, -1
                                        ; implicit-def: $sgpr1
	s_branch .LBB142_1700
.LBB142_1691:
	s_cbranch_execnz .LBB142_1735
; %bb.1692:
	s_or_b32 s13, s16, exec_lo
                                        ; implicit-def: $vgpr3
	s_cbranch_execz .LBB142_1669
	s_branch .LBB142_1670
.LBB142_1693:
	s_mov_b32 s18, -1
	s_mov_b32 s17, 0
	s_mov_b32 s14, 0
	s_branch .LBB142_1738
.LBB142_1694:
	s_or_saveexec_b32 s21, s21
                                        ; implicit-def: $sgpr22
	s_delay_alu instid0(SALU_CYCLE_1)
	s_xor_b32 exec_lo, exec_lo, s21
	s_cbranch_execz .LBB142_1455
.LBB142_1695:
	v_add_f32_e64 v3, 0x46000000, |v6|
	s_and_not1_b32 s20, s20, exec_lo
	s_mov_b32 s22, 0
	s_delay_alu instid0(VALU_DEP_1) | instskip(NEXT) | instid1(VALU_DEP_1)
	v_and_b32_e32 v3, 0xff, v3
	v_cmp_ne_u32_e32 vcc_lo, 0, v3
	s_and_b32 s23, vcc_lo, exec_lo
	s_delay_alu instid0(SALU_CYCLE_1)
	s_or_b32 s20, s20, s23
	s_or_b32 exec_lo, exec_lo, s21
	v_mov_b32_e32 v7, s22
	s_and_saveexec_b32 s21, s20
	s_cbranch_execnz .LBB142_1456
	s_branch .LBB142_1457
.LBB142_1696:
	s_mov_b32 s0, -1
                                        ; implicit-def: $sgpr1
.LBB142_1697:
	s_delay_alu instid0(SALU_CYCLE_1)
	s_and_not1_b32 vcc_lo, exec_lo, s0
	s_cbranch_vccnz .LBB142_1699
; %bb.1698:
	global_load_b64 v[8:9], v[0:1], off
	s_and_not1_b32 s0, s1, exec_lo
	s_waitcnt vmcnt(0)
	v_or_b32_e32 v8, v8, v9
	s_delay_alu instid0(VALU_DEP_1) | instskip(NEXT) | instid1(VALU_DEP_1)
	v_and_b32_e32 v8, 0x7fffffff, v8
	v_cmp_ne_u32_e32 vcc_lo, 0, v8
	s_and_b32 s1, vcc_lo, exec_lo
	s_delay_alu instid0(SALU_CYCLE_1)
	s_or_b32 s1, s0, s1
.LBB142_1699:
	s_mov_b32 s0, 0
.LBB142_1700:
	s_delay_alu instid0(SALU_CYCLE_1)
	s_and_not1_b32 vcc_lo, exec_lo, s0
	s_cbranch_vccnz .LBB142_1702
; %bb.1701:
	global_load_b32 v8, v[0:1], off
	s_and_not1_b32 s0, s1, exec_lo
	s_waitcnt vmcnt(0)
	v_and_b32_e32 v8, 0x7fff7fff, v8
	s_delay_alu instid0(VALU_DEP_1) | instskip(SKIP_1) | instid1(SALU_CYCLE_1)
	v_cmp_ne_u32_e32 vcc_lo, 0, v8
	s_and_b32 s1, vcc_lo, exec_lo
	s_or_b32 s1, s0, s1
.LBB142_1702:
	s_mov_b32 s0, 0
.LBB142_1703:
	s_delay_alu instid0(SALU_CYCLE_1)
	s_and_not1_b32 vcc_lo, exec_lo, s0
	s_cbranch_vccnz .LBB142_1714
; %bb.1704:
	v_cmp_gt_i16_e32 vcc_lo, 6, v5
	s_cbranch_vccnz .LBB142_1707
; %bb.1705:
	v_cmp_lt_i16_e32 vcc_lo, 6, v5
	s_cbranch_vccz .LBB142_1708
; %bb.1706:
	global_load_b64 v[8:9], v[0:1], off
	s_mov_b32 s0, 0
	s_waitcnt vmcnt(0)
	v_cmp_neq_f64_e32 vcc_lo, 0, v[8:9]
	s_and_b32 s1, vcc_lo, exec_lo
	s_branch .LBB142_1709
.LBB142_1707:
	s_mov_b32 s0, -1
                                        ; implicit-def: $sgpr1
	s_branch .LBB142_1712
.LBB142_1708:
	s_mov_b32 s0, -1
                                        ; implicit-def: $sgpr1
.LBB142_1709:
	s_delay_alu instid0(SALU_CYCLE_1)
	s_and_not1_b32 vcc_lo, exec_lo, s0
	s_cbranch_vccnz .LBB142_1711
; %bb.1710:
	global_load_b32 v8, v[0:1], off
	s_and_not1_b32 s0, s1, exec_lo
	s_waitcnt vmcnt(0)
	v_cmp_neq_f32_e32 vcc_lo, 0, v8
	s_and_b32 s1, vcc_lo, exec_lo
	s_delay_alu instid0(SALU_CYCLE_1)
	s_or_b32 s1, s0, s1
.LBB142_1711:
	s_mov_b32 s0, 0
.LBB142_1712:
	s_delay_alu instid0(SALU_CYCLE_1)
	s_and_not1_b32 vcc_lo, exec_lo, s0
	s_cbranch_vccnz .LBB142_1714
; %bb.1713:
	global_load_u16 v8, v[0:1], off
	s_and_not1_b32 s0, s1, exec_lo
	s_waitcnt vmcnt(0)
	v_and_b32_e32 v8, 0x7fff, v8
	s_delay_alu instid0(VALU_DEP_1) | instskip(SKIP_1) | instid1(SALU_CYCLE_1)
	v_cmp_ne_u16_e32 vcc_lo, 0, v8
	s_and_b32 s1, vcc_lo, exec_lo
	s_or_b32 s1, s0, s1
.LBB142_1714:
	s_cbranch_execnz .LBB142_1734
.LBB142_1715:
	v_cmp_gt_i16_e32 vcc_lo, 2, v5
	s_cbranch_vccnz .LBB142_1719
; %bb.1716:
	v_cmp_gt_i16_e32 vcc_lo, 3, v5
	s_cbranch_vccnz .LBB142_1720
; %bb.1717:
	v_cmp_lt_i16_e32 vcc_lo, 3, v5
	s_cbranch_vccz .LBB142_1721
; %bb.1718:
	global_load_b64 v[8:9], v[0:1], off
	s_mov_b32 s0, 0
	s_waitcnt vmcnt(0)
	v_cmp_ne_u64_e32 vcc_lo, 0, v[8:9]
	s_and_b32 s1, vcc_lo, exec_lo
	s_branch .LBB142_1722
.LBB142_1719:
	s_mov_b32 s0, -1
                                        ; implicit-def: $sgpr1
	s_branch .LBB142_1728
.LBB142_1720:
	s_mov_b32 s0, -1
                                        ; implicit-def: $sgpr1
	s_branch .LBB142_1725
.LBB142_1721:
	s_mov_b32 s0, -1
                                        ; implicit-def: $sgpr1
.LBB142_1722:
	s_delay_alu instid0(SALU_CYCLE_1)
	s_and_not1_b32 vcc_lo, exec_lo, s0
	s_cbranch_vccnz .LBB142_1724
; %bb.1723:
	global_load_b32 v8, v[0:1], off
	s_and_not1_b32 s0, s1, exec_lo
	s_waitcnt vmcnt(0)
	v_cmp_ne_u32_e32 vcc_lo, 0, v8
	s_and_b32 s1, vcc_lo, exec_lo
	s_delay_alu instid0(SALU_CYCLE_1)
	s_or_b32 s1, s0, s1
.LBB142_1724:
	s_mov_b32 s0, 0
.LBB142_1725:
	s_delay_alu instid0(SALU_CYCLE_1)
	s_and_not1_b32 vcc_lo, exec_lo, s0
	s_cbranch_vccnz .LBB142_1727
; %bb.1726:
	global_load_u16 v8, v[0:1], off
	s_and_not1_b32 s0, s1, exec_lo
	s_waitcnt vmcnt(0)
	v_cmp_ne_u16_e32 vcc_lo, 0, v8
	s_and_b32 s1, vcc_lo, exec_lo
	s_delay_alu instid0(SALU_CYCLE_1)
	s_or_b32 s1, s0, s1
.LBB142_1727:
	s_mov_b32 s0, 0
.LBB142_1728:
	s_delay_alu instid0(SALU_CYCLE_1)
	s_and_not1_b32 vcc_lo, exec_lo, s0
	s_cbranch_vccnz .LBB142_1734
; %bb.1729:
	v_cmp_lt_i16_e32 vcc_lo, 0, v5
	s_mov_b32 s0, 0
	s_cbranch_vccz .LBB142_1731
; %bb.1730:
	global_load_u8 v8, v[0:1], off
	s_waitcnt vmcnt(0)
	v_cmp_ne_u16_e32 vcc_lo, 0, v8
	s_and_b32 s1, vcc_lo, exec_lo
	s_branch .LBB142_1732
.LBB142_1731:
	s_mov_b32 s0, -1
                                        ; implicit-def: $sgpr1
.LBB142_1732:
	s_delay_alu instid0(SALU_CYCLE_1)
	s_and_not1_b32 vcc_lo, exec_lo, s0
	s_cbranch_vccnz .LBB142_1734
; %bb.1733:
	global_load_u8 v0, v[0:1], off
	s_and_not1_b32 s0, s1, exec_lo
	s_waitcnt vmcnt(0)
	v_cmp_ne_u16_e32 vcc_lo, 0, v0
	s_and_b32 s1, vcc_lo, exec_lo
	s_delay_alu instid0(SALU_CYCLE_1)
	s_or_b32 s1, s0, s1
.LBB142_1734:
	s_branch .LBB142_1803
.LBB142_1735:
	s_trap 2
	s_sendmsg_rtn_b32 s0, sendmsg(MSG_RTN_GET_DOORBELL)
	s_mov_b32 ttmp2, m0
	s_waitcnt lgkmcnt(0)
	s_and_b32 s0, s0, 0x3ff
	s_delay_alu instid0(SALU_CYCLE_1) | instskip(NEXT) | instid1(SALU_CYCLE_1)
	s_bitset1_b32 s0, 10
	s_mov_b32 m0, s0
	s_sendmsg sendmsg(MSG_INTERRUPT)
	s_mov_b32 m0, ttmp2
.LBB142_1736:                           ; =>This Inner Loop Header: Depth=1
	s_sethalt 5
	s_branch .LBB142_1736
.LBB142_1737:
	s_mov_b32 s14, -1
	s_mov_b32 s17, 0
.LBB142_1738:
                                        ; implicit-def: $sgpr1
.LBB142_1739:
	s_and_b32 vcc_lo, exec_lo, s18
	s_cbranch_vccz .LBB142_1741
; %bb.1740:
	v_cmp_ne_u16_e64 s14, 44, v5
	s_mov_b32 s17, -1
	s_or_b32 s1, s1, exec_lo
.LBB142_1741:
	s_mov_b32 s18, 0
.LBB142_1742:
	s_delay_alu instid0(SALU_CYCLE_1)
	s_and_b32 vcc_lo, exec_lo, s18
	s_cbranch_vccz .LBB142_1746
; %bb.1743:
	v_cmp_eq_u16_e32 vcc_lo, 29, v5
	s_cbranch_vccz .LBB142_1745
; %bb.1744:
	global_load_b64 v[8:9], v[0:1], off
	s_mov_b32 s14, 0
	s_mov_b32 s17, -1
	s_mov_b32 s18, 0
	s_waitcnt vmcnt(0)
	v_cmp_ne_u64_e32 vcc_lo, 0, v[8:9]
	s_and_b32 s1, vcc_lo, exec_lo
	s_branch .LBB142_1747
.LBB142_1745:
	s_mov_b32 s14, -1
                                        ; implicit-def: $sgpr1
.LBB142_1746:
	s_mov_b32 s18, 0
.LBB142_1747:
	s_delay_alu instid0(SALU_CYCLE_1)
	s_and_b32 vcc_lo, exec_lo, s18
	s_cbranch_vccz .LBB142_1765
; %bb.1748:
	v_cmp_gt_i16_e32 vcc_lo, 27, v5
	s_cbranch_vccnz .LBB142_1751
; %bb.1749:
	v_cmp_lt_i16_e32 vcc_lo, 27, v5
	s_cbranch_vccz .LBB142_1752
; %bb.1750:
	global_load_b32 v8, v[0:1], off
	s_mov_b32 s17, 0
	s_waitcnt vmcnt(0)
	v_cmp_ne_u32_e32 vcc_lo, 0, v8
	s_and_b32 s1, vcc_lo, exec_lo
	s_branch .LBB142_1753
.LBB142_1751:
	s_mov_b32 s17, -1
                                        ; implicit-def: $sgpr1
	s_branch .LBB142_1756
.LBB142_1752:
	s_mov_b32 s17, -1
                                        ; implicit-def: $sgpr1
.LBB142_1753:
	s_delay_alu instid0(SALU_CYCLE_1)
	s_and_not1_b32 vcc_lo, exec_lo, s17
	s_cbranch_vccnz .LBB142_1755
; %bb.1754:
	global_load_u16 v8, v[0:1], off
	s_and_not1_b32 s1, s1, exec_lo
	s_waitcnt vmcnt(0)
	v_cmp_ne_u16_e32 vcc_lo, 0, v8
	s_and_b32 s17, vcc_lo, exec_lo
	s_delay_alu instid0(SALU_CYCLE_1)
	s_or_b32 s1, s1, s17
.LBB142_1755:
	s_mov_b32 s17, 0
.LBB142_1756:
	s_delay_alu instid0(SALU_CYCLE_1)
	s_and_not1_b32 vcc_lo, exec_lo, s17
	s_cbranch_vccnz .LBB142_1764
; %bb.1757:
	global_load_u8 v8, v[0:1], off
	s_mov_b32 s17, 0
	s_mov_b32 s18, exec_lo
                                        ; implicit-def: $sgpr1
	s_waitcnt vmcnt(0)
	v_cmpx_lt_i16_e32 0x7f, v8
	s_xor_b32 s18, exec_lo, s18
	s_cbranch_execz .LBB142_1777
; %bb.1758:
	s_mov_b32 s17, -1
	s_mov_b32 s19, exec_lo
                                        ; implicit-def: $sgpr1
	v_cmpx_eq_u16_e32 0x80, v8
; %bb.1759:
	s_mov_b32 s1, -1
	s_xor_b32 s17, exec_lo, -1
; %bb.1760:
	s_or_b32 exec_lo, exec_lo, s19
	s_delay_alu instid0(SALU_CYCLE_1)
	s_and_b32 s17, s17, exec_lo
	s_and_not1_saveexec_b32 s18, s18
	s_cbranch_execnz .LBB142_1778
.LBB142_1761:
	s_or_b32 exec_lo, exec_lo, s18
	s_and_saveexec_b32 s18, s17
	s_cbranch_execz .LBB142_1763
.LBB142_1762:
	v_and_b32_e32 v8, 0xffff, v8
	s_and_not1_b32 s1, s1, exec_lo
	s_delay_alu instid0(VALU_DEP_1) | instskip(NEXT) | instid1(VALU_DEP_1)
	v_and_b32_e32 v9, 7, v8
	v_clz_i32_u32_e32 v10, v9
	s_delay_alu instid0(VALU_DEP_1) | instskip(NEXT) | instid1(VALU_DEP_1)
	v_min_u32_e32 v10, 32, v10
	v_subrev_nc_u32_e32 v11, 28, v10
	v_sub_nc_u32_e32 v10, 29, v10
	s_delay_alu instid0(VALU_DEP_2) | instskip(SKIP_1) | instid1(VALU_DEP_2)
	v_lshlrev_b32_e32 v11, v11, v8
	v_bfe_u32 v8, v8, 3, 4
	v_and_b32_e32 v11, 7, v11
	s_delay_alu instid0(VALU_DEP_2) | instskip(NEXT) | instid1(VALU_DEP_2)
	v_cmp_eq_u32_e32 vcc_lo, 0, v8
	v_dual_cndmask_b32 v8, v8, v10 :: v_dual_cndmask_b32 v9, v9, v11
	s_delay_alu instid0(VALU_DEP_1) | instskip(NEXT) | instid1(VALU_DEP_2)
	v_lshl_add_u32 v8, v8, 23, 0x3b800000
	v_lshlrev_b32_e32 v9, 20, v9
	s_delay_alu instid0(VALU_DEP_1) | instskip(NEXT) | instid1(VALU_DEP_1)
	v_and_or_b32 v8, 0x7f800000, v8, v9
	v_cmp_ne_u32_e32 vcc_lo, 0, v8
	s_and_b32 s17, vcc_lo, exec_lo
	s_delay_alu instid0(SALU_CYCLE_1)
	s_or_b32 s1, s1, s17
.LBB142_1763:
	s_or_b32 exec_lo, exec_lo, s18
.LBB142_1764:
	s_mov_b32 s17, -1
.LBB142_1765:
	s_branch .LBB142_1798
.LBB142_1766:
	v_cmp_lt_i16_e32 vcc_lo, 22, v5
	s_cbranch_vccz .LBB142_1776
; %bb.1767:
	v_cmp_gt_i16_e32 vcc_lo, 24, v5
	s_cbranch_vccnz .LBB142_1779
; %bb.1768:
	v_cmp_lt_i16_e32 vcc_lo, 24, v5
	s_cbranch_vccz .LBB142_1780
; %bb.1769:
	global_load_u8 v8, v[0:1], off
	s_mov_b32 s17, exec_lo
                                        ; implicit-def: $sgpr1
	s_waitcnt vmcnt(0)
	v_cmpx_lt_i16_e32 0x7f, v8
	s_xor_b32 s17, exec_lo, s17
	s_cbranch_execz .LBB142_1792
; %bb.1770:
	s_mov_b32 s0, -1
	s_mov_b32 s18, exec_lo
                                        ; implicit-def: $sgpr1
	v_cmpx_eq_u16_e32 0x80, v8
; %bb.1771:
	s_mov_b32 s1, -1
	s_xor_b32 s0, exec_lo, -1
; %bb.1772:
	s_or_b32 exec_lo, exec_lo, s18
	s_delay_alu instid0(SALU_CYCLE_1)
	s_and_b32 s0, s0, exec_lo
	s_and_not1_saveexec_b32 s17, s17
	s_cbranch_execnz .LBB142_1793
.LBB142_1773:
	s_or_b32 exec_lo, exec_lo, s17
	s_and_saveexec_b32 s17, s0
	s_cbranch_execz .LBB142_1775
.LBB142_1774:
	v_and_b32_e32 v8, 0xffff, v8
	s_and_not1_b32 s0, s1, exec_lo
	s_delay_alu instid0(VALU_DEP_1) | instskip(NEXT) | instid1(VALU_DEP_1)
	v_and_b32_e32 v9, 3, v8
	v_clz_i32_u32_e32 v10, v9
	s_delay_alu instid0(VALU_DEP_1) | instskip(NEXT) | instid1(VALU_DEP_1)
	v_min_u32_e32 v10, 32, v10
	v_subrev_nc_u32_e32 v11, 29, v10
	v_sub_nc_u32_e32 v10, 30, v10
	s_delay_alu instid0(VALU_DEP_2) | instskip(SKIP_1) | instid1(VALU_DEP_2)
	v_lshlrev_b32_e32 v11, v11, v8
	v_bfe_u32 v8, v8, 2, 5
	v_and_b32_e32 v11, 3, v11
	s_delay_alu instid0(VALU_DEP_2) | instskip(NEXT) | instid1(VALU_DEP_2)
	v_cmp_eq_u32_e32 vcc_lo, 0, v8
	v_dual_cndmask_b32 v8, v8, v10 :: v_dual_cndmask_b32 v9, v9, v11
	s_delay_alu instid0(VALU_DEP_1) | instskip(NEXT) | instid1(VALU_DEP_2)
	v_lshl_add_u32 v8, v8, 23, 0x37800000
	v_lshlrev_b32_e32 v9, 21, v9
	s_delay_alu instid0(VALU_DEP_1) | instskip(NEXT) | instid1(VALU_DEP_1)
	v_and_or_b32 v8, 0x7f800000, v8, v9
	v_cmp_ne_u32_e32 vcc_lo, 0, v8
	s_and_b32 s1, vcc_lo, exec_lo
	s_delay_alu instid0(SALU_CYCLE_1)
	s_or_b32 s1, s0, s1
.LBB142_1775:
	s_or_b32 exec_lo, exec_lo, s17
	s_mov_b32 s0, 0
	s_branch .LBB142_1781
.LBB142_1776:
	s_mov_b32 s0, -1
                                        ; implicit-def: $sgpr1
	s_branch .LBB142_1787
.LBB142_1777:
	s_and_not1_saveexec_b32 s18, s18
	s_cbranch_execz .LBB142_1761
.LBB142_1778:
	v_cmp_ne_u16_e32 vcc_lo, 0, v8
	s_and_not1_b32 s17, s17, exec_lo
	s_and_not1_b32 s1, s1, exec_lo
	s_and_b32 s19, vcc_lo, exec_lo
	s_delay_alu instid0(SALU_CYCLE_1)
	s_or_b32 s17, s17, s19
	s_or_b32 exec_lo, exec_lo, s18
	s_and_saveexec_b32 s18, s17
	s_cbranch_execnz .LBB142_1762
	s_branch .LBB142_1763
.LBB142_1779:
	s_mov_b32 s0, -1
                                        ; implicit-def: $sgpr1
	s_branch .LBB142_1784
.LBB142_1780:
	s_mov_b32 s0, -1
                                        ; implicit-def: $sgpr1
.LBB142_1781:
	s_delay_alu instid0(SALU_CYCLE_1)
	s_and_b32 vcc_lo, exec_lo, s0
	s_cbranch_vccz .LBB142_1783
; %bb.1782:
	global_load_u8 v8, v[0:1], off
	s_and_not1_b32 s1, s1, exec_lo
	s_waitcnt vmcnt(0)
	v_lshlrev_b32_e32 v8, 24, v8
	s_delay_alu instid0(VALU_DEP_1) | instskip(NEXT) | instid1(VALU_DEP_1)
	v_and_b32_e32 v8, 0x7f000000, v8
	v_clz_i32_u32_e32 v9, v8
	v_add_nc_u32_e32 v11, 0x1000000, v8
	v_cmp_ne_u32_e32 vcc_lo, 0, v8
	s_delay_alu instid0(VALU_DEP_3) | instskip(NEXT) | instid1(VALU_DEP_3)
	v_min_u32_e32 v9, 32, v9
	v_ashrrev_i32_e32 v11, 8, v11
	s_delay_alu instid0(VALU_DEP_2) | instskip(NEXT) | instid1(VALU_DEP_1)
	v_sub_nc_u32_e64 v9, v9, 4 clamp
	v_lshlrev_b32_e32 v10, v9, v8
	v_lshlrev_b32_e32 v9, 23, v9
	s_delay_alu instid0(VALU_DEP_2) | instskip(NEXT) | instid1(VALU_DEP_1)
	v_lshrrev_b32_e32 v10, 4, v10
	v_sub_nc_u32_e32 v9, v10, v9
	v_and_b32_e32 v10, 0x7f800000, v11
	s_delay_alu instid0(VALU_DEP_2) | instskip(NEXT) | instid1(VALU_DEP_1)
	v_add_nc_u32_e32 v9, 0x3c000000, v9
	v_and_or_b32 v9, 0x7ff00000, v9, v10
	s_delay_alu instid0(VALU_DEP_1) | instskip(NEXT) | instid1(VALU_DEP_1)
	v_cmp_ne_u32_e64 s0, 0, v9
	s_and_b32 s0, vcc_lo, s0
	s_delay_alu instid0(SALU_CYCLE_1) | instskip(NEXT) | instid1(SALU_CYCLE_1)
	s_and_b32 s0, s0, exec_lo
	s_or_b32 s1, s1, s0
.LBB142_1783:
	s_mov_b32 s0, 0
.LBB142_1784:
	s_delay_alu instid0(SALU_CYCLE_1)
	s_and_not1_b32 vcc_lo, exec_lo, s0
	s_cbranch_vccnz .LBB142_1786
; %bb.1785:
	global_load_u8 v8, v[0:1], off
	s_and_not1_b32 s0, s1, exec_lo
	s_waitcnt vmcnt(0)
	v_lshlrev_b32_e32 v9, 25, v8
	v_lshlrev_b32_e32 v8, 8, v8
	s_delay_alu instid0(VALU_DEP_2) | instskip(NEXT) | instid1(VALU_DEP_2)
	v_lshrrev_b32_e32 v10, 4, v9
	v_and_or_b32 v8, 0x7f00, v8, 0.5
	s_delay_alu instid0(VALU_DEP_2) | instskip(NEXT) | instid1(VALU_DEP_2)
	v_or_b32_e32 v10, 0x70000000, v10
	v_add_f32_e32 v8, -0.5, v8
	s_delay_alu instid0(VALU_DEP_2) | instskip(SKIP_1) | instid1(VALU_DEP_2)
	v_mul_f32_e32 v10, 0x7800000, v10
	v_cmp_gt_u32_e32 vcc_lo, 0x8000000, v9
	v_cndmask_b32_e32 v8, v10, v8, vcc_lo
	s_delay_alu instid0(VALU_DEP_1) | instskip(SKIP_1) | instid1(SALU_CYCLE_1)
	v_cmp_neq_f32_e32 vcc_lo, 0, v8
	s_and_b32 s1, vcc_lo, exec_lo
	s_or_b32 s1, s0, s1
.LBB142_1786:
	s_mov_b32 s0, 0
	s_mov_b32 s17, -1
.LBB142_1787:
	s_and_not1_b32 vcc_lo, exec_lo, s0
	s_mov_b32 s0, 0
	s_cbranch_vccnz .LBB142_1798
; %bb.1788:
	v_cmp_lt_i16_e32 vcc_lo, 14, v5
	s_cbranch_vccz .LBB142_1791
; %bb.1789:
	v_cmp_eq_u16_e32 vcc_lo, 15, v5
	s_cbranch_vccz .LBB142_1794
; %bb.1790:
	global_load_u16 v8, v[0:1], off
	s_mov_b32 s14, 0
	s_mov_b32 s17, -1
	s_waitcnt vmcnt(0)
	v_and_b32_e32 v8, 0x7fff, v8
	s_delay_alu instid0(VALU_DEP_1)
	v_cmp_ne_u16_e32 vcc_lo, 0, v8
	s_and_b32 s1, vcc_lo, exec_lo
	s_branch .LBB142_1796
.LBB142_1791:
	s_mov_b32 s0, -1
	s_branch .LBB142_1795
.LBB142_1792:
	s_and_not1_saveexec_b32 s17, s17
	s_cbranch_execz .LBB142_1773
.LBB142_1793:
	v_cmp_ne_u16_e32 vcc_lo, 0, v8
	s_and_not1_b32 s0, s0, exec_lo
	s_and_not1_b32 s1, s1, exec_lo
	s_and_b32 s18, vcc_lo, exec_lo
	s_delay_alu instid0(SALU_CYCLE_1)
	s_or_b32 s0, s0, s18
	s_or_b32 exec_lo, exec_lo, s17
	s_and_saveexec_b32 s17, s0
	s_cbranch_execnz .LBB142_1774
	s_branch .LBB142_1775
.LBB142_1794:
	s_mov_b32 s14, -1
.LBB142_1795:
                                        ; implicit-def: $sgpr1
.LBB142_1796:
	s_and_b32 vcc_lo, exec_lo, s0
	s_mov_b32 s0, 0
	s_cbranch_vccz .LBB142_1798
; %bb.1797:
	v_cmp_ne_u16_e64 s14, 11, v5
	s_mov_b32 s0, -1
	s_and_not1_b32 s1, s1, exec_lo
.LBB142_1798:
	s_delay_alu instid0(VALU_DEP_1)
	s_and_b32 vcc_lo, exec_lo, s14
	s_cbranch_vccnz .LBB142_1822
; %bb.1799:
	s_and_not1_b32 vcc_lo, exec_lo, s0
	s_cbranch_vccnz .LBB142_1801
.LBB142_1800:
	global_load_u8 v8, v[0:1], off
	s_and_not1_b32 s0, s1, exec_lo
	s_mov_b32 s17, -1
	s_waitcnt vmcnt(0)
	v_cmp_ne_u16_e32 vcc_lo, 0, v8
	s_and_b32 s1, vcc_lo, exec_lo
	s_delay_alu instid0(SALU_CYCLE_1)
	s_or_b32 s1, s0, s1
.LBB142_1801:
.LBB142_1802:
	s_and_not1_b32 vcc_lo, exec_lo, s17
	s_cbranch_vccnz .LBB142_3037
.LBB142_1803:
	s_lshl_b32 s14, s9, 7
	v_cmp_gt_i16_e32 vcc_lo, 11, v4
	v_add_nc_u32_e32 v8, s14, v6
	s_delay_alu instid0(VALU_DEP_1) | instskip(SKIP_1) | instid1(VALU_DEP_1)
	v_ashrrev_i32_e32 v1, 31, v8
	v_add_co_u32 v0, s0, s6, v8
	v_add_co_ci_u32_e64 v1, s0, s7, v1, s0
	s_cbranch_vccnz .LBB142_1810
; %bb.1804:
	v_cmp_lt_i16_e32 vcc_lo, 25, v4
	s_mov_b32 s9, 0
	s_cbranch_vccz .LBB142_1816
; %bb.1805:
	v_cmp_lt_i16_e32 vcc_lo, 28, v4
	s_cbranch_vccz .LBB142_1818
; %bb.1806:
	v_cmp_lt_i16_e32 vcc_lo, 43, v4
	s_cbranch_vccz .LBB142_1820
; %bb.1807:
	v_cmp_lt_i16_e32 vcc_lo, 45, v4
	s_cbranch_vccz .LBB142_1826
; %bb.1808:
	v_cmp_eq_u16_e32 vcc_lo, 46, v4
	s_mov_b32 s18, 0
	s_cbranch_vccz .LBB142_1869
; %bb.1809:
	global_load_b32 v6, v[0:1], off
	s_mov_b32 s0, 0
	s_mov_b32 s17, -1
	s_branch .LBB142_1871
.LBB142_1810:
	s_mov_b32 s17, 0
                                        ; implicit-def: $vgpr6
	s_cbranch_execz .LBB142_1937
; %bb.1811:
	v_cmp_gt_i16_e32 vcc_lo, 5, v4
	s_cbranch_vccnz .LBB142_1817
; %bb.1812:
	v_cmp_gt_i16_e32 vcc_lo, 8, v4
	s_cbranch_vccnz .LBB142_1819
	;; [unrolled: 3-line block ×3, first 2 shown]
; %bb.1814:
	v_cmp_lt_i16_e32 vcc_lo, 9, v4
	s_cbranch_vccz .LBB142_1827
; %bb.1815:
	global_load_b64 v[9:10], v[0:1], off
	s_mov_b32 s0, 0
	s_waitcnt vmcnt(0)
	v_cvt_f32_f64_e32 v6, v[9:10]
	s_delay_alu instid0(VALU_DEP_1) | instskip(SKIP_1) | instid1(VALU_DEP_2)
	v_bfe_u32 v9, v6, 16, 1
	v_cmp_o_f32_e32 vcc_lo, v6, v6
	v_add3_u32 v9, v6, v9, 0x7fff
	s_delay_alu instid0(VALU_DEP_1) | instskip(NEXT) | instid1(VALU_DEP_1)
	v_lshrrev_b32_e32 v9, 16, v9
	v_cndmask_b32_e32 v6, 0x7fc0, v9, vcc_lo
	s_branch .LBB142_1828
.LBB142_1816:
	s_mov_b32 s18, -1
	s_mov_b32 s17, 0
	s_mov_b32 s0, 0
                                        ; implicit-def: $vgpr6
	s_branch .LBB142_1900
.LBB142_1817:
	s_mov_b32 s0, -1
                                        ; implicit-def: $vgpr6
	s_branch .LBB142_1846
.LBB142_1818:
	s_mov_b32 s18, -1
	s_mov_b32 s17, 0
	s_mov_b32 s0, 0
                                        ; implicit-def: $vgpr6
	s_branch .LBB142_1881
.LBB142_1819:
	s_mov_b32 s0, -1
                                        ; implicit-def: $vgpr6
	s_branch .LBB142_1834
.LBB142_1820:
	s_mov_b32 s18, -1
	s_mov_b32 s17, 0
	s_mov_b32 s0, 0
                                        ; implicit-def: $vgpr6
	s_branch .LBB142_1876
.LBB142_1821:
	s_mov_b32 s0, -1
                                        ; implicit-def: $vgpr6
	s_branch .LBB142_1831
.LBB142_1822:
	s_cbranch_execnz .LBB142_1867
; %bb.1823:
	s_mov_b32 s17, 0
	s_and_not1_b32 s1, s1, exec_lo
	s_or_b32 s13, s13, exec_lo
	s_cbranch_execz .LBB142_1800
	s_branch .LBB142_1801
.LBB142_1824:
	s_or_saveexec_b32 s22, s22
                                        ; implicit-def: $sgpr23
	s_delay_alu instid0(SALU_CYCLE_1)
	s_xor_b32 exec_lo, exec_lo, s22
	s_cbranch_execz .LBB142_1467
.LBB142_1825:
	v_add_f32_e64 v3, 0x42800000, |v6|
	s_and_not1_b32 s21, s21, exec_lo
	s_mov_b32 s23, 0
	s_delay_alu instid0(VALU_DEP_1) | instskip(NEXT) | instid1(VALU_DEP_1)
	v_and_b32_e32 v3, 0xff, v3
	v_cmp_ne_u32_e32 vcc_lo, 0, v3
	s_and_b32 s24, vcc_lo, exec_lo
	s_delay_alu instid0(SALU_CYCLE_1)
	s_or_b32 s21, s21, s24
	s_or_b32 exec_lo, exec_lo, s22
	v_mov_b32_e32 v7, s23
	s_and_saveexec_b32 s22, s21
	s_cbranch_execnz .LBB142_1468
	s_branch .LBB142_1469
.LBB142_1826:
	s_mov_b32 s18, -1
	s_mov_b32 s17, 0
	s_mov_b32 s0, 0
	s_branch .LBB142_1870
.LBB142_1827:
	s_mov_b32 s0, -1
                                        ; implicit-def: $vgpr6
.LBB142_1828:
	s_delay_alu instid0(SALU_CYCLE_1)
	s_and_not1_b32 vcc_lo, exec_lo, s0
	s_cbranch_vccnz .LBB142_1830
; %bb.1829:
	global_load_b32 v6, v[0:1], off
	s_waitcnt vmcnt(0)
	v_bfe_u32 v9, v6, 16, 1
	v_cmp_o_f32_e32 vcc_lo, v6, v6
	s_delay_alu instid0(VALU_DEP_2) | instskip(NEXT) | instid1(VALU_DEP_1)
	v_add3_u32 v9, v6, v9, 0x7fff
	v_lshrrev_b32_e32 v9, 16, v9
	s_delay_alu instid0(VALU_DEP_1)
	v_cndmask_b32_e32 v6, 0x7fc0, v9, vcc_lo
.LBB142_1830:
	s_mov_b32 s0, 0
.LBB142_1831:
	s_delay_alu instid0(SALU_CYCLE_1)
	s_and_not1_b32 vcc_lo, exec_lo, s0
	s_cbranch_vccnz .LBB142_1833
; %bb.1832:
	global_load_b32 v6, v[0:1], off
	s_waitcnt vmcnt(0)
	v_cvt_f32_f16_e32 v9, v6
	v_cmp_o_f16_e32 vcc_lo, v6, v6
	s_delay_alu instid0(VALU_DEP_2) | instskip(NEXT) | instid1(VALU_DEP_1)
	v_bfe_u32 v10, v9, 16, 1
	v_add3_u32 v9, v9, v10, 0x7fff
	s_delay_alu instid0(VALU_DEP_1) | instskip(NEXT) | instid1(VALU_DEP_1)
	v_lshrrev_b32_e32 v9, 16, v9
	v_cndmask_b32_e32 v6, 0x7fc0, v9, vcc_lo
.LBB142_1833:
	s_mov_b32 s0, 0
.LBB142_1834:
	s_delay_alu instid0(SALU_CYCLE_1)
	s_and_not1_b32 vcc_lo, exec_lo, s0
	s_cbranch_vccnz .LBB142_1845
; %bb.1835:
	v_cmp_gt_i16_e32 vcc_lo, 6, v4
	s_cbranch_vccnz .LBB142_1838
; %bb.1836:
	v_cmp_lt_i16_e32 vcc_lo, 6, v4
	s_cbranch_vccz .LBB142_1839
; %bb.1837:
	global_load_b64 v[9:10], v[0:1], off
	s_mov_b32 s0, 0
	s_waitcnt vmcnt(0)
	v_cvt_f32_f64_e32 v6, v[9:10]
	s_delay_alu instid0(VALU_DEP_1) | instskip(SKIP_1) | instid1(VALU_DEP_2)
	v_bfe_u32 v9, v6, 16, 1
	v_cmp_o_f32_e32 vcc_lo, v6, v6
	v_add3_u32 v9, v6, v9, 0x7fff
	s_delay_alu instid0(VALU_DEP_1) | instskip(NEXT) | instid1(VALU_DEP_1)
	v_lshrrev_b32_e32 v9, 16, v9
	v_cndmask_b32_e32 v6, 0x7fc0, v9, vcc_lo
	s_branch .LBB142_1840
.LBB142_1838:
	s_mov_b32 s0, -1
                                        ; implicit-def: $vgpr6
	s_branch .LBB142_1843
.LBB142_1839:
	s_mov_b32 s0, -1
                                        ; implicit-def: $vgpr6
.LBB142_1840:
	s_delay_alu instid0(SALU_CYCLE_1)
	s_and_not1_b32 vcc_lo, exec_lo, s0
	s_cbranch_vccnz .LBB142_1842
; %bb.1841:
	global_load_b32 v6, v[0:1], off
	s_waitcnt vmcnt(0)
	v_bfe_u32 v9, v6, 16, 1
	v_cmp_o_f32_e32 vcc_lo, v6, v6
	s_delay_alu instid0(VALU_DEP_2) | instskip(NEXT) | instid1(VALU_DEP_1)
	v_add3_u32 v9, v6, v9, 0x7fff
	v_lshrrev_b32_e32 v9, 16, v9
	s_delay_alu instid0(VALU_DEP_1)
	v_cndmask_b32_e32 v6, 0x7fc0, v9, vcc_lo
.LBB142_1842:
	s_mov_b32 s0, 0
.LBB142_1843:
	s_delay_alu instid0(SALU_CYCLE_1)
	s_and_not1_b32 vcc_lo, exec_lo, s0
	s_cbranch_vccnz .LBB142_1845
; %bb.1844:
	global_load_u16 v6, v[0:1], off
	s_waitcnt vmcnt(0)
	v_cvt_f32_f16_e32 v9, v6
	v_cmp_o_f16_e32 vcc_lo, v6, v6
	s_delay_alu instid0(VALU_DEP_2) | instskip(NEXT) | instid1(VALU_DEP_1)
	v_bfe_u32 v10, v9, 16, 1
	v_add3_u32 v9, v9, v10, 0x7fff
	s_delay_alu instid0(VALU_DEP_1) | instskip(NEXT) | instid1(VALU_DEP_1)
	v_lshrrev_b32_e32 v9, 16, v9
	v_cndmask_b32_e32 v6, 0x7fc0, v9, vcc_lo
.LBB142_1845:
	s_mov_b32 s0, 0
.LBB142_1846:
	s_delay_alu instid0(SALU_CYCLE_1)
	s_and_not1_b32 vcc_lo, exec_lo, s0
	s_cbranch_vccnz .LBB142_1866
; %bb.1847:
	v_cmp_gt_i16_e32 vcc_lo, 2, v4
	s_cbranch_vccnz .LBB142_1851
; %bb.1848:
	v_cmp_gt_i16_e32 vcc_lo, 3, v4
	s_cbranch_vccnz .LBB142_1852
; %bb.1849:
	v_cmp_lt_i16_e32 vcc_lo, 3, v4
	s_cbranch_vccz .LBB142_1853
; %bb.1850:
	global_load_b64 v[9:10], v[0:1], off
	s_mov_b32 s0, 0
	s_waitcnt vmcnt(0)
	v_xor_b32_e32 v6, v9, v10
	v_cls_i32_e32 v11, v10
	s_delay_alu instid0(VALU_DEP_2) | instskip(NEXT) | instid1(VALU_DEP_2)
	v_ashrrev_i32_e32 v6, 31, v6
	v_add_nc_u32_e32 v11, -1, v11
	s_delay_alu instid0(VALU_DEP_2) | instskip(NEXT) | instid1(VALU_DEP_1)
	v_add_nc_u32_e32 v6, 32, v6
	v_min_u32_e32 v6, v11, v6
	s_delay_alu instid0(VALU_DEP_1) | instskip(SKIP_1) | instid1(VALU_DEP_2)
	v_lshlrev_b64 v[9:10], v6, v[9:10]
	v_sub_nc_u32_e32 v6, 32, v6
	v_min_u32_e32 v9, 1, v9
	s_delay_alu instid0(VALU_DEP_1) | instskip(NEXT) | instid1(VALU_DEP_1)
	v_or_b32_e32 v9, v10, v9
	v_cvt_f32_i32_e32 v9, v9
	s_delay_alu instid0(VALU_DEP_1) | instskip(NEXT) | instid1(VALU_DEP_1)
	v_ldexp_f32 v6, v9, v6
	v_bfe_u32 v9, v6, 16, 1
	s_delay_alu instid0(VALU_DEP_1) | instskip(NEXT) | instid1(VALU_DEP_1)
	v_add3_u32 v6, v6, v9, 0x7fff
	v_lshrrev_b32_e32 v6, 16, v6
	s_branch .LBB142_1854
.LBB142_1851:
	s_mov_b32 s0, -1
                                        ; implicit-def: $vgpr6
	s_branch .LBB142_1860
.LBB142_1852:
	s_mov_b32 s0, -1
                                        ; implicit-def: $vgpr6
	s_branch .LBB142_1857
.LBB142_1853:
	s_mov_b32 s0, -1
                                        ; implicit-def: $vgpr6
.LBB142_1854:
	s_delay_alu instid0(SALU_CYCLE_1)
	s_and_not1_b32 vcc_lo, exec_lo, s0
	s_cbranch_vccnz .LBB142_1856
; %bb.1855:
	global_load_b32 v6, v[0:1], off
	s_waitcnt vmcnt(0)
	v_cvt_f32_i32_e32 v6, v6
	s_delay_alu instid0(VALU_DEP_1) | instskip(NEXT) | instid1(VALU_DEP_1)
	v_bfe_u32 v9, v6, 16, 1
	v_add3_u32 v6, v6, v9, 0x7fff
	s_delay_alu instid0(VALU_DEP_1)
	v_lshrrev_b32_e32 v6, 16, v6
.LBB142_1856:
	s_mov_b32 s0, 0
.LBB142_1857:
	s_delay_alu instid0(SALU_CYCLE_1)
	s_and_not1_b32 vcc_lo, exec_lo, s0
	s_cbranch_vccnz .LBB142_1859
; %bb.1858:
	global_load_i16 v6, v[0:1], off
	s_waitcnt vmcnt(0)
	v_cvt_f32_i32_e32 v6, v6
	s_delay_alu instid0(VALU_DEP_1) | instskip(NEXT) | instid1(VALU_DEP_1)
	v_bfe_u32 v9, v6, 16, 1
	v_add3_u32 v6, v6, v9, 0x7fff
	s_delay_alu instid0(VALU_DEP_1)
	v_lshrrev_b32_e32 v6, 16, v6
.LBB142_1859:
	s_mov_b32 s0, 0
.LBB142_1860:
	s_delay_alu instid0(SALU_CYCLE_1)
	s_and_not1_b32 vcc_lo, exec_lo, s0
	s_cbranch_vccnz .LBB142_1866
; %bb.1861:
	v_cmp_lt_i16_e32 vcc_lo, 0, v4
	s_mov_b32 s0, 0
	s_cbranch_vccz .LBB142_1863
; %bb.1862:
	global_load_i8 v6, v[0:1], off
	s_waitcnt vmcnt(0)
	v_cvt_f32_i32_e32 v6, v6
	s_delay_alu instid0(VALU_DEP_1) | instskip(NEXT) | instid1(VALU_DEP_1)
	v_bfe_u32 v9, v6, 16, 1
	v_add3_u32 v6, v6, v9, 0x7fff
	s_delay_alu instid0(VALU_DEP_1)
	v_lshrrev_b32_e32 v6, 16, v6
	s_branch .LBB142_1864
.LBB142_1863:
	s_mov_b32 s0, -1
                                        ; implicit-def: $vgpr6
.LBB142_1864:
	s_delay_alu instid0(SALU_CYCLE_1)
	s_and_not1_b32 vcc_lo, exec_lo, s0
	s_cbranch_vccnz .LBB142_1866
; %bb.1865:
	global_load_u8 v0, v[0:1], off
	s_waitcnt vmcnt(0)
	v_cvt_f32_ubyte0_e32 v0, v0
	s_delay_alu instid0(VALU_DEP_1) | instskip(NEXT) | instid1(VALU_DEP_1)
	v_bfe_u32 v1, v0, 16, 1
	v_add3_u32 v0, v0, v1, 0x7fff
	s_delay_alu instid0(VALU_DEP_1)
	v_lshrrev_b32_e32 v6, 16, v0
.LBB142_1866:
	s_branch .LBB142_1938
.LBB142_1867:
	s_trap 2
	s_sendmsg_rtn_b32 s0, sendmsg(MSG_RTN_GET_DOORBELL)
	s_mov_b32 ttmp2, m0
	s_waitcnt lgkmcnt(0)
	s_and_b32 s0, s0, 0x3ff
	s_delay_alu instid0(SALU_CYCLE_1) | instskip(NEXT) | instid1(SALU_CYCLE_1)
	s_bitset1_b32 s0, 10
	s_mov_b32 m0, s0
	s_sendmsg sendmsg(MSG_INTERRUPT)
	s_mov_b32 m0, ttmp2
.LBB142_1868:                           ; =>This Inner Loop Header: Depth=1
	s_sethalt 5
	s_branch .LBB142_1868
.LBB142_1869:
	s_mov_b32 s0, -1
	s_mov_b32 s17, 0
.LBB142_1870:
                                        ; implicit-def: $vgpr6
.LBB142_1871:
	s_and_b32 vcc_lo, exec_lo, s18
	s_cbranch_vccz .LBB142_1875
; %bb.1872:
	v_cmp_eq_u16_e32 vcc_lo, 44, v4
	s_cbranch_vccz .LBB142_1874
; %bb.1873:
	global_load_u8 v6, v[0:1], off
	s_mov_b32 s0, 0
	s_mov_b32 s17, -1
	s_waitcnt vmcnt(0)
	v_lshlrev_b32_e32 v9, 23, v6
	v_cmp_ne_u32_e32 vcc_lo, 0xff, v6
	s_delay_alu instid0(VALU_DEP_2) | instskip(SKIP_1) | instid1(VALU_DEP_2)
	v_cndmask_b32_e32 v9, 0x7f800001, v9, vcc_lo
	v_cmp_ne_u32_e32 vcc_lo, 0, v6
	v_cndmask_b32_e32 v6, 0x400000, v9, vcc_lo
	s_delay_alu instid0(VALU_DEP_1) | instskip(SKIP_1) | instid1(VALU_DEP_2)
	v_add_nc_u32_e32 v9, 0x7fff, v6
	v_cmp_o_f32_e32 vcc_lo, v6, v6
	v_lshrrev_b32_e32 v9, 16, v9
	s_delay_alu instid0(VALU_DEP_1)
	v_cndmask_b32_e32 v6, 0x7fc0, v9, vcc_lo
	s_branch .LBB142_1875
.LBB142_1874:
	s_mov_b32 s0, -1
                                        ; implicit-def: $vgpr6
.LBB142_1875:
	s_mov_b32 s18, 0
.LBB142_1876:
	s_delay_alu instid0(SALU_CYCLE_1)
	s_and_b32 vcc_lo, exec_lo, s18
	s_cbranch_vccz .LBB142_1880
; %bb.1877:
	v_cmp_eq_u16_e32 vcc_lo, 29, v4
	s_cbranch_vccz .LBB142_1879
; %bb.1878:
	global_load_b64 v[9:10], v[0:1], off
	s_mov_b32 s0, 0
	s_mov_b32 s17, -1
	s_mov_b32 s18, 0
	s_waitcnt vmcnt(0)
	v_clz_i32_u32_e32 v6, v10
	s_delay_alu instid0(VALU_DEP_1) | instskip(NEXT) | instid1(VALU_DEP_1)
	v_min_u32_e32 v6, 32, v6
	v_lshlrev_b64 v[9:10], v6, v[9:10]
	v_sub_nc_u32_e32 v6, 32, v6
	s_delay_alu instid0(VALU_DEP_2) | instskip(NEXT) | instid1(VALU_DEP_1)
	v_min_u32_e32 v9, 1, v9
	v_or_b32_e32 v9, v10, v9
	s_delay_alu instid0(VALU_DEP_1) | instskip(NEXT) | instid1(VALU_DEP_1)
	v_cvt_f32_u32_e32 v9, v9
	v_ldexp_f32 v6, v9, v6
	s_delay_alu instid0(VALU_DEP_1) | instskip(NEXT) | instid1(VALU_DEP_1)
	v_bfe_u32 v9, v6, 16, 1
	v_add3_u32 v6, v6, v9, 0x7fff
	s_delay_alu instid0(VALU_DEP_1)
	v_lshrrev_b32_e32 v6, 16, v6
	s_branch .LBB142_1881
.LBB142_1879:
	s_mov_b32 s0, -1
                                        ; implicit-def: $vgpr6
.LBB142_1880:
	s_mov_b32 s18, 0
.LBB142_1881:
	s_delay_alu instid0(SALU_CYCLE_1)
	s_and_b32 vcc_lo, exec_lo, s18
	s_cbranch_vccz .LBB142_1899
; %bb.1882:
	v_cmp_gt_i16_e32 vcc_lo, 27, v4
	s_cbranch_vccnz .LBB142_1885
; %bb.1883:
	v_cmp_lt_i16_e32 vcc_lo, 27, v4
	s_cbranch_vccz .LBB142_1886
; %bb.1884:
	global_load_b32 v6, v[0:1], off
	s_mov_b32 s17, 0
	s_waitcnt vmcnt(0)
	v_cvt_f32_u32_e32 v6, v6
	s_delay_alu instid0(VALU_DEP_1) | instskip(NEXT) | instid1(VALU_DEP_1)
	v_bfe_u32 v9, v6, 16, 1
	v_add3_u32 v6, v6, v9, 0x7fff
	s_delay_alu instid0(VALU_DEP_1)
	v_lshrrev_b32_e32 v6, 16, v6
	s_branch .LBB142_1887
.LBB142_1885:
	s_mov_b32 s17, -1
                                        ; implicit-def: $vgpr6
	s_branch .LBB142_1890
.LBB142_1886:
	s_mov_b32 s17, -1
                                        ; implicit-def: $vgpr6
.LBB142_1887:
	s_delay_alu instid0(SALU_CYCLE_1)
	s_and_not1_b32 vcc_lo, exec_lo, s17
	s_cbranch_vccnz .LBB142_1889
; %bb.1888:
	global_load_u16 v6, v[0:1], off
	s_waitcnt vmcnt(0)
	v_cvt_f32_u32_e32 v6, v6
	s_delay_alu instid0(VALU_DEP_1) | instskip(NEXT) | instid1(VALU_DEP_1)
	v_bfe_u32 v9, v6, 16, 1
	v_add3_u32 v6, v6, v9, 0x7fff
	s_delay_alu instid0(VALU_DEP_1)
	v_lshrrev_b32_e32 v6, 16, v6
.LBB142_1889:
	s_mov_b32 s17, 0
.LBB142_1890:
	s_delay_alu instid0(SALU_CYCLE_1)
	s_and_not1_b32 vcc_lo, exec_lo, s17
	s_cbranch_vccnz .LBB142_1898
; %bb.1891:
	global_load_u8 v6, v[0:1], off
	s_mov_b32 s17, 0
	s_mov_b32 s19, exec_lo
                                        ; implicit-def: $sgpr18
	s_waitcnt vmcnt(0)
	v_cmpx_lt_i16_e32 0x7f, v6
	s_xor_b32 s19, exec_lo, s19
	s_cbranch_execz .LBB142_1912
; %bb.1892:
	s_mov_b32 s17, -1
	s_mov_b32 s20, exec_lo
                                        ; implicit-def: $sgpr18
	v_cmpx_eq_u16_e32 0x80, v6
; %bb.1893:
	s_mov_b32 s18, 0x7f800001
	s_xor_b32 s17, exec_lo, -1
; %bb.1894:
	s_or_b32 exec_lo, exec_lo, s20
	s_delay_alu instid0(SALU_CYCLE_1)
	s_and_b32 s17, s17, exec_lo
	s_or_saveexec_b32 s19, s19
	v_mov_b32_e32 v9, s18
	s_xor_b32 exec_lo, exec_lo, s19
	s_cbranch_execnz .LBB142_1913
.LBB142_1895:
	s_or_b32 exec_lo, exec_lo, s19
	s_and_saveexec_b32 s18, s17
	s_cbranch_execz .LBB142_1897
.LBB142_1896:
	v_and_b32_e32 v9, 0xffff, v6
	v_lshlrev_b32_e32 v6, 24, v6
	s_delay_alu instid0(VALU_DEP_2) | instskip(NEXT) | instid1(VALU_DEP_2)
	v_and_b32_e32 v10, 7, v9
	v_and_b32_e32 v6, 0x80000000, v6
	s_delay_alu instid0(VALU_DEP_2) | instskip(NEXT) | instid1(VALU_DEP_1)
	v_clz_i32_u32_e32 v11, v10
	v_min_u32_e32 v11, 32, v11
	s_delay_alu instid0(VALU_DEP_1) | instskip(SKIP_1) | instid1(VALU_DEP_2)
	v_subrev_nc_u32_e32 v12, 28, v11
	v_sub_nc_u32_e32 v11, 29, v11
	v_lshlrev_b32_e32 v12, v12, v9
	v_bfe_u32 v9, v9, 3, 4
	s_delay_alu instid0(VALU_DEP_2) | instskip(NEXT) | instid1(VALU_DEP_2)
	v_and_b32_e32 v12, 7, v12
	v_cmp_eq_u32_e32 vcc_lo, 0, v9
	s_delay_alu instid0(VALU_DEP_2) | instskip(NEXT) | instid1(VALU_DEP_1)
	v_dual_cndmask_b32 v9, v9, v11 :: v_dual_cndmask_b32 v10, v10, v12
	v_lshl_add_u32 v9, v9, 23, 0x3b800000
	s_delay_alu instid0(VALU_DEP_2) | instskip(NEXT) | instid1(VALU_DEP_1)
	v_lshlrev_b32_e32 v10, 20, v10
	v_or3_b32 v9, v6, v9, v10
.LBB142_1897:
	s_or_b32 exec_lo, exec_lo, s18
	s_delay_alu instid0(VALU_DEP_1) | instskip(SKIP_1) | instid1(VALU_DEP_2)
	v_bfe_u32 v6, v9, 16, 1
	v_cmp_o_f32_e32 vcc_lo, v9, v9
	v_add3_u32 v6, v9, v6, 0x7fff
	s_delay_alu instid0(VALU_DEP_1) | instskip(NEXT) | instid1(VALU_DEP_1)
	v_lshrrev_b32_e32 v6, 16, v6
	v_cndmask_b32_e32 v6, 0x7fc0, v6, vcc_lo
.LBB142_1898:
	s_mov_b32 s17, -1
.LBB142_1899:
	s_mov_b32 s18, 0
.LBB142_1900:
	s_delay_alu instid0(SALU_CYCLE_1)
	s_and_b32 vcc_lo, exec_lo, s18
	s_cbranch_vccz .LBB142_1933
; %bb.1901:
	v_cmp_lt_i16_e32 vcc_lo, 22, v4
	s_cbranch_vccz .LBB142_1911
; %bb.1902:
	v_cmp_gt_i16_e32 vcc_lo, 24, v4
	s_cbranch_vccnz .LBB142_1914
; %bb.1903:
	v_cmp_lt_i16_e32 vcc_lo, 24, v4
	s_cbranch_vccz .LBB142_1915
; %bb.1904:
	global_load_u8 v6, v[0:1], off
	s_mov_b32 s18, exec_lo
                                        ; implicit-def: $sgpr17
	s_waitcnt vmcnt(0)
	v_cmpx_lt_i16_e32 0x7f, v6
	s_xor_b32 s18, exec_lo, s18
	s_cbranch_execz .LBB142_1927
; %bb.1905:
	s_mov_b32 s9, -1
	s_mov_b32 s19, exec_lo
                                        ; implicit-def: $sgpr17
	v_cmpx_eq_u16_e32 0x80, v6
; %bb.1906:
	s_mov_b32 s17, 0x7f800001
	s_xor_b32 s9, exec_lo, -1
; %bb.1907:
	s_or_b32 exec_lo, exec_lo, s19
	s_delay_alu instid0(SALU_CYCLE_1)
	s_and_b32 s9, s9, exec_lo
	s_or_saveexec_b32 s18, s18
	v_mov_b32_e32 v9, s17
	s_xor_b32 exec_lo, exec_lo, s18
	s_cbranch_execnz .LBB142_1928
.LBB142_1908:
	s_or_b32 exec_lo, exec_lo, s18
	s_and_saveexec_b32 s17, s9
	s_cbranch_execz .LBB142_1910
.LBB142_1909:
	v_and_b32_e32 v9, 0xffff, v6
	v_lshlrev_b32_e32 v6, 24, v6
	s_delay_alu instid0(VALU_DEP_2) | instskip(NEXT) | instid1(VALU_DEP_2)
	v_and_b32_e32 v10, 3, v9
	v_and_b32_e32 v6, 0x80000000, v6
	s_delay_alu instid0(VALU_DEP_2) | instskip(NEXT) | instid1(VALU_DEP_1)
	v_clz_i32_u32_e32 v11, v10
	v_min_u32_e32 v11, 32, v11
	s_delay_alu instid0(VALU_DEP_1) | instskip(SKIP_1) | instid1(VALU_DEP_2)
	v_subrev_nc_u32_e32 v12, 29, v11
	v_sub_nc_u32_e32 v11, 30, v11
	v_lshlrev_b32_e32 v12, v12, v9
	v_bfe_u32 v9, v9, 2, 5
	s_delay_alu instid0(VALU_DEP_2) | instskip(NEXT) | instid1(VALU_DEP_2)
	v_and_b32_e32 v12, 3, v12
	v_cmp_eq_u32_e32 vcc_lo, 0, v9
	s_delay_alu instid0(VALU_DEP_2) | instskip(NEXT) | instid1(VALU_DEP_1)
	v_dual_cndmask_b32 v9, v9, v11 :: v_dual_cndmask_b32 v10, v10, v12
	v_lshl_add_u32 v9, v9, 23, 0x37800000
	s_delay_alu instid0(VALU_DEP_2) | instskip(NEXT) | instid1(VALU_DEP_1)
	v_lshlrev_b32_e32 v10, 21, v10
	v_or3_b32 v9, v6, v9, v10
.LBB142_1910:
	s_or_b32 exec_lo, exec_lo, s17
	s_delay_alu instid0(VALU_DEP_1) | instskip(SKIP_2) | instid1(VALU_DEP_2)
	v_bfe_u32 v6, v9, 16, 1
	v_cmp_o_f32_e32 vcc_lo, v9, v9
	s_mov_b32 s9, 0
	v_add3_u32 v6, v9, v6, 0x7fff
	s_delay_alu instid0(VALU_DEP_1) | instskip(NEXT) | instid1(VALU_DEP_1)
	v_lshrrev_b32_e32 v6, 16, v6
	v_cndmask_b32_e32 v6, 0x7fc0, v6, vcc_lo
	s_branch .LBB142_1916
.LBB142_1911:
	s_mov_b32 s9, -1
                                        ; implicit-def: $vgpr6
	s_branch .LBB142_1922
.LBB142_1912:
	s_or_saveexec_b32 s19, s19
	v_mov_b32_e32 v9, s18
	s_xor_b32 exec_lo, exec_lo, s19
	s_cbranch_execz .LBB142_1895
.LBB142_1913:
	v_cmp_ne_u16_e32 vcc_lo, 0, v6
	v_mov_b32_e32 v9, 0
	s_and_not1_b32 s17, s17, exec_lo
	s_and_b32 s18, vcc_lo, exec_lo
	s_delay_alu instid0(SALU_CYCLE_1)
	s_or_b32 s17, s17, s18
	s_or_b32 exec_lo, exec_lo, s19
	s_and_saveexec_b32 s18, s17
	s_cbranch_execnz .LBB142_1896
	s_branch .LBB142_1897
.LBB142_1914:
	s_mov_b32 s9, -1
                                        ; implicit-def: $vgpr6
	s_branch .LBB142_1919
.LBB142_1915:
	s_mov_b32 s9, -1
                                        ; implicit-def: $vgpr6
.LBB142_1916:
	s_delay_alu instid0(SALU_CYCLE_1)
	s_and_b32 vcc_lo, exec_lo, s9
	s_cbranch_vccz .LBB142_1918
; %bb.1917:
	global_load_u8 v6, v[0:1], off
	s_waitcnt vmcnt(0)
	v_lshlrev_b32_e32 v6, 24, v6
	s_delay_alu instid0(VALU_DEP_1) | instskip(NEXT) | instid1(VALU_DEP_1)
	v_and_b32_e32 v9, 0x7f000000, v6
	v_clz_i32_u32_e32 v10, v9
	v_cmp_ne_u32_e32 vcc_lo, 0, v9
	v_add_nc_u32_e32 v12, 0x1000000, v9
	s_delay_alu instid0(VALU_DEP_3) | instskip(NEXT) | instid1(VALU_DEP_1)
	v_min_u32_e32 v10, 32, v10
	v_sub_nc_u32_e64 v10, v10, 4 clamp
	s_delay_alu instid0(VALU_DEP_1) | instskip(SKIP_1) | instid1(VALU_DEP_2)
	v_lshlrev_b32_e32 v11, v10, v9
	v_lshlrev_b32_e32 v10, 23, v10
	v_lshrrev_b32_e32 v11, 4, v11
	s_delay_alu instid0(VALU_DEP_1) | instskip(SKIP_1) | instid1(VALU_DEP_2)
	v_sub_nc_u32_e32 v10, v11, v10
	v_ashrrev_i32_e32 v11, 8, v12
	v_add_nc_u32_e32 v10, 0x3c000000, v10
	s_delay_alu instid0(VALU_DEP_1) | instskip(NEXT) | instid1(VALU_DEP_1)
	v_and_or_b32 v10, 0x7f800000, v11, v10
	v_cndmask_b32_e32 v9, 0, v10, vcc_lo
	s_delay_alu instid0(VALU_DEP_1) | instskip(SKIP_1) | instid1(VALU_DEP_2)
	v_and_or_b32 v6, 0x80000000, v6, v9
	v_bfe_u32 v9, v9, 16, 1
	v_cmp_o_f32_e32 vcc_lo, v6, v6
	s_delay_alu instid0(VALU_DEP_2) | instskip(NEXT) | instid1(VALU_DEP_1)
	v_add3_u32 v9, v6, v9, 0x7fff
	v_lshrrev_b32_e32 v9, 16, v9
	s_delay_alu instid0(VALU_DEP_1)
	v_cndmask_b32_e32 v6, 0x7fc0, v9, vcc_lo
.LBB142_1918:
	s_mov_b32 s9, 0
.LBB142_1919:
	s_delay_alu instid0(SALU_CYCLE_1)
	s_and_not1_b32 vcc_lo, exec_lo, s9
	s_cbranch_vccnz .LBB142_1921
; %bb.1920:
	global_load_u8 v6, v[0:1], off
	s_waitcnt vmcnt(0)
	v_lshlrev_b32_e32 v9, 25, v6
	v_lshlrev_b16 v6, 8, v6
	s_delay_alu instid0(VALU_DEP_2) | instskip(NEXT) | instid1(VALU_DEP_2)
	v_lshrrev_b32_e32 v10, 4, v9
	v_and_or_b32 v11, 0x7f00, v6, 0.5
	v_cmp_gt_u32_e32 vcc_lo, 0x8000000, v9
	v_bfe_i32 v6, v6, 0, 16
	s_delay_alu instid0(VALU_DEP_4) | instskip(NEXT) | instid1(VALU_DEP_1)
	v_or_b32_e32 v10, 0x70000000, v10
	v_dual_add_f32 v11, -0.5, v11 :: v_dual_mul_f32 v10, 0x7800000, v10
	s_delay_alu instid0(VALU_DEP_1) | instskip(NEXT) | instid1(VALU_DEP_1)
	v_cndmask_b32_e32 v9, v10, v11, vcc_lo
	v_and_or_b32 v6, 0x80000000, v6, v9
	v_bfe_u32 v9, v9, 16, 1
	s_delay_alu instid0(VALU_DEP_2) | instskip(NEXT) | instid1(VALU_DEP_2)
	v_cmp_o_f32_e32 vcc_lo, v6, v6
	v_add3_u32 v9, v6, v9, 0x7fff
	s_delay_alu instid0(VALU_DEP_1) | instskip(NEXT) | instid1(VALU_DEP_1)
	v_lshrrev_b32_e32 v9, 16, v9
	v_cndmask_b32_e32 v6, 0x7fc0, v9, vcc_lo
.LBB142_1921:
	s_mov_b32 s9, 0
	s_mov_b32 s17, -1
.LBB142_1922:
	s_and_not1_b32 vcc_lo, exec_lo, s9
	s_mov_b32 s9, 0
	s_cbranch_vccnz .LBB142_1933
; %bb.1923:
	v_cmp_lt_i16_e32 vcc_lo, 14, v4
	s_cbranch_vccz .LBB142_1926
; %bb.1924:
	v_cmp_eq_u16_e32 vcc_lo, 15, v4
	s_cbranch_vccz .LBB142_1929
; %bb.1925:
	global_load_u16 v6, v[0:1], off
	s_mov_b32 s0, 0
	s_mov_b32 s17, -1
	s_branch .LBB142_1931
.LBB142_1926:
	s_mov_b32 s9, -1
	s_branch .LBB142_1930
.LBB142_1927:
	s_or_saveexec_b32 s18, s18
	v_mov_b32_e32 v9, s17
	s_xor_b32 exec_lo, exec_lo, s18
	s_cbranch_execz .LBB142_1908
.LBB142_1928:
	v_cmp_ne_u16_e32 vcc_lo, 0, v6
	v_mov_b32_e32 v9, 0
	s_and_not1_b32 s9, s9, exec_lo
	s_and_b32 s17, vcc_lo, exec_lo
	s_delay_alu instid0(SALU_CYCLE_1)
	s_or_b32 s9, s9, s17
	s_or_b32 exec_lo, exec_lo, s18
	s_and_saveexec_b32 s17, s9
	s_cbranch_execnz .LBB142_1909
	s_branch .LBB142_1910
.LBB142_1929:
	s_mov_b32 s0, -1
.LBB142_1930:
                                        ; implicit-def: $vgpr6
.LBB142_1931:
	s_and_b32 vcc_lo, exec_lo, s9
	s_mov_b32 s9, 0
	s_cbranch_vccz .LBB142_1933
; %bb.1932:
	v_cmp_ne_u16_e64 s0, 11, v4
	s_mov_b32 s9, -1
                                        ; implicit-def: $vgpr6
.LBB142_1933:
	s_delay_alu instid0(VALU_DEP_1)
	s_and_b32 vcc_lo, exec_lo, s0
	s_cbranch_vccnz .LBB142_1949
; %bb.1934:
	s_and_not1_b32 vcc_lo, exec_lo, s9
	s_cbranch_vccnz .LBB142_1936
.LBB142_1935:
	global_load_u8 v6, v[0:1], off
	s_mov_b32 s17, -1
	s_waitcnt vmcnt(0)
	v_cmp_ne_u16_e32 vcc_lo, 0, v6
	v_cndmask_b32_e64 v6, 0, 1.0, vcc_lo
	s_delay_alu instid0(VALU_DEP_1)
	v_lshrrev_b32_e32 v6, 16, v6
.LBB142_1936:
.LBB142_1937:
	s_and_not1_b32 vcc_lo, exec_lo, s17
	s_cbranch_vccnz .LBB142_3037
.LBB142_1938:
	s_lshl_b32 s17, s10, 7
	v_cmp_gt_i16_e32 vcc_lo, 11, v5
	v_add_nc_u32_e32 v9, s17, v7
	s_delay_alu instid0(VALU_DEP_1) | instskip(SKIP_1) | instid1(VALU_DEP_1)
	v_ashrrev_i32_e32 v1, 31, v9
	v_add_co_u32 v0, s0, s2, v9
	v_add_co_ci_u32_e64 v1, s0, s3, v1, s0
	s_cbranch_vccnz .LBB142_1945
; %bb.1939:
	v_cmp_lt_i16_e32 vcc_lo, 25, v5
	s_mov_b32 s0, 0
	s_cbranch_vccz .LBB142_1946
; %bb.1940:
	v_cmp_lt_i16_e32 vcc_lo, 28, v5
	s_cbranch_vccz .LBB142_1947
; %bb.1941:
	v_cmp_lt_i16_e32 vcc_lo, 43, v5
	s_cbranch_vccz .LBB142_1948
; %bb.1942:
	v_cmp_lt_i16_e32 vcc_lo, 45, v5
	s_cbranch_vccz .LBB142_1951
; %bb.1943:
	v_cmp_eq_u16_e32 vcc_lo, 46, v5
	s_mov_b32 s19, 0
	s_cbranch_vccz .LBB142_1954
; %bb.1944:
	global_load_b32 v7, v[0:1], off
	s_mov_b32 s10, 0
	s_mov_b32 s18, -1
	s_waitcnt vmcnt(0)
	v_and_b32_e32 v7, 0x7fff7fff, v7
	s_delay_alu instid0(VALU_DEP_1)
	v_cmp_ne_u32_e32 vcc_lo, 0, v7
	s_and_b32 s9, vcc_lo, exec_lo
	s_branch .LBB142_1956
.LBB142_1945:
	s_mov_b32 s0, -1
	s_mov_b32 s18, 0
                                        ; implicit-def: $sgpr9
	s_branch .LBB142_2020
.LBB142_1946:
	s_mov_b32 s19, -1
	s_mov_b32 s18, 0
	s_mov_b32 s10, 0
                                        ; implicit-def: $sgpr9
	s_branch .LBB142_1983
.LBB142_1947:
	s_mov_b32 s19, -1
	s_mov_b32 s18, 0
	s_mov_b32 s10, 0
                                        ; implicit-def: $sgpr9
	s_branch .LBB142_1964
.LBB142_1948:
	s_mov_b32 s19, -1
	s_mov_b32 s18, 0
	s_mov_b32 s10, 0
                                        ; implicit-def: $sgpr9
	s_branch .LBB142_1959
.LBB142_1949:
	s_cbranch_execnz .LBB142_1952
; %bb.1950:
	s_or_b32 s13, s13, exec_lo
                                        ; implicit-def: $vgpr6
	s_cbranch_execz .LBB142_1935
	s_branch .LBB142_1936
.LBB142_1951:
	s_mov_b32 s19, -1
	s_mov_b32 s18, 0
	s_mov_b32 s10, 0
	s_branch .LBB142_1955
.LBB142_1952:
	s_trap 2
	s_sendmsg_rtn_b32 s0, sendmsg(MSG_RTN_GET_DOORBELL)
	s_mov_b32 ttmp2, m0
	s_waitcnt lgkmcnt(0)
	s_and_b32 s0, s0, 0x3ff
	s_delay_alu instid0(SALU_CYCLE_1) | instskip(NEXT) | instid1(SALU_CYCLE_1)
	s_bitset1_b32 s0, 10
	s_mov_b32 m0, s0
	s_sendmsg sendmsg(MSG_INTERRUPT)
	s_mov_b32 m0, ttmp2
.LBB142_1953:                           ; =>This Inner Loop Header: Depth=1
	s_sethalt 5
	s_branch .LBB142_1953
.LBB142_1954:
	s_mov_b32 s10, -1
	s_mov_b32 s18, 0
.LBB142_1955:
                                        ; implicit-def: $sgpr9
.LBB142_1956:
	s_and_b32 vcc_lo, exec_lo, s19
	s_cbranch_vccz .LBB142_1958
; %bb.1957:
	v_cmp_ne_u16_e64 s10, 44, v5
	s_mov_b32 s18, -1
	s_or_b32 s9, s9, exec_lo
.LBB142_1958:
	s_mov_b32 s19, 0
.LBB142_1959:
	s_delay_alu instid0(SALU_CYCLE_1)
	s_and_b32 vcc_lo, exec_lo, s19
	s_cbranch_vccz .LBB142_1963
; %bb.1960:
	v_cmp_eq_u16_e32 vcc_lo, 29, v5
	s_cbranch_vccz .LBB142_1962
; %bb.1961:
	global_load_b64 v[10:11], v[0:1], off
	s_mov_b32 s10, 0
	s_mov_b32 s18, -1
	s_mov_b32 s19, 0
	s_waitcnt vmcnt(0)
	v_cmp_ne_u64_e32 vcc_lo, 0, v[10:11]
	s_and_b32 s9, vcc_lo, exec_lo
	s_branch .LBB142_1964
.LBB142_1962:
	s_mov_b32 s10, -1
                                        ; implicit-def: $sgpr9
.LBB142_1963:
	s_mov_b32 s19, 0
.LBB142_1964:
	s_delay_alu instid0(SALU_CYCLE_1)
	s_and_b32 vcc_lo, exec_lo, s19
	s_cbranch_vccz .LBB142_1982
; %bb.1965:
	v_cmp_gt_i16_e32 vcc_lo, 27, v5
	s_cbranch_vccnz .LBB142_1968
; %bb.1966:
	v_cmp_lt_i16_e32 vcc_lo, 27, v5
	s_cbranch_vccz .LBB142_1969
; %bb.1967:
	global_load_b32 v7, v[0:1], off
	s_mov_b32 s18, 0
	s_waitcnt vmcnt(0)
	v_cmp_ne_u32_e32 vcc_lo, 0, v7
	s_and_b32 s9, vcc_lo, exec_lo
	s_branch .LBB142_1970
.LBB142_1968:
	s_mov_b32 s18, -1
                                        ; implicit-def: $sgpr9
	s_branch .LBB142_1973
.LBB142_1969:
	s_mov_b32 s18, -1
                                        ; implicit-def: $sgpr9
.LBB142_1970:
	s_delay_alu instid0(SALU_CYCLE_1)
	s_and_not1_b32 vcc_lo, exec_lo, s18
	s_cbranch_vccnz .LBB142_1972
; %bb.1971:
	global_load_u16 v7, v[0:1], off
	s_and_not1_b32 s9, s9, exec_lo
	s_waitcnt vmcnt(0)
	v_cmp_ne_u16_e32 vcc_lo, 0, v7
	s_and_b32 s18, vcc_lo, exec_lo
	s_delay_alu instid0(SALU_CYCLE_1)
	s_or_b32 s9, s9, s18
.LBB142_1972:
	s_mov_b32 s18, 0
.LBB142_1973:
	s_delay_alu instid0(SALU_CYCLE_1)
	s_and_not1_b32 vcc_lo, exec_lo, s18
	s_cbranch_vccnz .LBB142_1981
; %bb.1974:
	global_load_u8 v7, v[0:1], off
	s_mov_b32 s18, 0
	s_mov_b32 s19, exec_lo
                                        ; implicit-def: $sgpr9
	s_waitcnt vmcnt(0)
	v_cmpx_lt_i16_e32 0x7f, v7
	s_xor_b32 s19, exec_lo, s19
	s_cbranch_execz .LBB142_1995
; %bb.1975:
	s_mov_b32 s18, -1
	s_mov_b32 s20, exec_lo
                                        ; implicit-def: $sgpr9
	v_cmpx_eq_u16_e32 0x80, v7
; %bb.1976:
	s_mov_b32 s9, -1
	s_xor_b32 s18, exec_lo, -1
; %bb.1977:
	s_or_b32 exec_lo, exec_lo, s20
	s_delay_alu instid0(SALU_CYCLE_1)
	s_and_b32 s18, s18, exec_lo
	s_and_not1_saveexec_b32 s19, s19
	s_cbranch_execnz .LBB142_1996
.LBB142_1978:
	s_or_b32 exec_lo, exec_lo, s19
	s_and_saveexec_b32 s19, s18
	s_cbranch_execz .LBB142_1980
.LBB142_1979:
	v_and_b32_e32 v7, 0xffff, v7
	s_and_not1_b32 s9, s9, exec_lo
	s_delay_alu instid0(VALU_DEP_1) | instskip(NEXT) | instid1(VALU_DEP_1)
	v_and_b32_e32 v10, 7, v7
	v_clz_i32_u32_e32 v11, v10
	s_delay_alu instid0(VALU_DEP_1) | instskip(NEXT) | instid1(VALU_DEP_1)
	v_min_u32_e32 v11, 32, v11
	v_subrev_nc_u32_e32 v12, 28, v11
	v_sub_nc_u32_e32 v11, 29, v11
	s_delay_alu instid0(VALU_DEP_2) | instskip(SKIP_1) | instid1(VALU_DEP_1)
	v_lshlrev_b32_e32 v12, v12, v7
	v_bfe_u32 v7, v7, 3, 4
	v_cmp_eq_u32_e32 vcc_lo, 0, v7
	s_delay_alu instid0(VALU_DEP_3) | instskip(NEXT) | instid1(VALU_DEP_1)
	v_dual_cndmask_b32 v7, v7, v11 :: v_dual_and_b32 v12, 7, v12
	v_cndmask_b32_e32 v10, v10, v12, vcc_lo
	s_delay_alu instid0(VALU_DEP_2) | instskip(NEXT) | instid1(VALU_DEP_2)
	v_lshl_add_u32 v7, v7, 23, 0x3b800000
	v_lshlrev_b32_e32 v10, 20, v10
	s_delay_alu instid0(VALU_DEP_1) | instskip(NEXT) | instid1(VALU_DEP_1)
	v_and_or_b32 v7, 0x7f800000, v7, v10
	v_cmp_ne_u32_e32 vcc_lo, 0, v7
	s_and_b32 s18, vcc_lo, exec_lo
	s_delay_alu instid0(SALU_CYCLE_1)
	s_or_b32 s9, s9, s18
.LBB142_1980:
	s_or_b32 exec_lo, exec_lo, s19
.LBB142_1981:
	s_mov_b32 s18, -1
.LBB142_1982:
	s_mov_b32 s19, 0
.LBB142_1983:
	s_delay_alu instid0(SALU_CYCLE_1)
	s_and_b32 vcc_lo, exec_lo, s19
	s_cbranch_vccz .LBB142_2016
; %bb.1984:
	v_cmp_lt_i16_e32 vcc_lo, 22, v5
	s_cbranch_vccz .LBB142_1994
; %bb.1985:
	v_cmp_gt_i16_e32 vcc_lo, 24, v5
	s_cbranch_vccnz .LBB142_1997
; %bb.1986:
	v_cmp_lt_i16_e32 vcc_lo, 24, v5
	s_cbranch_vccz .LBB142_1998
; %bb.1987:
	global_load_u8 v7, v[0:1], off
	s_mov_b32 s18, exec_lo
                                        ; implicit-def: $sgpr9
	s_waitcnt vmcnt(0)
	v_cmpx_lt_i16_e32 0x7f, v7
	s_xor_b32 s18, exec_lo, s18
	s_cbranch_execz .LBB142_2010
; %bb.1988:
	s_mov_b32 s0, -1
	s_mov_b32 s19, exec_lo
                                        ; implicit-def: $sgpr9
	v_cmpx_eq_u16_e32 0x80, v7
; %bb.1989:
	s_mov_b32 s9, -1
	s_xor_b32 s0, exec_lo, -1
; %bb.1990:
	s_or_b32 exec_lo, exec_lo, s19
	s_delay_alu instid0(SALU_CYCLE_1)
	s_and_b32 s0, s0, exec_lo
	s_and_not1_saveexec_b32 s18, s18
	s_cbranch_execnz .LBB142_2011
.LBB142_1991:
	s_or_b32 exec_lo, exec_lo, s18
	s_and_saveexec_b32 s18, s0
	s_cbranch_execz .LBB142_1993
.LBB142_1992:
	v_and_b32_e32 v7, 0xffff, v7
	s_and_not1_b32 s0, s9, exec_lo
	s_delay_alu instid0(VALU_DEP_1) | instskip(NEXT) | instid1(VALU_DEP_1)
	v_and_b32_e32 v10, 3, v7
	v_clz_i32_u32_e32 v11, v10
	s_delay_alu instid0(VALU_DEP_1) | instskip(NEXT) | instid1(VALU_DEP_1)
	v_min_u32_e32 v11, 32, v11
	v_subrev_nc_u32_e32 v12, 29, v11
	v_sub_nc_u32_e32 v11, 30, v11
	s_delay_alu instid0(VALU_DEP_2) | instskip(SKIP_1) | instid1(VALU_DEP_1)
	v_lshlrev_b32_e32 v12, v12, v7
	v_bfe_u32 v7, v7, 2, 5
	v_cmp_eq_u32_e32 vcc_lo, 0, v7
	s_delay_alu instid0(VALU_DEP_3) | instskip(NEXT) | instid1(VALU_DEP_1)
	v_dual_cndmask_b32 v7, v7, v11 :: v_dual_and_b32 v12, 3, v12
	v_cndmask_b32_e32 v10, v10, v12, vcc_lo
	s_delay_alu instid0(VALU_DEP_2) | instskip(NEXT) | instid1(VALU_DEP_2)
	v_lshl_add_u32 v7, v7, 23, 0x37800000
	v_lshlrev_b32_e32 v10, 21, v10
	s_delay_alu instid0(VALU_DEP_1) | instskip(NEXT) | instid1(VALU_DEP_1)
	v_and_or_b32 v7, 0x7f800000, v7, v10
	v_cmp_ne_u32_e32 vcc_lo, 0, v7
	s_and_b32 s9, vcc_lo, exec_lo
	s_delay_alu instid0(SALU_CYCLE_1)
	s_or_b32 s9, s0, s9
.LBB142_1993:
	s_or_b32 exec_lo, exec_lo, s18
	s_mov_b32 s0, 0
	s_branch .LBB142_1999
.LBB142_1994:
	s_mov_b32 s0, -1
                                        ; implicit-def: $sgpr9
	s_branch .LBB142_2005
.LBB142_1995:
	s_and_not1_saveexec_b32 s19, s19
	s_cbranch_execz .LBB142_1978
.LBB142_1996:
	v_cmp_ne_u16_e32 vcc_lo, 0, v7
	s_and_not1_b32 s18, s18, exec_lo
	s_and_not1_b32 s9, s9, exec_lo
	s_and_b32 s20, vcc_lo, exec_lo
	s_delay_alu instid0(SALU_CYCLE_1)
	s_or_b32 s18, s18, s20
	s_or_b32 exec_lo, exec_lo, s19
	s_and_saveexec_b32 s19, s18
	s_cbranch_execnz .LBB142_1979
	s_branch .LBB142_1980
.LBB142_1997:
	s_mov_b32 s0, -1
                                        ; implicit-def: $sgpr9
	s_branch .LBB142_2002
.LBB142_1998:
	s_mov_b32 s0, -1
                                        ; implicit-def: $sgpr9
.LBB142_1999:
	s_delay_alu instid0(SALU_CYCLE_1)
	s_and_b32 vcc_lo, exec_lo, s0
	s_cbranch_vccz .LBB142_2001
; %bb.2000:
	global_load_u8 v7, v[0:1], off
	s_and_not1_b32 s9, s9, exec_lo
	s_waitcnt vmcnt(0)
	v_lshlrev_b32_e32 v7, 24, v7
	s_delay_alu instid0(VALU_DEP_1) | instskip(NEXT) | instid1(VALU_DEP_1)
	v_and_b32_e32 v7, 0x7f000000, v7
	v_clz_i32_u32_e32 v10, v7
	v_add_nc_u32_e32 v12, 0x1000000, v7
	v_cmp_ne_u32_e32 vcc_lo, 0, v7
	s_delay_alu instid0(VALU_DEP_3) | instskip(NEXT) | instid1(VALU_DEP_3)
	v_min_u32_e32 v10, 32, v10
	v_ashrrev_i32_e32 v12, 8, v12
	s_delay_alu instid0(VALU_DEP_2) | instskip(NEXT) | instid1(VALU_DEP_1)
	v_sub_nc_u32_e64 v10, v10, 4 clamp
	v_lshlrev_b32_e32 v11, v10, v7
	v_lshlrev_b32_e32 v10, 23, v10
	s_delay_alu instid0(VALU_DEP_2) | instskip(NEXT) | instid1(VALU_DEP_1)
	v_lshrrev_b32_e32 v11, 4, v11
	v_sub_nc_u32_e32 v10, v11, v10
	v_and_b32_e32 v11, 0x7f800000, v12
	s_delay_alu instid0(VALU_DEP_2) | instskip(NEXT) | instid1(VALU_DEP_1)
	v_add_nc_u32_e32 v10, 0x3c000000, v10
	v_and_or_b32 v10, 0x7ff00000, v10, v11
	s_delay_alu instid0(VALU_DEP_1) | instskip(NEXT) | instid1(VALU_DEP_1)
	v_cmp_ne_u32_e64 s0, 0, v10
	s_and_b32 s0, vcc_lo, s0
	s_delay_alu instid0(SALU_CYCLE_1) | instskip(NEXT) | instid1(SALU_CYCLE_1)
	s_and_b32 s0, s0, exec_lo
	s_or_b32 s9, s9, s0
.LBB142_2001:
	s_mov_b32 s0, 0
.LBB142_2002:
	s_delay_alu instid0(SALU_CYCLE_1)
	s_and_not1_b32 vcc_lo, exec_lo, s0
	s_cbranch_vccnz .LBB142_2004
; %bb.2003:
	global_load_u8 v7, v[0:1], off
	s_and_not1_b32 s0, s9, exec_lo
	s_waitcnt vmcnt(0)
	v_lshlrev_b32_e32 v10, 25, v7
	v_lshlrev_b32_e32 v7, 8, v7
	s_delay_alu instid0(VALU_DEP_2) | instskip(NEXT) | instid1(VALU_DEP_2)
	v_lshrrev_b32_e32 v11, 4, v10
	v_and_or_b32 v7, 0x7f00, v7, 0.5
	v_cmp_gt_u32_e32 vcc_lo, 0x8000000, v10
	s_delay_alu instid0(VALU_DEP_3) | instskip(NEXT) | instid1(VALU_DEP_3)
	v_or_b32_e32 v11, 0x70000000, v11
	v_add_f32_e32 v7, -0.5, v7
	s_delay_alu instid0(VALU_DEP_2) | instskip(NEXT) | instid1(VALU_DEP_1)
	v_mul_f32_e32 v11, 0x7800000, v11
	v_cndmask_b32_e32 v7, v11, v7, vcc_lo
	s_delay_alu instid0(VALU_DEP_1) | instskip(SKIP_1) | instid1(SALU_CYCLE_1)
	v_cmp_neq_f32_e32 vcc_lo, 0, v7
	s_and_b32 s9, vcc_lo, exec_lo
	s_or_b32 s9, s0, s9
.LBB142_2004:
	s_mov_b32 s0, 0
	s_mov_b32 s18, -1
.LBB142_2005:
	s_and_not1_b32 vcc_lo, exec_lo, s0
	s_mov_b32 s0, 0
	s_cbranch_vccnz .LBB142_2016
; %bb.2006:
	v_cmp_lt_i16_e32 vcc_lo, 14, v5
	s_cbranch_vccz .LBB142_2009
; %bb.2007:
	v_cmp_eq_u16_e32 vcc_lo, 15, v5
	s_cbranch_vccz .LBB142_2012
; %bb.2008:
	global_load_u16 v7, v[0:1], off
	s_mov_b32 s10, 0
	s_mov_b32 s18, -1
	s_waitcnt vmcnt(0)
	v_and_b32_e32 v7, 0x7fff, v7
	s_delay_alu instid0(VALU_DEP_1)
	v_cmp_ne_u16_e32 vcc_lo, 0, v7
	s_and_b32 s9, vcc_lo, exec_lo
	s_branch .LBB142_2014
.LBB142_2009:
	s_mov_b32 s0, -1
	s_branch .LBB142_2013
.LBB142_2010:
	s_and_not1_saveexec_b32 s18, s18
	s_cbranch_execz .LBB142_1991
.LBB142_2011:
	v_cmp_ne_u16_e32 vcc_lo, 0, v7
	s_and_not1_b32 s0, s0, exec_lo
	s_and_not1_b32 s9, s9, exec_lo
	s_and_b32 s19, vcc_lo, exec_lo
	s_delay_alu instid0(SALU_CYCLE_1)
	s_or_b32 s0, s0, s19
	s_or_b32 exec_lo, exec_lo, s18
	s_and_saveexec_b32 s18, s0
	s_cbranch_execnz .LBB142_1992
	s_branch .LBB142_1993
.LBB142_2012:
	s_mov_b32 s10, -1
.LBB142_2013:
                                        ; implicit-def: $sgpr9
.LBB142_2014:
	s_and_b32 vcc_lo, exec_lo, s0
	s_mov_b32 s0, 0
	s_cbranch_vccz .LBB142_2016
; %bb.2015:
	v_cmp_ne_u16_e64 s10, 11, v5
	s_mov_b32 s0, -1
	s_and_not1_b32 s9, s9, exec_lo
.LBB142_2016:
	s_delay_alu instid0(VALU_DEP_1)
	s_and_b32 vcc_lo, exec_lo, s10
	s_cbranch_vccnz .LBB142_2081
; %bb.2017:
	s_and_not1_b32 vcc_lo, exec_lo, s0
	s_cbranch_vccnz .LBB142_2019
.LBB142_2018:
	global_load_u8 v7, v[0:1], off
	s_and_not1_b32 s0, s9, exec_lo
	s_mov_b32 s18, -1
	s_waitcnt vmcnt(0)
	v_cmp_ne_u16_e32 vcc_lo, 0, v7
	s_and_b32 s9, vcc_lo, exec_lo
	s_delay_alu instid0(SALU_CYCLE_1)
	s_or_b32 s9, s0, s9
.LBB142_2019:
	s_mov_b32 s0, 0
.LBB142_2020:
	s_delay_alu instid0(SALU_CYCLE_1)
	s_and_b32 vcc_lo, exec_lo, s0
	s_cbranch_vccz .LBB142_2069
; %bb.2021:
	v_cmp_gt_i16_e32 vcc_lo, 5, v5
	s_cbranch_vccnz .LBB142_2026
; %bb.2022:
	v_cmp_gt_i16_e32 vcc_lo, 8, v5
	s_cbranch_vccnz .LBB142_2027
	;; [unrolled: 3-line block ×3, first 2 shown]
; %bb.2024:
	v_cmp_lt_i16_e32 vcc_lo, 9, v5
	s_cbranch_vccz .LBB142_2029
; %bb.2025:
	global_load_b128 v[10:13], v[0:1], off
	s_waitcnt vmcnt(0)
	v_cmp_neq_f64_e32 vcc_lo, 0, v[10:11]
	v_cmp_neq_f64_e64 s0, 0, v[12:13]
	s_delay_alu instid0(VALU_DEP_1)
	s_or_b32 s9, vcc_lo, s0
	s_mov_b32 s0, 0
	s_and_b32 s9, s9, exec_lo
	s_branch .LBB142_2030
.LBB142_2026:
	s_mov_b32 s0, -1
                                        ; implicit-def: $sgpr9
	s_branch .LBB142_2048
.LBB142_2027:
	s_mov_b32 s0, -1
                                        ; implicit-def: $sgpr9
	s_branch .LBB142_2036
.LBB142_2028:
	s_mov_b32 s0, -1
                                        ; implicit-def: $sgpr9
	s_branch .LBB142_2033
.LBB142_2029:
	s_mov_b32 s0, -1
                                        ; implicit-def: $sgpr9
.LBB142_2030:
	s_delay_alu instid0(SALU_CYCLE_1)
	s_and_not1_b32 vcc_lo, exec_lo, s0
	s_cbranch_vccnz .LBB142_2032
; %bb.2031:
	global_load_b64 v[10:11], v[0:1], off
	s_and_not1_b32 s0, s9, exec_lo
	s_waitcnt vmcnt(0)
	v_or_b32_e32 v7, v10, v11
	s_delay_alu instid0(VALU_DEP_1) | instskip(NEXT) | instid1(VALU_DEP_1)
	v_and_b32_e32 v7, 0x7fffffff, v7
	v_cmp_ne_u32_e32 vcc_lo, 0, v7
	s_and_b32 s9, vcc_lo, exec_lo
	s_delay_alu instid0(SALU_CYCLE_1)
	s_or_b32 s9, s0, s9
.LBB142_2032:
	s_mov_b32 s0, 0
.LBB142_2033:
	s_delay_alu instid0(SALU_CYCLE_1)
	s_and_not1_b32 vcc_lo, exec_lo, s0
	s_cbranch_vccnz .LBB142_2035
; %bb.2034:
	global_load_b32 v7, v[0:1], off
	s_and_not1_b32 s0, s9, exec_lo
	s_waitcnt vmcnt(0)
	v_and_b32_e32 v7, 0x7fff7fff, v7
	s_delay_alu instid0(VALU_DEP_1) | instskip(SKIP_1) | instid1(SALU_CYCLE_1)
	v_cmp_ne_u32_e32 vcc_lo, 0, v7
	s_and_b32 s9, vcc_lo, exec_lo
	s_or_b32 s9, s0, s9
.LBB142_2035:
	s_mov_b32 s0, 0
.LBB142_2036:
	s_delay_alu instid0(SALU_CYCLE_1)
	s_and_not1_b32 vcc_lo, exec_lo, s0
	s_cbranch_vccnz .LBB142_2047
; %bb.2037:
	v_cmp_gt_i16_e32 vcc_lo, 6, v5
	s_cbranch_vccnz .LBB142_2040
; %bb.2038:
	v_cmp_lt_i16_e32 vcc_lo, 6, v5
	s_cbranch_vccz .LBB142_2041
; %bb.2039:
	global_load_b64 v[10:11], v[0:1], off
	s_mov_b32 s0, 0
	s_waitcnt vmcnt(0)
	v_cmp_neq_f64_e32 vcc_lo, 0, v[10:11]
	s_and_b32 s9, vcc_lo, exec_lo
	s_branch .LBB142_2042
.LBB142_2040:
	s_mov_b32 s0, -1
                                        ; implicit-def: $sgpr9
	s_branch .LBB142_2045
.LBB142_2041:
	s_mov_b32 s0, -1
                                        ; implicit-def: $sgpr9
.LBB142_2042:
	s_delay_alu instid0(SALU_CYCLE_1)
	s_and_not1_b32 vcc_lo, exec_lo, s0
	s_cbranch_vccnz .LBB142_2044
; %bb.2043:
	global_load_b32 v7, v[0:1], off
	s_and_not1_b32 s0, s9, exec_lo
	s_waitcnt vmcnt(0)
	v_cmp_neq_f32_e32 vcc_lo, 0, v7
	s_and_b32 s9, vcc_lo, exec_lo
	s_delay_alu instid0(SALU_CYCLE_1)
	s_or_b32 s9, s0, s9
.LBB142_2044:
	s_mov_b32 s0, 0
.LBB142_2045:
	s_delay_alu instid0(SALU_CYCLE_1)
	s_and_not1_b32 vcc_lo, exec_lo, s0
	s_cbranch_vccnz .LBB142_2047
; %bb.2046:
	global_load_u16 v7, v[0:1], off
	s_and_not1_b32 s0, s9, exec_lo
	s_waitcnt vmcnt(0)
	v_and_b32_e32 v7, 0x7fff, v7
	s_delay_alu instid0(VALU_DEP_1) | instskip(SKIP_1) | instid1(SALU_CYCLE_1)
	v_cmp_ne_u16_e32 vcc_lo, 0, v7
	s_and_b32 s9, vcc_lo, exec_lo
	s_or_b32 s9, s0, s9
.LBB142_2047:
	s_mov_b32 s0, 0
.LBB142_2048:
	s_delay_alu instid0(SALU_CYCLE_1)
	s_and_not1_b32 vcc_lo, exec_lo, s0
	s_cbranch_vccnz .LBB142_2068
; %bb.2049:
	v_cmp_gt_i16_e32 vcc_lo, 2, v5
	s_cbranch_vccnz .LBB142_2053
; %bb.2050:
	v_cmp_gt_i16_e32 vcc_lo, 3, v5
	s_cbranch_vccnz .LBB142_2054
; %bb.2051:
	v_cmp_lt_i16_e32 vcc_lo, 3, v5
	s_cbranch_vccz .LBB142_2055
; %bb.2052:
	global_load_b64 v[10:11], v[0:1], off
	s_mov_b32 s0, 0
	s_waitcnt vmcnt(0)
	v_cmp_ne_u64_e32 vcc_lo, 0, v[10:11]
	s_and_b32 s9, vcc_lo, exec_lo
	s_branch .LBB142_2056
.LBB142_2053:
	s_mov_b32 s0, -1
                                        ; implicit-def: $sgpr9
	s_branch .LBB142_2062
.LBB142_2054:
	s_mov_b32 s0, -1
                                        ; implicit-def: $sgpr9
	s_branch .LBB142_2059
.LBB142_2055:
	s_mov_b32 s0, -1
                                        ; implicit-def: $sgpr9
.LBB142_2056:
	s_delay_alu instid0(SALU_CYCLE_1)
	s_and_not1_b32 vcc_lo, exec_lo, s0
	s_cbranch_vccnz .LBB142_2058
; %bb.2057:
	global_load_b32 v7, v[0:1], off
	s_and_not1_b32 s0, s9, exec_lo
	s_waitcnt vmcnt(0)
	v_cmp_ne_u32_e32 vcc_lo, 0, v7
	s_and_b32 s9, vcc_lo, exec_lo
	s_delay_alu instid0(SALU_CYCLE_1)
	s_or_b32 s9, s0, s9
.LBB142_2058:
	s_mov_b32 s0, 0
.LBB142_2059:
	s_delay_alu instid0(SALU_CYCLE_1)
	s_and_not1_b32 vcc_lo, exec_lo, s0
	s_cbranch_vccnz .LBB142_2061
; %bb.2060:
	global_load_u16 v7, v[0:1], off
	s_and_not1_b32 s0, s9, exec_lo
	s_waitcnt vmcnt(0)
	v_cmp_ne_u16_e32 vcc_lo, 0, v7
	s_and_b32 s9, vcc_lo, exec_lo
	s_delay_alu instid0(SALU_CYCLE_1)
	s_or_b32 s9, s0, s9
.LBB142_2061:
	s_mov_b32 s0, 0
.LBB142_2062:
	s_delay_alu instid0(SALU_CYCLE_1)
	s_and_not1_b32 vcc_lo, exec_lo, s0
	s_cbranch_vccnz .LBB142_2068
; %bb.2063:
	v_cmp_lt_i16_e32 vcc_lo, 0, v5
	s_mov_b32 s0, 0
	s_cbranch_vccz .LBB142_2065
; %bb.2064:
	global_load_u8 v7, v[0:1], off
	s_waitcnt vmcnt(0)
	v_cmp_ne_u16_e32 vcc_lo, 0, v7
	s_and_b32 s9, vcc_lo, exec_lo
	s_branch .LBB142_2066
.LBB142_2065:
	s_mov_b32 s0, -1
                                        ; implicit-def: $sgpr9
.LBB142_2066:
	s_delay_alu instid0(SALU_CYCLE_1)
	s_and_not1_b32 vcc_lo, exec_lo, s0
	s_cbranch_vccnz .LBB142_2068
; %bb.2067:
	global_load_u8 v0, v[0:1], off
	s_and_not1_b32 s0, s9, exec_lo
	s_waitcnt vmcnt(0)
	v_cmp_ne_u16_e32 vcc_lo, 0, v0
	s_and_b32 s9, vcc_lo, exec_lo
	s_delay_alu instid0(SALU_CYCLE_1)
	s_or_b32 s9, s0, s9
.LBB142_2068:
	s_mov_b32 s18, -1
.LBB142_2069:
	s_delay_alu instid0(SALU_CYCLE_1)
	s_and_not1_b32 vcc_lo, exec_lo, s18
	s_cbranch_vccnz .LBB142_3037
; %bb.2070:
	v_add_nc_u32_e32 v8, s14, v8
	v_cmp_gt_i16_e32 vcc_lo, 11, v4
	s_delay_alu instid0(VALU_DEP_2) | instskip(SKIP_1) | instid1(VALU_DEP_1)
	v_ashrrev_i32_e32 v1, 31, v8
	v_add_co_u32 v0, s0, s6, v8
	v_add_co_ci_u32_e64 v1, s0, s7, v1, s0
	s_cbranch_vccnz .LBB142_2077
; %bb.2071:
	v_cmp_lt_i16_e32 vcc_lo, 25, v4
	s_mov_b32 s10, 0
	s_cbranch_vccz .LBB142_2078
; %bb.2072:
	v_cmp_lt_i16_e32 vcc_lo, 28, v4
	s_cbranch_vccz .LBB142_2079
; %bb.2073:
	v_cmp_lt_i16_e32 vcc_lo, 43, v4
	;; [unrolled: 3-line block ×3, first 2 shown]
	s_cbranch_vccz .LBB142_2083
; %bb.2075:
	v_cmp_eq_u16_e32 vcc_lo, 46, v4
	s_mov_b32 s19, 0
	s_cbranch_vccz .LBB142_2086
; %bb.2076:
	global_load_b32 v7, v[0:1], off
	s_mov_b32 s0, 0
	s_mov_b32 s18, -1
	s_branch .LBB142_2088
.LBB142_2077:
	s_mov_b32 s0, -1
	s_mov_b32 s18, 0
                                        ; implicit-def: $vgpr7
	s_branch .LBB142_2154
.LBB142_2078:
	s_mov_b32 s19, -1
	s_mov_b32 s18, 0
	s_mov_b32 s0, 0
                                        ; implicit-def: $vgpr7
	s_branch .LBB142_2117
.LBB142_2079:
	s_mov_b32 s19, -1
	s_mov_b32 s18, 0
	s_mov_b32 s0, 0
                                        ; implicit-def: $vgpr7
	s_branch .LBB142_2098
.LBB142_2080:
	s_mov_b32 s19, -1
	s_mov_b32 s18, 0
	s_mov_b32 s0, 0
                                        ; implicit-def: $vgpr7
	s_branch .LBB142_2093
.LBB142_2081:
	s_cbranch_execnz .LBB142_2084
; %bb.2082:
	s_mov_b32 s18, 0
	s_and_not1_b32 s9, s9, exec_lo
	s_or_b32 s13, s13, exec_lo
	s_cbranch_execz .LBB142_2018
	s_branch .LBB142_2019
.LBB142_2083:
	s_mov_b32 s19, -1
	s_mov_b32 s18, 0
	s_mov_b32 s0, 0
	s_branch .LBB142_2087
.LBB142_2084:
	s_trap 2
	s_sendmsg_rtn_b32 s0, sendmsg(MSG_RTN_GET_DOORBELL)
	s_mov_b32 ttmp2, m0
	s_waitcnt lgkmcnt(0)
	s_and_b32 s0, s0, 0x3ff
	s_delay_alu instid0(SALU_CYCLE_1) | instskip(NEXT) | instid1(SALU_CYCLE_1)
	s_bitset1_b32 s0, 10
	s_mov_b32 m0, s0
	s_sendmsg sendmsg(MSG_INTERRUPT)
	s_mov_b32 m0, ttmp2
.LBB142_2085:                           ; =>This Inner Loop Header: Depth=1
	s_sethalt 5
	s_branch .LBB142_2085
.LBB142_2086:
	s_mov_b32 s0, -1
	s_mov_b32 s18, 0
.LBB142_2087:
                                        ; implicit-def: $vgpr7
.LBB142_2088:
	s_and_b32 vcc_lo, exec_lo, s19
	s_cbranch_vccz .LBB142_2092
; %bb.2089:
	v_cmp_eq_u16_e32 vcc_lo, 44, v4
	s_cbranch_vccz .LBB142_2091
; %bb.2090:
	global_load_u8 v7, v[0:1], off
	s_mov_b32 s0, 0
	s_mov_b32 s18, -1
	s_waitcnt vmcnt(0)
	v_lshlrev_b32_e32 v10, 23, v7
	v_cmp_ne_u32_e32 vcc_lo, 0xff, v7
	s_delay_alu instid0(VALU_DEP_2) | instskip(SKIP_1) | instid1(VALU_DEP_2)
	v_cndmask_b32_e32 v10, 0x7f800001, v10, vcc_lo
	v_cmp_ne_u32_e32 vcc_lo, 0, v7
	v_cndmask_b32_e32 v7, 0x400000, v10, vcc_lo
	s_delay_alu instid0(VALU_DEP_1) | instskip(SKIP_1) | instid1(VALU_DEP_2)
	v_add_nc_u32_e32 v10, 0x7fff, v7
	v_cmp_o_f32_e32 vcc_lo, v7, v7
	v_lshrrev_b32_e32 v10, 16, v10
	s_delay_alu instid0(VALU_DEP_1)
	v_cndmask_b32_e32 v7, 0x7fc0, v10, vcc_lo
	s_branch .LBB142_2092
.LBB142_2091:
	s_mov_b32 s0, -1
                                        ; implicit-def: $vgpr7
.LBB142_2092:
	s_mov_b32 s19, 0
.LBB142_2093:
	s_delay_alu instid0(SALU_CYCLE_1)
	s_and_b32 vcc_lo, exec_lo, s19
	s_cbranch_vccz .LBB142_2097
; %bb.2094:
	v_cmp_eq_u16_e32 vcc_lo, 29, v4
	s_cbranch_vccz .LBB142_2096
; %bb.2095:
	global_load_b64 v[10:11], v[0:1], off
	s_mov_b32 s0, 0
	s_mov_b32 s18, -1
	s_mov_b32 s19, 0
	s_waitcnt vmcnt(0)
	v_clz_i32_u32_e32 v7, v11
	s_delay_alu instid0(VALU_DEP_1) | instskip(NEXT) | instid1(VALU_DEP_1)
	v_min_u32_e32 v7, 32, v7
	v_lshlrev_b64 v[10:11], v7, v[10:11]
	v_sub_nc_u32_e32 v7, 32, v7
	s_delay_alu instid0(VALU_DEP_2) | instskip(NEXT) | instid1(VALU_DEP_1)
	v_min_u32_e32 v10, 1, v10
	v_or_b32_e32 v10, v11, v10
	s_delay_alu instid0(VALU_DEP_1) | instskip(NEXT) | instid1(VALU_DEP_1)
	v_cvt_f32_u32_e32 v10, v10
	v_ldexp_f32 v7, v10, v7
	s_delay_alu instid0(VALU_DEP_1) | instskip(NEXT) | instid1(VALU_DEP_1)
	v_bfe_u32 v10, v7, 16, 1
	v_add3_u32 v7, v7, v10, 0x7fff
	s_delay_alu instid0(VALU_DEP_1)
	v_lshrrev_b32_e32 v7, 16, v7
	s_branch .LBB142_2098
.LBB142_2096:
	s_mov_b32 s0, -1
                                        ; implicit-def: $vgpr7
.LBB142_2097:
	s_mov_b32 s19, 0
.LBB142_2098:
	s_delay_alu instid0(SALU_CYCLE_1)
	s_and_b32 vcc_lo, exec_lo, s19
	s_cbranch_vccz .LBB142_2116
; %bb.2099:
	v_cmp_gt_i16_e32 vcc_lo, 27, v4
	s_cbranch_vccnz .LBB142_2102
; %bb.2100:
	v_cmp_lt_i16_e32 vcc_lo, 27, v4
	s_cbranch_vccz .LBB142_2103
; %bb.2101:
	global_load_b32 v7, v[0:1], off
	s_mov_b32 s18, 0
	s_waitcnt vmcnt(0)
	v_cvt_f32_u32_e32 v7, v7
	s_delay_alu instid0(VALU_DEP_1) | instskip(NEXT) | instid1(VALU_DEP_1)
	v_bfe_u32 v10, v7, 16, 1
	v_add3_u32 v7, v7, v10, 0x7fff
	s_delay_alu instid0(VALU_DEP_1)
	v_lshrrev_b32_e32 v7, 16, v7
	s_branch .LBB142_2104
.LBB142_2102:
	s_mov_b32 s18, -1
                                        ; implicit-def: $vgpr7
	s_branch .LBB142_2107
.LBB142_2103:
	s_mov_b32 s18, -1
                                        ; implicit-def: $vgpr7
.LBB142_2104:
	s_delay_alu instid0(SALU_CYCLE_1)
	s_and_not1_b32 vcc_lo, exec_lo, s18
	s_cbranch_vccnz .LBB142_2106
; %bb.2105:
	global_load_u16 v7, v[0:1], off
	s_waitcnt vmcnt(0)
	v_cvt_f32_u32_e32 v7, v7
	s_delay_alu instid0(VALU_DEP_1) | instskip(NEXT) | instid1(VALU_DEP_1)
	v_bfe_u32 v10, v7, 16, 1
	v_add3_u32 v7, v7, v10, 0x7fff
	s_delay_alu instid0(VALU_DEP_1)
	v_lshrrev_b32_e32 v7, 16, v7
.LBB142_2106:
	s_mov_b32 s18, 0
.LBB142_2107:
	s_delay_alu instid0(SALU_CYCLE_1)
	s_and_not1_b32 vcc_lo, exec_lo, s18
	s_cbranch_vccnz .LBB142_2115
; %bb.2108:
	global_load_u8 v7, v[0:1], off
	s_mov_b32 s18, 0
	s_mov_b32 s20, exec_lo
                                        ; implicit-def: $sgpr19
	s_waitcnt vmcnt(0)
	v_cmpx_lt_i16_e32 0x7f, v7
	s_xor_b32 s20, exec_lo, s20
	s_cbranch_execz .LBB142_2129
; %bb.2109:
	s_mov_b32 s18, -1
	s_mov_b32 s21, exec_lo
                                        ; implicit-def: $sgpr19
	v_cmpx_eq_u16_e32 0x80, v7
; %bb.2110:
	s_mov_b32 s19, 0x7f800001
	s_xor_b32 s18, exec_lo, -1
; %bb.2111:
	s_or_b32 exec_lo, exec_lo, s21
	s_delay_alu instid0(SALU_CYCLE_1)
	s_and_b32 s18, s18, exec_lo
	s_or_saveexec_b32 s20, s20
	v_mov_b32_e32 v10, s19
	s_xor_b32 exec_lo, exec_lo, s20
	s_cbranch_execnz .LBB142_2130
.LBB142_2112:
	s_or_b32 exec_lo, exec_lo, s20
	s_and_saveexec_b32 s19, s18
	s_cbranch_execz .LBB142_2114
.LBB142_2113:
	v_and_b32_e32 v10, 0xffff, v7
	v_lshlrev_b32_e32 v7, 24, v7
	s_delay_alu instid0(VALU_DEP_2) | instskip(NEXT) | instid1(VALU_DEP_2)
	v_and_b32_e32 v11, 7, v10
	v_and_b32_e32 v7, 0x80000000, v7
	s_delay_alu instid0(VALU_DEP_2) | instskip(NEXT) | instid1(VALU_DEP_1)
	v_clz_i32_u32_e32 v12, v11
	v_min_u32_e32 v12, 32, v12
	s_delay_alu instid0(VALU_DEP_1) | instskip(SKIP_1) | instid1(VALU_DEP_2)
	v_subrev_nc_u32_e32 v13, 28, v12
	v_sub_nc_u32_e32 v12, 29, v12
	v_lshlrev_b32_e32 v13, v13, v10
	v_bfe_u32 v10, v10, 3, 4
	s_delay_alu instid0(VALU_DEP_2) | instskip(NEXT) | instid1(VALU_DEP_2)
	v_and_b32_e32 v13, 7, v13
	v_cmp_eq_u32_e32 vcc_lo, 0, v10
	s_delay_alu instid0(VALU_DEP_2) | instskip(NEXT) | instid1(VALU_DEP_1)
	v_dual_cndmask_b32 v10, v10, v12 :: v_dual_cndmask_b32 v11, v11, v13
	v_lshl_add_u32 v10, v10, 23, 0x3b800000
	s_delay_alu instid0(VALU_DEP_2) | instskip(NEXT) | instid1(VALU_DEP_1)
	v_lshlrev_b32_e32 v11, 20, v11
	v_or3_b32 v10, v7, v10, v11
.LBB142_2114:
	s_or_b32 exec_lo, exec_lo, s19
	s_delay_alu instid0(VALU_DEP_1) | instskip(SKIP_1) | instid1(VALU_DEP_2)
	v_bfe_u32 v7, v10, 16, 1
	v_cmp_o_f32_e32 vcc_lo, v10, v10
	v_add3_u32 v7, v10, v7, 0x7fff
	s_delay_alu instid0(VALU_DEP_1) | instskip(NEXT) | instid1(VALU_DEP_1)
	v_lshrrev_b32_e32 v7, 16, v7
	v_cndmask_b32_e32 v7, 0x7fc0, v7, vcc_lo
.LBB142_2115:
	s_mov_b32 s18, -1
.LBB142_2116:
	s_mov_b32 s19, 0
.LBB142_2117:
	s_delay_alu instid0(SALU_CYCLE_1)
	s_and_b32 vcc_lo, exec_lo, s19
	s_cbranch_vccz .LBB142_2150
; %bb.2118:
	v_cmp_lt_i16_e32 vcc_lo, 22, v4
	s_cbranch_vccz .LBB142_2128
; %bb.2119:
	v_cmp_gt_i16_e32 vcc_lo, 24, v4
	s_cbranch_vccnz .LBB142_2131
; %bb.2120:
	v_cmp_lt_i16_e32 vcc_lo, 24, v4
	s_cbranch_vccz .LBB142_2132
; %bb.2121:
	global_load_u8 v7, v[0:1], off
	s_mov_b32 s19, exec_lo
                                        ; implicit-def: $sgpr18
	s_waitcnt vmcnt(0)
	v_cmpx_lt_i16_e32 0x7f, v7
	s_xor_b32 s19, exec_lo, s19
	s_cbranch_execz .LBB142_2144
; %bb.2122:
	s_mov_b32 s10, -1
	s_mov_b32 s20, exec_lo
                                        ; implicit-def: $sgpr18
	v_cmpx_eq_u16_e32 0x80, v7
; %bb.2123:
	s_mov_b32 s18, 0x7f800001
	s_xor_b32 s10, exec_lo, -1
; %bb.2124:
	s_or_b32 exec_lo, exec_lo, s20
	s_delay_alu instid0(SALU_CYCLE_1)
	s_and_b32 s10, s10, exec_lo
	s_or_saveexec_b32 s19, s19
	v_mov_b32_e32 v10, s18
	s_xor_b32 exec_lo, exec_lo, s19
	s_cbranch_execnz .LBB142_2145
.LBB142_2125:
	s_or_b32 exec_lo, exec_lo, s19
	s_and_saveexec_b32 s18, s10
	s_cbranch_execz .LBB142_2127
.LBB142_2126:
	v_and_b32_e32 v10, 0xffff, v7
	v_lshlrev_b32_e32 v7, 24, v7
	s_delay_alu instid0(VALU_DEP_2) | instskip(NEXT) | instid1(VALU_DEP_2)
	v_and_b32_e32 v11, 3, v10
	v_and_b32_e32 v7, 0x80000000, v7
	s_delay_alu instid0(VALU_DEP_2) | instskip(NEXT) | instid1(VALU_DEP_1)
	v_clz_i32_u32_e32 v12, v11
	v_min_u32_e32 v12, 32, v12
	s_delay_alu instid0(VALU_DEP_1) | instskip(SKIP_1) | instid1(VALU_DEP_2)
	v_subrev_nc_u32_e32 v13, 29, v12
	v_sub_nc_u32_e32 v12, 30, v12
	v_lshlrev_b32_e32 v13, v13, v10
	v_bfe_u32 v10, v10, 2, 5
	s_delay_alu instid0(VALU_DEP_2) | instskip(NEXT) | instid1(VALU_DEP_2)
	v_and_b32_e32 v13, 3, v13
	v_cmp_eq_u32_e32 vcc_lo, 0, v10
	s_delay_alu instid0(VALU_DEP_2) | instskip(NEXT) | instid1(VALU_DEP_1)
	v_dual_cndmask_b32 v10, v10, v12 :: v_dual_cndmask_b32 v11, v11, v13
	v_lshl_add_u32 v10, v10, 23, 0x37800000
	s_delay_alu instid0(VALU_DEP_2) | instskip(NEXT) | instid1(VALU_DEP_1)
	v_lshlrev_b32_e32 v11, 21, v11
	v_or3_b32 v10, v7, v10, v11
.LBB142_2127:
	s_or_b32 exec_lo, exec_lo, s18
	s_delay_alu instid0(VALU_DEP_1) | instskip(SKIP_2) | instid1(VALU_DEP_2)
	v_bfe_u32 v7, v10, 16, 1
	v_cmp_o_f32_e32 vcc_lo, v10, v10
	s_mov_b32 s10, 0
	v_add3_u32 v7, v10, v7, 0x7fff
	s_delay_alu instid0(VALU_DEP_1) | instskip(NEXT) | instid1(VALU_DEP_1)
	v_lshrrev_b32_e32 v7, 16, v7
	v_cndmask_b32_e32 v7, 0x7fc0, v7, vcc_lo
	s_branch .LBB142_2133
.LBB142_2128:
	s_mov_b32 s10, -1
                                        ; implicit-def: $vgpr7
	s_branch .LBB142_2139
.LBB142_2129:
	s_or_saveexec_b32 s20, s20
	v_mov_b32_e32 v10, s19
	s_xor_b32 exec_lo, exec_lo, s20
	s_cbranch_execz .LBB142_2112
.LBB142_2130:
	v_cmp_ne_u16_e32 vcc_lo, 0, v7
	v_mov_b32_e32 v10, 0
	s_and_not1_b32 s18, s18, exec_lo
	s_and_b32 s19, vcc_lo, exec_lo
	s_delay_alu instid0(SALU_CYCLE_1)
	s_or_b32 s18, s18, s19
	s_or_b32 exec_lo, exec_lo, s20
	s_and_saveexec_b32 s19, s18
	s_cbranch_execnz .LBB142_2113
	s_branch .LBB142_2114
.LBB142_2131:
	s_mov_b32 s10, -1
                                        ; implicit-def: $vgpr7
	s_branch .LBB142_2136
.LBB142_2132:
	s_mov_b32 s10, -1
                                        ; implicit-def: $vgpr7
.LBB142_2133:
	s_delay_alu instid0(SALU_CYCLE_1)
	s_and_b32 vcc_lo, exec_lo, s10
	s_cbranch_vccz .LBB142_2135
; %bb.2134:
	global_load_u8 v7, v[0:1], off
	s_waitcnt vmcnt(0)
	v_lshlrev_b32_e32 v7, 24, v7
	s_delay_alu instid0(VALU_DEP_1) | instskip(NEXT) | instid1(VALU_DEP_1)
	v_and_b32_e32 v10, 0x7f000000, v7
	v_clz_i32_u32_e32 v11, v10
	v_cmp_ne_u32_e32 vcc_lo, 0, v10
	v_add_nc_u32_e32 v13, 0x1000000, v10
	s_delay_alu instid0(VALU_DEP_3) | instskip(NEXT) | instid1(VALU_DEP_1)
	v_min_u32_e32 v11, 32, v11
	v_sub_nc_u32_e64 v11, v11, 4 clamp
	s_delay_alu instid0(VALU_DEP_1) | instskip(SKIP_1) | instid1(VALU_DEP_2)
	v_lshlrev_b32_e32 v12, v11, v10
	v_lshlrev_b32_e32 v11, 23, v11
	v_lshrrev_b32_e32 v12, 4, v12
	s_delay_alu instid0(VALU_DEP_1) | instskip(SKIP_1) | instid1(VALU_DEP_2)
	v_sub_nc_u32_e32 v11, v12, v11
	v_ashrrev_i32_e32 v12, 8, v13
	v_add_nc_u32_e32 v11, 0x3c000000, v11
	s_delay_alu instid0(VALU_DEP_1) | instskip(NEXT) | instid1(VALU_DEP_1)
	v_and_or_b32 v11, 0x7f800000, v12, v11
	v_cndmask_b32_e32 v10, 0, v11, vcc_lo
	s_delay_alu instid0(VALU_DEP_1) | instskip(SKIP_1) | instid1(VALU_DEP_2)
	v_and_or_b32 v7, 0x80000000, v7, v10
	v_bfe_u32 v10, v10, 16, 1
	v_cmp_o_f32_e32 vcc_lo, v7, v7
	s_delay_alu instid0(VALU_DEP_2) | instskip(NEXT) | instid1(VALU_DEP_1)
	v_add3_u32 v10, v7, v10, 0x7fff
	v_lshrrev_b32_e32 v10, 16, v10
	s_delay_alu instid0(VALU_DEP_1)
	v_cndmask_b32_e32 v7, 0x7fc0, v10, vcc_lo
.LBB142_2135:
	s_mov_b32 s10, 0
.LBB142_2136:
	s_delay_alu instid0(SALU_CYCLE_1)
	s_and_not1_b32 vcc_lo, exec_lo, s10
	s_cbranch_vccnz .LBB142_2138
; %bb.2137:
	global_load_u8 v7, v[0:1], off
	s_waitcnt vmcnt(0)
	v_lshlrev_b32_e32 v10, 25, v7
	v_lshlrev_b16 v7, 8, v7
	s_delay_alu instid0(VALU_DEP_2) | instskip(NEXT) | instid1(VALU_DEP_2)
	v_lshrrev_b32_e32 v11, 4, v10
	v_and_or_b32 v12, 0x7f00, v7, 0.5
	v_cmp_gt_u32_e32 vcc_lo, 0x8000000, v10
	v_bfe_i32 v7, v7, 0, 16
	s_delay_alu instid0(VALU_DEP_4) | instskip(NEXT) | instid1(VALU_DEP_1)
	v_or_b32_e32 v11, 0x70000000, v11
	v_dual_add_f32 v12, -0.5, v12 :: v_dual_mul_f32 v11, 0x7800000, v11
	s_delay_alu instid0(VALU_DEP_1) | instskip(NEXT) | instid1(VALU_DEP_1)
	v_cndmask_b32_e32 v10, v11, v12, vcc_lo
	v_and_or_b32 v7, 0x80000000, v7, v10
	v_bfe_u32 v10, v10, 16, 1
	s_delay_alu instid0(VALU_DEP_2) | instskip(NEXT) | instid1(VALU_DEP_2)
	v_cmp_o_f32_e32 vcc_lo, v7, v7
	v_add3_u32 v10, v7, v10, 0x7fff
	s_delay_alu instid0(VALU_DEP_1) | instskip(NEXT) | instid1(VALU_DEP_1)
	v_lshrrev_b32_e32 v10, 16, v10
	v_cndmask_b32_e32 v7, 0x7fc0, v10, vcc_lo
.LBB142_2138:
	s_mov_b32 s10, 0
	s_mov_b32 s18, -1
.LBB142_2139:
	s_and_not1_b32 vcc_lo, exec_lo, s10
	s_mov_b32 s10, 0
	s_cbranch_vccnz .LBB142_2150
; %bb.2140:
	v_cmp_lt_i16_e32 vcc_lo, 14, v4
	s_cbranch_vccz .LBB142_2143
; %bb.2141:
	v_cmp_eq_u16_e32 vcc_lo, 15, v4
	s_cbranch_vccz .LBB142_2146
; %bb.2142:
	global_load_u16 v7, v[0:1], off
	s_mov_b32 s0, 0
	s_mov_b32 s18, -1
	s_branch .LBB142_2148
.LBB142_2143:
	s_mov_b32 s10, -1
	s_branch .LBB142_2147
.LBB142_2144:
	s_or_saveexec_b32 s19, s19
	v_mov_b32_e32 v10, s18
	s_xor_b32 exec_lo, exec_lo, s19
	s_cbranch_execz .LBB142_2125
.LBB142_2145:
	v_cmp_ne_u16_e32 vcc_lo, 0, v7
	v_mov_b32_e32 v10, 0
	s_and_not1_b32 s10, s10, exec_lo
	s_and_b32 s18, vcc_lo, exec_lo
	s_delay_alu instid0(SALU_CYCLE_1)
	s_or_b32 s10, s10, s18
	s_or_b32 exec_lo, exec_lo, s19
	s_and_saveexec_b32 s18, s10
	s_cbranch_execnz .LBB142_2126
	s_branch .LBB142_2127
.LBB142_2146:
	s_mov_b32 s0, -1
.LBB142_2147:
                                        ; implicit-def: $vgpr7
.LBB142_2148:
	s_and_b32 vcc_lo, exec_lo, s10
	s_mov_b32 s10, 0
	s_cbranch_vccz .LBB142_2150
; %bb.2149:
	v_cmp_ne_u16_e64 s0, 11, v4
	s_mov_b32 s10, -1
                                        ; implicit-def: $vgpr7
.LBB142_2150:
	s_delay_alu instid0(VALU_DEP_1)
	s_and_b32 vcc_lo, exec_lo, s0
	s_cbranch_vccnz .LBB142_2215
; %bb.2151:
	s_and_not1_b32 vcc_lo, exec_lo, s10
	s_cbranch_vccnz .LBB142_2153
.LBB142_2152:
	global_load_u8 v7, v[0:1], off
	s_mov_b32 s18, -1
	s_waitcnt vmcnt(0)
	v_cmp_ne_u16_e32 vcc_lo, 0, v7
	v_cndmask_b32_e64 v7, 0, 1.0, vcc_lo
	s_delay_alu instid0(VALU_DEP_1)
	v_lshrrev_b32_e32 v7, 16, v7
.LBB142_2153:
	s_mov_b32 s0, 0
.LBB142_2154:
	s_delay_alu instid0(SALU_CYCLE_1)
	s_and_b32 vcc_lo, exec_lo, s0
	s_cbranch_vccz .LBB142_2203
; %bb.2155:
	v_cmp_gt_i16_e32 vcc_lo, 5, v4
	s_cbranch_vccnz .LBB142_2160
; %bb.2156:
	v_cmp_gt_i16_e32 vcc_lo, 8, v4
	s_cbranch_vccnz .LBB142_2161
	;; [unrolled: 3-line block ×3, first 2 shown]
; %bb.2158:
	v_cmp_lt_i16_e32 vcc_lo, 9, v4
	s_cbranch_vccz .LBB142_2163
; %bb.2159:
	global_load_b64 v[10:11], v[0:1], off
	s_mov_b32 s0, 0
	s_waitcnt vmcnt(0)
	v_cvt_f32_f64_e32 v7, v[10:11]
	s_delay_alu instid0(VALU_DEP_1) | instskip(SKIP_1) | instid1(VALU_DEP_2)
	v_bfe_u32 v10, v7, 16, 1
	v_cmp_o_f32_e32 vcc_lo, v7, v7
	v_add3_u32 v10, v7, v10, 0x7fff
	s_delay_alu instid0(VALU_DEP_1) | instskip(NEXT) | instid1(VALU_DEP_1)
	v_lshrrev_b32_e32 v10, 16, v10
	v_cndmask_b32_e32 v7, 0x7fc0, v10, vcc_lo
	s_branch .LBB142_2164
.LBB142_2160:
	s_mov_b32 s0, -1
                                        ; implicit-def: $vgpr7
	s_branch .LBB142_2182
.LBB142_2161:
	s_mov_b32 s0, -1
                                        ; implicit-def: $vgpr7
	s_branch .LBB142_2170
.LBB142_2162:
	s_mov_b32 s0, -1
                                        ; implicit-def: $vgpr7
	s_branch .LBB142_2167
.LBB142_2163:
	s_mov_b32 s0, -1
                                        ; implicit-def: $vgpr7
.LBB142_2164:
	s_delay_alu instid0(SALU_CYCLE_1)
	s_and_not1_b32 vcc_lo, exec_lo, s0
	s_cbranch_vccnz .LBB142_2166
; %bb.2165:
	global_load_b32 v7, v[0:1], off
	s_waitcnt vmcnt(0)
	v_bfe_u32 v10, v7, 16, 1
	v_cmp_o_f32_e32 vcc_lo, v7, v7
	s_delay_alu instid0(VALU_DEP_2) | instskip(NEXT) | instid1(VALU_DEP_1)
	v_add3_u32 v10, v7, v10, 0x7fff
	v_lshrrev_b32_e32 v10, 16, v10
	s_delay_alu instid0(VALU_DEP_1)
	v_cndmask_b32_e32 v7, 0x7fc0, v10, vcc_lo
.LBB142_2166:
	s_mov_b32 s0, 0
.LBB142_2167:
	s_delay_alu instid0(SALU_CYCLE_1)
	s_and_not1_b32 vcc_lo, exec_lo, s0
	s_cbranch_vccnz .LBB142_2169
; %bb.2168:
	global_load_b32 v7, v[0:1], off
	s_waitcnt vmcnt(0)
	v_cvt_f32_f16_e32 v10, v7
	v_cmp_o_f16_e32 vcc_lo, v7, v7
	s_delay_alu instid0(VALU_DEP_2) | instskip(NEXT) | instid1(VALU_DEP_1)
	v_bfe_u32 v11, v10, 16, 1
	v_add3_u32 v10, v10, v11, 0x7fff
	s_delay_alu instid0(VALU_DEP_1) | instskip(NEXT) | instid1(VALU_DEP_1)
	v_lshrrev_b32_e32 v10, 16, v10
	v_cndmask_b32_e32 v7, 0x7fc0, v10, vcc_lo
.LBB142_2169:
	s_mov_b32 s0, 0
.LBB142_2170:
	s_delay_alu instid0(SALU_CYCLE_1)
	s_and_not1_b32 vcc_lo, exec_lo, s0
	s_cbranch_vccnz .LBB142_2181
; %bb.2171:
	v_cmp_gt_i16_e32 vcc_lo, 6, v4
	s_cbranch_vccnz .LBB142_2174
; %bb.2172:
	v_cmp_lt_i16_e32 vcc_lo, 6, v4
	s_cbranch_vccz .LBB142_2175
; %bb.2173:
	global_load_b64 v[10:11], v[0:1], off
	s_mov_b32 s0, 0
	s_waitcnt vmcnt(0)
	v_cvt_f32_f64_e32 v7, v[10:11]
	s_delay_alu instid0(VALU_DEP_1) | instskip(SKIP_1) | instid1(VALU_DEP_2)
	v_bfe_u32 v10, v7, 16, 1
	v_cmp_o_f32_e32 vcc_lo, v7, v7
	v_add3_u32 v10, v7, v10, 0x7fff
	s_delay_alu instid0(VALU_DEP_1) | instskip(NEXT) | instid1(VALU_DEP_1)
	v_lshrrev_b32_e32 v10, 16, v10
	v_cndmask_b32_e32 v7, 0x7fc0, v10, vcc_lo
	s_branch .LBB142_2176
.LBB142_2174:
	s_mov_b32 s0, -1
                                        ; implicit-def: $vgpr7
	s_branch .LBB142_2179
.LBB142_2175:
	s_mov_b32 s0, -1
                                        ; implicit-def: $vgpr7
.LBB142_2176:
	s_delay_alu instid0(SALU_CYCLE_1)
	s_and_not1_b32 vcc_lo, exec_lo, s0
	s_cbranch_vccnz .LBB142_2178
; %bb.2177:
	global_load_b32 v7, v[0:1], off
	s_waitcnt vmcnt(0)
	v_bfe_u32 v10, v7, 16, 1
	v_cmp_o_f32_e32 vcc_lo, v7, v7
	s_delay_alu instid0(VALU_DEP_2) | instskip(NEXT) | instid1(VALU_DEP_1)
	v_add3_u32 v10, v7, v10, 0x7fff
	v_lshrrev_b32_e32 v10, 16, v10
	s_delay_alu instid0(VALU_DEP_1)
	v_cndmask_b32_e32 v7, 0x7fc0, v10, vcc_lo
.LBB142_2178:
	s_mov_b32 s0, 0
.LBB142_2179:
	s_delay_alu instid0(SALU_CYCLE_1)
	s_and_not1_b32 vcc_lo, exec_lo, s0
	s_cbranch_vccnz .LBB142_2181
; %bb.2180:
	global_load_u16 v7, v[0:1], off
	s_waitcnt vmcnt(0)
	v_cvt_f32_f16_e32 v10, v7
	v_cmp_o_f16_e32 vcc_lo, v7, v7
	s_delay_alu instid0(VALU_DEP_2) | instskip(NEXT) | instid1(VALU_DEP_1)
	v_bfe_u32 v11, v10, 16, 1
	v_add3_u32 v10, v10, v11, 0x7fff
	s_delay_alu instid0(VALU_DEP_1) | instskip(NEXT) | instid1(VALU_DEP_1)
	v_lshrrev_b32_e32 v10, 16, v10
	v_cndmask_b32_e32 v7, 0x7fc0, v10, vcc_lo
.LBB142_2181:
	s_mov_b32 s0, 0
.LBB142_2182:
	s_delay_alu instid0(SALU_CYCLE_1)
	s_and_not1_b32 vcc_lo, exec_lo, s0
	s_cbranch_vccnz .LBB142_2202
; %bb.2183:
	v_cmp_gt_i16_e32 vcc_lo, 2, v4
	s_cbranch_vccnz .LBB142_2187
; %bb.2184:
	v_cmp_gt_i16_e32 vcc_lo, 3, v4
	s_cbranch_vccnz .LBB142_2188
; %bb.2185:
	v_cmp_lt_i16_e32 vcc_lo, 3, v4
	s_cbranch_vccz .LBB142_2189
; %bb.2186:
	global_load_b64 v[10:11], v[0:1], off
	s_mov_b32 s0, 0
	s_waitcnt vmcnt(0)
	v_xor_b32_e32 v7, v10, v11
	v_cls_i32_e32 v12, v11
	s_delay_alu instid0(VALU_DEP_2) | instskip(NEXT) | instid1(VALU_DEP_2)
	v_ashrrev_i32_e32 v7, 31, v7
	v_add_nc_u32_e32 v12, -1, v12
	s_delay_alu instid0(VALU_DEP_2) | instskip(NEXT) | instid1(VALU_DEP_1)
	v_add_nc_u32_e32 v7, 32, v7
	v_min_u32_e32 v7, v12, v7
	s_delay_alu instid0(VALU_DEP_1) | instskip(SKIP_1) | instid1(VALU_DEP_2)
	v_lshlrev_b64 v[10:11], v7, v[10:11]
	v_sub_nc_u32_e32 v7, 32, v7
	v_min_u32_e32 v10, 1, v10
	s_delay_alu instid0(VALU_DEP_1) | instskip(NEXT) | instid1(VALU_DEP_1)
	v_or_b32_e32 v10, v11, v10
	v_cvt_f32_i32_e32 v10, v10
	s_delay_alu instid0(VALU_DEP_1) | instskip(NEXT) | instid1(VALU_DEP_1)
	v_ldexp_f32 v7, v10, v7
	v_bfe_u32 v10, v7, 16, 1
	s_delay_alu instid0(VALU_DEP_1) | instskip(NEXT) | instid1(VALU_DEP_1)
	v_add3_u32 v7, v7, v10, 0x7fff
	v_lshrrev_b32_e32 v7, 16, v7
	s_branch .LBB142_2190
.LBB142_2187:
	s_mov_b32 s0, -1
                                        ; implicit-def: $vgpr7
	s_branch .LBB142_2196
.LBB142_2188:
	s_mov_b32 s0, -1
                                        ; implicit-def: $vgpr7
	s_branch .LBB142_2193
.LBB142_2189:
	s_mov_b32 s0, -1
                                        ; implicit-def: $vgpr7
.LBB142_2190:
	s_delay_alu instid0(SALU_CYCLE_1)
	s_and_not1_b32 vcc_lo, exec_lo, s0
	s_cbranch_vccnz .LBB142_2192
; %bb.2191:
	global_load_b32 v7, v[0:1], off
	s_waitcnt vmcnt(0)
	v_cvt_f32_i32_e32 v7, v7
	s_delay_alu instid0(VALU_DEP_1) | instskip(NEXT) | instid1(VALU_DEP_1)
	v_bfe_u32 v10, v7, 16, 1
	v_add3_u32 v7, v7, v10, 0x7fff
	s_delay_alu instid0(VALU_DEP_1)
	v_lshrrev_b32_e32 v7, 16, v7
.LBB142_2192:
	s_mov_b32 s0, 0
.LBB142_2193:
	s_delay_alu instid0(SALU_CYCLE_1)
	s_and_not1_b32 vcc_lo, exec_lo, s0
	s_cbranch_vccnz .LBB142_2195
; %bb.2194:
	global_load_i16 v7, v[0:1], off
	s_waitcnt vmcnt(0)
	v_cvt_f32_i32_e32 v7, v7
	s_delay_alu instid0(VALU_DEP_1) | instskip(NEXT) | instid1(VALU_DEP_1)
	v_bfe_u32 v10, v7, 16, 1
	v_add3_u32 v7, v7, v10, 0x7fff
	s_delay_alu instid0(VALU_DEP_1)
	v_lshrrev_b32_e32 v7, 16, v7
.LBB142_2195:
	s_mov_b32 s0, 0
.LBB142_2196:
	s_delay_alu instid0(SALU_CYCLE_1)
	s_and_not1_b32 vcc_lo, exec_lo, s0
	s_cbranch_vccnz .LBB142_2202
; %bb.2197:
	v_cmp_lt_i16_e32 vcc_lo, 0, v4
	s_mov_b32 s0, 0
	s_cbranch_vccz .LBB142_2199
; %bb.2198:
	global_load_i8 v7, v[0:1], off
	s_waitcnt vmcnt(0)
	v_cvt_f32_i32_e32 v7, v7
	s_delay_alu instid0(VALU_DEP_1) | instskip(NEXT) | instid1(VALU_DEP_1)
	v_bfe_u32 v10, v7, 16, 1
	v_add3_u32 v7, v7, v10, 0x7fff
	s_delay_alu instid0(VALU_DEP_1)
	v_lshrrev_b32_e32 v7, 16, v7
	s_branch .LBB142_2200
.LBB142_2199:
	s_mov_b32 s0, -1
                                        ; implicit-def: $vgpr7
.LBB142_2200:
	s_delay_alu instid0(SALU_CYCLE_1)
	s_and_not1_b32 vcc_lo, exec_lo, s0
	s_cbranch_vccnz .LBB142_2202
; %bb.2201:
	global_load_u8 v0, v[0:1], off
	s_waitcnt vmcnt(0)
	v_cvt_f32_ubyte0_e32 v0, v0
	s_delay_alu instid0(VALU_DEP_1) | instskip(NEXT) | instid1(VALU_DEP_1)
	v_bfe_u32 v1, v0, 16, 1
	v_add3_u32 v0, v0, v1, 0x7fff
	s_delay_alu instid0(VALU_DEP_1)
	v_lshrrev_b32_e32 v7, 16, v0
.LBB142_2202:
	s_mov_b32 s18, -1
.LBB142_2203:
	s_delay_alu instid0(SALU_CYCLE_1)
	s_and_not1_b32 vcc_lo, exec_lo, s18
	s_cbranch_vccnz .LBB142_3037
; %bb.2204:
	v_add_nc_u32_e32 v9, s17, v9
	v_cmp_gt_i16_e32 vcc_lo, 11, v5
	s_delay_alu instid0(VALU_DEP_2) | instskip(SKIP_1) | instid1(VALU_DEP_1)
	v_ashrrev_i32_e32 v1, 31, v9
	v_add_co_u32 v0, s0, s2, v9
	v_add_co_ci_u32_e64 v1, s0, s3, v1, s0
	s_cbranch_vccnz .LBB142_2211
; %bb.2205:
	v_cmp_lt_i16_e32 vcc_lo, 25, v5
	s_mov_b32 s0, 0
	s_cbranch_vccz .LBB142_2212
; %bb.2206:
	v_cmp_lt_i16_e32 vcc_lo, 28, v5
	s_cbranch_vccz .LBB142_2213
; %bb.2207:
	v_cmp_lt_i16_e32 vcc_lo, 43, v5
	;; [unrolled: 3-line block ×3, first 2 shown]
	s_cbranch_vccz .LBB142_2217
; %bb.2209:
	v_cmp_eq_u16_e32 vcc_lo, 46, v5
	s_mov_b32 s20, 0
	s_cbranch_vccz .LBB142_2222
; %bb.2210:
	global_load_b32 v10, v[0:1], off
	s_mov_b32 s18, 0
	s_mov_b32 s19, -1
	s_waitcnt vmcnt(0)
	v_and_b32_e32 v10, 0x7fff7fff, v10
	s_delay_alu instid0(VALU_DEP_1)
	v_cmp_ne_u32_e32 vcc_lo, 0, v10
	s_and_b32 s10, vcc_lo, exec_lo
	s_branch .LBB142_2224
.LBB142_2211:
	s_mov_b32 s0, -1
	s_mov_b32 s19, 0
                                        ; implicit-def: $sgpr10
	s_branch .LBB142_2288
.LBB142_2212:
	s_mov_b32 s20, -1
	s_mov_b32 s19, 0
	s_mov_b32 s18, 0
                                        ; implicit-def: $sgpr10
	s_branch .LBB142_2251
.LBB142_2213:
	s_mov_b32 s20, -1
	s_mov_b32 s19, 0
	s_mov_b32 s18, 0
                                        ; implicit-def: $sgpr10
	s_branch .LBB142_2232
.LBB142_2214:
	s_mov_b32 s20, -1
	s_mov_b32 s19, 0
	s_mov_b32 s18, 0
                                        ; implicit-def: $sgpr10
	s_branch .LBB142_2227
.LBB142_2215:
	s_cbranch_execnz .LBB142_2218
; %bb.2216:
	s_or_b32 s13, s13, exec_lo
                                        ; implicit-def: $vgpr7
	s_cbranch_execz .LBB142_2152
	s_branch .LBB142_2153
.LBB142_2217:
	s_mov_b32 s20, -1
	s_mov_b32 s19, 0
	s_mov_b32 s18, 0
	s_branch .LBB142_2223
.LBB142_2218:
	s_trap 2
	s_sendmsg_rtn_b32 s0, sendmsg(MSG_RTN_GET_DOORBELL)
	s_mov_b32 ttmp2, m0
	s_waitcnt lgkmcnt(0)
	s_and_b32 s0, s0, 0x3ff
	s_delay_alu instid0(SALU_CYCLE_1) | instskip(NEXT) | instid1(SALU_CYCLE_1)
	s_bitset1_b32 s0, 10
	s_mov_b32 m0, s0
	s_sendmsg sendmsg(MSG_INTERRUPT)
	s_mov_b32 m0, ttmp2
.LBB142_2219:                           ; =>This Inner Loop Header: Depth=1
	s_sethalt 5
	s_branch .LBB142_2219
.LBB142_2220:
	s_or_saveexec_b32 s29, s29
                                        ; implicit-def: $sgpr30
	s_delay_alu instid0(SALU_CYCLE_1)
	s_xor_b32 exec_lo, exec_lo, s29
	s_cbranch_execz .LBB142_1078
.LBB142_2221:
	v_add_f32_e64 v6, 0x42800000, |v7|
	s_and_not1_b32 s28, s28, exec_lo
	s_mov_b32 s30, 0
	s_delay_alu instid0(VALU_DEP_1) | instskip(NEXT) | instid1(VALU_DEP_1)
	v_and_b32_e32 v6, 0xff, v6
	v_cmp_ne_u32_e32 vcc_lo, 0, v6
	s_and_b32 s31, vcc_lo, exec_lo
	s_delay_alu instid0(SALU_CYCLE_1)
	s_or_b32 s28, s28, s31
	s_or_b32 exec_lo, exec_lo, s29
	v_mov_b32_e32 v8, s30
	s_and_saveexec_b32 s29, s28
	s_cbranch_execnz .LBB142_1079
	s_branch .LBB142_1080
.LBB142_2222:
	s_mov_b32 s18, -1
	s_mov_b32 s19, 0
.LBB142_2223:
                                        ; implicit-def: $sgpr10
.LBB142_2224:
	s_and_b32 vcc_lo, exec_lo, s20
	s_cbranch_vccz .LBB142_2226
; %bb.2225:
	v_cmp_ne_u16_e64 s18, 44, v5
	s_mov_b32 s19, -1
	s_or_b32 s10, s10, exec_lo
.LBB142_2226:
	s_mov_b32 s20, 0
.LBB142_2227:
	s_delay_alu instid0(SALU_CYCLE_1)
	s_and_b32 vcc_lo, exec_lo, s20
	s_cbranch_vccz .LBB142_2231
; %bb.2228:
	v_cmp_eq_u16_e32 vcc_lo, 29, v5
	s_cbranch_vccz .LBB142_2230
; %bb.2229:
	global_load_b64 v[10:11], v[0:1], off
	s_mov_b32 s18, 0
	s_mov_b32 s19, -1
	s_mov_b32 s20, 0
	s_waitcnt vmcnt(0)
	v_cmp_ne_u64_e32 vcc_lo, 0, v[10:11]
	s_and_b32 s10, vcc_lo, exec_lo
	s_branch .LBB142_2232
.LBB142_2230:
	s_mov_b32 s18, -1
                                        ; implicit-def: $sgpr10
.LBB142_2231:
	s_mov_b32 s20, 0
.LBB142_2232:
	s_delay_alu instid0(SALU_CYCLE_1)
	s_and_b32 vcc_lo, exec_lo, s20
	s_cbranch_vccz .LBB142_2250
; %bb.2233:
	v_cmp_gt_i16_e32 vcc_lo, 27, v5
	s_cbranch_vccnz .LBB142_2236
; %bb.2234:
	v_cmp_lt_i16_e32 vcc_lo, 27, v5
	s_cbranch_vccz .LBB142_2237
; %bb.2235:
	global_load_b32 v10, v[0:1], off
	s_mov_b32 s19, 0
	s_waitcnt vmcnt(0)
	v_cmp_ne_u32_e32 vcc_lo, 0, v10
	s_and_b32 s10, vcc_lo, exec_lo
	s_branch .LBB142_2238
.LBB142_2236:
	s_mov_b32 s19, -1
                                        ; implicit-def: $sgpr10
	s_branch .LBB142_2241
.LBB142_2237:
	s_mov_b32 s19, -1
                                        ; implicit-def: $sgpr10
.LBB142_2238:
	s_delay_alu instid0(SALU_CYCLE_1)
	s_and_not1_b32 vcc_lo, exec_lo, s19
	s_cbranch_vccnz .LBB142_2240
; %bb.2239:
	global_load_u16 v10, v[0:1], off
	s_and_not1_b32 s10, s10, exec_lo
	s_waitcnt vmcnt(0)
	v_cmp_ne_u16_e32 vcc_lo, 0, v10
	s_and_b32 s19, vcc_lo, exec_lo
	s_delay_alu instid0(SALU_CYCLE_1)
	s_or_b32 s10, s10, s19
.LBB142_2240:
	s_mov_b32 s19, 0
.LBB142_2241:
	s_delay_alu instid0(SALU_CYCLE_1)
	s_and_not1_b32 vcc_lo, exec_lo, s19
	s_cbranch_vccnz .LBB142_2249
; %bb.2242:
	global_load_u8 v10, v[0:1], off
	s_mov_b32 s19, 0
	s_mov_b32 s20, exec_lo
                                        ; implicit-def: $sgpr10
	s_waitcnt vmcnt(0)
	v_cmpx_lt_i16_e32 0x7f, v10
	s_xor_b32 s20, exec_lo, s20
	s_cbranch_execz .LBB142_2263
; %bb.2243:
	s_mov_b32 s19, -1
	s_mov_b32 s21, exec_lo
                                        ; implicit-def: $sgpr10
	v_cmpx_eq_u16_e32 0x80, v10
; %bb.2244:
	s_mov_b32 s10, -1
	s_xor_b32 s19, exec_lo, -1
; %bb.2245:
	s_or_b32 exec_lo, exec_lo, s21
	s_delay_alu instid0(SALU_CYCLE_1)
	s_and_b32 s19, s19, exec_lo
	s_and_not1_saveexec_b32 s20, s20
	s_cbranch_execnz .LBB142_2264
.LBB142_2246:
	s_or_b32 exec_lo, exec_lo, s20
	s_and_saveexec_b32 s20, s19
	s_cbranch_execz .LBB142_2248
.LBB142_2247:
	v_and_b32_e32 v10, 0xffff, v10
	s_and_not1_b32 s10, s10, exec_lo
	s_delay_alu instid0(VALU_DEP_1) | instskip(NEXT) | instid1(VALU_DEP_1)
	v_and_b32_e32 v11, 7, v10
	v_clz_i32_u32_e32 v12, v11
	s_delay_alu instid0(VALU_DEP_1) | instskip(NEXT) | instid1(VALU_DEP_1)
	v_min_u32_e32 v12, 32, v12
	v_subrev_nc_u32_e32 v13, 28, v12
	v_sub_nc_u32_e32 v12, 29, v12
	s_delay_alu instid0(VALU_DEP_2) | instskip(SKIP_1) | instid1(VALU_DEP_2)
	v_lshlrev_b32_e32 v13, v13, v10
	v_bfe_u32 v10, v10, 3, 4
	v_and_b32_e32 v13, 7, v13
	s_delay_alu instid0(VALU_DEP_2) | instskip(NEXT) | instid1(VALU_DEP_2)
	v_cmp_eq_u32_e32 vcc_lo, 0, v10
	v_dual_cndmask_b32 v10, v10, v12 :: v_dual_cndmask_b32 v11, v11, v13
	s_delay_alu instid0(VALU_DEP_1) | instskip(NEXT) | instid1(VALU_DEP_2)
	v_lshl_add_u32 v10, v10, 23, 0x3b800000
	v_lshlrev_b32_e32 v11, 20, v11
	s_delay_alu instid0(VALU_DEP_1) | instskip(NEXT) | instid1(VALU_DEP_1)
	v_and_or_b32 v10, 0x7f800000, v10, v11
	v_cmp_ne_u32_e32 vcc_lo, 0, v10
	s_and_b32 s19, vcc_lo, exec_lo
	s_delay_alu instid0(SALU_CYCLE_1)
	s_or_b32 s10, s10, s19
.LBB142_2248:
	s_or_b32 exec_lo, exec_lo, s20
.LBB142_2249:
	s_mov_b32 s19, -1
.LBB142_2250:
	s_mov_b32 s20, 0
.LBB142_2251:
	s_delay_alu instid0(SALU_CYCLE_1)
	s_and_b32 vcc_lo, exec_lo, s20
	s_cbranch_vccz .LBB142_2284
; %bb.2252:
	v_cmp_lt_i16_e32 vcc_lo, 22, v5
	s_cbranch_vccz .LBB142_2262
; %bb.2253:
	v_cmp_gt_i16_e32 vcc_lo, 24, v5
	s_cbranch_vccnz .LBB142_2265
; %bb.2254:
	v_cmp_lt_i16_e32 vcc_lo, 24, v5
	s_cbranch_vccz .LBB142_2266
; %bb.2255:
	global_load_u8 v10, v[0:1], off
	s_mov_b32 s19, exec_lo
                                        ; implicit-def: $sgpr10
	s_waitcnt vmcnt(0)
	v_cmpx_lt_i16_e32 0x7f, v10
	s_xor_b32 s19, exec_lo, s19
	s_cbranch_execz .LBB142_2278
; %bb.2256:
	s_mov_b32 s0, -1
	s_mov_b32 s20, exec_lo
                                        ; implicit-def: $sgpr10
	v_cmpx_eq_u16_e32 0x80, v10
; %bb.2257:
	s_mov_b32 s10, -1
	s_xor_b32 s0, exec_lo, -1
; %bb.2258:
	s_or_b32 exec_lo, exec_lo, s20
	s_delay_alu instid0(SALU_CYCLE_1)
	s_and_b32 s0, s0, exec_lo
	s_and_not1_saveexec_b32 s19, s19
	s_cbranch_execnz .LBB142_2279
.LBB142_2259:
	s_or_b32 exec_lo, exec_lo, s19
	s_and_saveexec_b32 s19, s0
	s_cbranch_execz .LBB142_2261
.LBB142_2260:
	v_and_b32_e32 v10, 0xffff, v10
	s_and_not1_b32 s0, s10, exec_lo
	s_delay_alu instid0(VALU_DEP_1) | instskip(NEXT) | instid1(VALU_DEP_1)
	v_and_b32_e32 v11, 3, v10
	v_clz_i32_u32_e32 v12, v11
	s_delay_alu instid0(VALU_DEP_1) | instskip(NEXT) | instid1(VALU_DEP_1)
	v_min_u32_e32 v12, 32, v12
	v_subrev_nc_u32_e32 v13, 29, v12
	v_sub_nc_u32_e32 v12, 30, v12
	s_delay_alu instid0(VALU_DEP_2) | instskip(SKIP_1) | instid1(VALU_DEP_2)
	v_lshlrev_b32_e32 v13, v13, v10
	v_bfe_u32 v10, v10, 2, 5
	v_and_b32_e32 v13, 3, v13
	s_delay_alu instid0(VALU_DEP_2) | instskip(NEXT) | instid1(VALU_DEP_2)
	v_cmp_eq_u32_e32 vcc_lo, 0, v10
	v_dual_cndmask_b32 v10, v10, v12 :: v_dual_cndmask_b32 v11, v11, v13
	s_delay_alu instid0(VALU_DEP_1) | instskip(NEXT) | instid1(VALU_DEP_2)
	v_lshl_add_u32 v10, v10, 23, 0x37800000
	v_lshlrev_b32_e32 v11, 21, v11
	s_delay_alu instid0(VALU_DEP_1) | instskip(NEXT) | instid1(VALU_DEP_1)
	v_and_or_b32 v10, 0x7f800000, v10, v11
	v_cmp_ne_u32_e32 vcc_lo, 0, v10
	s_and_b32 s10, vcc_lo, exec_lo
	s_delay_alu instid0(SALU_CYCLE_1)
	s_or_b32 s10, s0, s10
.LBB142_2261:
	s_or_b32 exec_lo, exec_lo, s19
	s_mov_b32 s0, 0
	s_branch .LBB142_2267
.LBB142_2262:
	s_mov_b32 s0, -1
                                        ; implicit-def: $sgpr10
	s_branch .LBB142_2273
.LBB142_2263:
	s_and_not1_saveexec_b32 s20, s20
	s_cbranch_execz .LBB142_2246
.LBB142_2264:
	v_cmp_ne_u16_e32 vcc_lo, 0, v10
	s_and_not1_b32 s19, s19, exec_lo
	s_and_not1_b32 s10, s10, exec_lo
	s_and_b32 s21, vcc_lo, exec_lo
	s_delay_alu instid0(SALU_CYCLE_1)
	s_or_b32 s19, s19, s21
	s_or_b32 exec_lo, exec_lo, s20
	s_and_saveexec_b32 s20, s19
	s_cbranch_execnz .LBB142_2247
	s_branch .LBB142_2248
.LBB142_2265:
	s_mov_b32 s0, -1
                                        ; implicit-def: $sgpr10
	s_branch .LBB142_2270
.LBB142_2266:
	s_mov_b32 s0, -1
                                        ; implicit-def: $sgpr10
.LBB142_2267:
	s_delay_alu instid0(SALU_CYCLE_1)
	s_and_b32 vcc_lo, exec_lo, s0
	s_cbranch_vccz .LBB142_2269
; %bb.2268:
	global_load_u8 v10, v[0:1], off
	s_and_not1_b32 s10, s10, exec_lo
	s_waitcnt vmcnt(0)
	v_lshlrev_b32_e32 v10, 24, v10
	s_delay_alu instid0(VALU_DEP_1) | instskip(NEXT) | instid1(VALU_DEP_1)
	v_and_b32_e32 v10, 0x7f000000, v10
	v_clz_i32_u32_e32 v11, v10
	v_add_nc_u32_e32 v13, 0x1000000, v10
	v_cmp_ne_u32_e32 vcc_lo, 0, v10
	s_delay_alu instid0(VALU_DEP_3) | instskip(NEXT) | instid1(VALU_DEP_3)
	v_min_u32_e32 v11, 32, v11
	v_ashrrev_i32_e32 v13, 8, v13
	s_delay_alu instid0(VALU_DEP_2) | instskip(NEXT) | instid1(VALU_DEP_1)
	v_sub_nc_u32_e64 v11, v11, 4 clamp
	v_lshlrev_b32_e32 v12, v11, v10
	v_lshlrev_b32_e32 v11, 23, v11
	s_delay_alu instid0(VALU_DEP_2) | instskip(NEXT) | instid1(VALU_DEP_1)
	v_lshrrev_b32_e32 v12, 4, v12
	v_sub_nc_u32_e32 v11, v12, v11
	v_and_b32_e32 v12, 0x7f800000, v13
	s_delay_alu instid0(VALU_DEP_2) | instskip(NEXT) | instid1(VALU_DEP_1)
	v_add_nc_u32_e32 v11, 0x3c000000, v11
	v_and_or_b32 v11, 0x7ff00000, v11, v12
	s_delay_alu instid0(VALU_DEP_1) | instskip(NEXT) | instid1(VALU_DEP_1)
	v_cmp_ne_u32_e64 s0, 0, v11
	s_and_b32 s0, vcc_lo, s0
	s_delay_alu instid0(SALU_CYCLE_1) | instskip(NEXT) | instid1(SALU_CYCLE_1)
	s_and_b32 s0, s0, exec_lo
	s_or_b32 s10, s10, s0
.LBB142_2269:
	s_mov_b32 s0, 0
.LBB142_2270:
	s_delay_alu instid0(SALU_CYCLE_1)
	s_and_not1_b32 vcc_lo, exec_lo, s0
	s_cbranch_vccnz .LBB142_2272
; %bb.2271:
	global_load_u8 v10, v[0:1], off
	s_and_not1_b32 s0, s10, exec_lo
	s_waitcnt vmcnt(0)
	v_lshlrev_b32_e32 v11, 25, v10
	v_lshlrev_b32_e32 v10, 8, v10
	s_delay_alu instid0(VALU_DEP_2) | instskip(NEXT) | instid1(VALU_DEP_2)
	v_lshrrev_b32_e32 v12, 4, v11
	v_and_or_b32 v10, 0x7f00, v10, 0.5
	s_delay_alu instid0(VALU_DEP_2) | instskip(NEXT) | instid1(VALU_DEP_2)
	v_or_b32_e32 v12, 0x70000000, v12
	v_add_f32_e32 v10, -0.5, v10
	s_delay_alu instid0(VALU_DEP_2) | instskip(SKIP_1) | instid1(VALU_DEP_2)
	v_mul_f32_e32 v12, 0x7800000, v12
	v_cmp_gt_u32_e32 vcc_lo, 0x8000000, v11
	v_cndmask_b32_e32 v10, v12, v10, vcc_lo
	s_delay_alu instid0(VALU_DEP_1) | instskip(SKIP_1) | instid1(SALU_CYCLE_1)
	v_cmp_neq_f32_e32 vcc_lo, 0, v10
	s_and_b32 s10, vcc_lo, exec_lo
	s_or_b32 s10, s0, s10
.LBB142_2272:
	s_mov_b32 s0, 0
	s_mov_b32 s19, -1
.LBB142_2273:
	s_and_not1_b32 vcc_lo, exec_lo, s0
	s_mov_b32 s0, 0
	s_cbranch_vccnz .LBB142_2284
; %bb.2274:
	v_cmp_lt_i16_e32 vcc_lo, 14, v5
	s_cbranch_vccz .LBB142_2277
; %bb.2275:
	v_cmp_eq_u16_e32 vcc_lo, 15, v5
	s_cbranch_vccz .LBB142_2280
; %bb.2276:
	global_load_u16 v10, v[0:1], off
	s_mov_b32 s18, 0
	s_mov_b32 s19, -1
	s_waitcnt vmcnt(0)
	v_and_b32_e32 v10, 0x7fff, v10
	s_delay_alu instid0(VALU_DEP_1)
	v_cmp_ne_u16_e32 vcc_lo, 0, v10
	s_and_b32 s10, vcc_lo, exec_lo
	s_branch .LBB142_2282
.LBB142_2277:
	s_mov_b32 s0, -1
	s_branch .LBB142_2281
.LBB142_2278:
	s_and_not1_saveexec_b32 s19, s19
	s_cbranch_execz .LBB142_2259
.LBB142_2279:
	v_cmp_ne_u16_e32 vcc_lo, 0, v10
	s_and_not1_b32 s0, s0, exec_lo
	s_and_not1_b32 s10, s10, exec_lo
	s_and_b32 s20, vcc_lo, exec_lo
	s_delay_alu instid0(SALU_CYCLE_1)
	s_or_b32 s0, s0, s20
	s_or_b32 exec_lo, exec_lo, s19
	s_and_saveexec_b32 s19, s0
	s_cbranch_execnz .LBB142_2260
	s_branch .LBB142_2261
.LBB142_2280:
	s_mov_b32 s18, -1
.LBB142_2281:
                                        ; implicit-def: $sgpr10
.LBB142_2282:
	s_and_b32 vcc_lo, exec_lo, s0
	s_mov_b32 s0, 0
	s_cbranch_vccz .LBB142_2284
; %bb.2283:
	v_cmp_ne_u16_e64 s18, 11, v5
	s_mov_b32 s0, -1
	s_and_not1_b32 s10, s10, exec_lo
.LBB142_2284:
	s_delay_alu instid0(VALU_DEP_1)
	s_and_b32 vcc_lo, exec_lo, s18
	s_cbranch_vccnz .LBB142_2349
; %bb.2285:
	s_and_not1_b32 vcc_lo, exec_lo, s0
	s_cbranch_vccnz .LBB142_2287
.LBB142_2286:
	global_load_u8 v10, v[0:1], off
	s_and_not1_b32 s0, s10, exec_lo
	s_mov_b32 s19, -1
	s_waitcnt vmcnt(0)
	v_cmp_ne_u16_e32 vcc_lo, 0, v10
	s_and_b32 s10, vcc_lo, exec_lo
	s_delay_alu instid0(SALU_CYCLE_1)
	s_or_b32 s10, s0, s10
.LBB142_2287:
	s_mov_b32 s0, 0
.LBB142_2288:
	s_delay_alu instid0(SALU_CYCLE_1)
	s_and_b32 vcc_lo, exec_lo, s0
	s_cbranch_vccz .LBB142_2337
; %bb.2289:
	v_cmp_gt_i16_e32 vcc_lo, 5, v5
	s_cbranch_vccnz .LBB142_2294
; %bb.2290:
	v_cmp_gt_i16_e32 vcc_lo, 8, v5
	s_cbranch_vccnz .LBB142_2295
	;; [unrolled: 3-line block ×3, first 2 shown]
; %bb.2292:
	v_cmp_lt_i16_e32 vcc_lo, 9, v5
	s_cbranch_vccz .LBB142_2297
; %bb.2293:
	global_load_b128 v[10:13], v[0:1], off
	s_waitcnt vmcnt(0)
	v_cmp_neq_f64_e32 vcc_lo, 0, v[10:11]
	v_cmp_neq_f64_e64 s0, 0, v[12:13]
	s_delay_alu instid0(VALU_DEP_1)
	s_or_b32 s10, vcc_lo, s0
	s_mov_b32 s0, 0
	s_and_b32 s10, s10, exec_lo
	s_branch .LBB142_2298
.LBB142_2294:
	s_mov_b32 s0, -1
                                        ; implicit-def: $sgpr10
	s_branch .LBB142_2316
.LBB142_2295:
	s_mov_b32 s0, -1
                                        ; implicit-def: $sgpr10
	s_branch .LBB142_2304
.LBB142_2296:
	s_mov_b32 s0, -1
                                        ; implicit-def: $sgpr10
	s_branch .LBB142_2301
.LBB142_2297:
	s_mov_b32 s0, -1
                                        ; implicit-def: $sgpr10
.LBB142_2298:
	s_delay_alu instid0(SALU_CYCLE_1)
	s_and_not1_b32 vcc_lo, exec_lo, s0
	s_cbranch_vccnz .LBB142_2300
; %bb.2299:
	global_load_b64 v[10:11], v[0:1], off
	s_and_not1_b32 s0, s10, exec_lo
	s_waitcnt vmcnt(0)
	v_or_b32_e32 v10, v10, v11
	s_delay_alu instid0(VALU_DEP_1) | instskip(NEXT) | instid1(VALU_DEP_1)
	v_and_b32_e32 v10, 0x7fffffff, v10
	v_cmp_ne_u32_e32 vcc_lo, 0, v10
	s_and_b32 s10, vcc_lo, exec_lo
	s_delay_alu instid0(SALU_CYCLE_1)
	s_or_b32 s10, s0, s10
.LBB142_2300:
	s_mov_b32 s0, 0
.LBB142_2301:
	s_delay_alu instid0(SALU_CYCLE_1)
	s_and_not1_b32 vcc_lo, exec_lo, s0
	s_cbranch_vccnz .LBB142_2303
; %bb.2302:
	global_load_b32 v10, v[0:1], off
	s_and_not1_b32 s0, s10, exec_lo
	s_waitcnt vmcnt(0)
	v_and_b32_e32 v10, 0x7fff7fff, v10
	s_delay_alu instid0(VALU_DEP_1) | instskip(SKIP_1) | instid1(SALU_CYCLE_1)
	v_cmp_ne_u32_e32 vcc_lo, 0, v10
	s_and_b32 s10, vcc_lo, exec_lo
	s_or_b32 s10, s0, s10
.LBB142_2303:
	s_mov_b32 s0, 0
.LBB142_2304:
	s_delay_alu instid0(SALU_CYCLE_1)
	s_and_not1_b32 vcc_lo, exec_lo, s0
	s_cbranch_vccnz .LBB142_2315
; %bb.2305:
	v_cmp_gt_i16_e32 vcc_lo, 6, v5
	s_cbranch_vccnz .LBB142_2308
; %bb.2306:
	v_cmp_lt_i16_e32 vcc_lo, 6, v5
	s_cbranch_vccz .LBB142_2309
; %bb.2307:
	global_load_b64 v[10:11], v[0:1], off
	s_mov_b32 s0, 0
	s_waitcnt vmcnt(0)
	v_cmp_neq_f64_e32 vcc_lo, 0, v[10:11]
	s_and_b32 s10, vcc_lo, exec_lo
	s_branch .LBB142_2310
.LBB142_2308:
	s_mov_b32 s0, -1
                                        ; implicit-def: $sgpr10
	s_branch .LBB142_2313
.LBB142_2309:
	s_mov_b32 s0, -1
                                        ; implicit-def: $sgpr10
.LBB142_2310:
	s_delay_alu instid0(SALU_CYCLE_1)
	s_and_not1_b32 vcc_lo, exec_lo, s0
	s_cbranch_vccnz .LBB142_2312
; %bb.2311:
	global_load_b32 v10, v[0:1], off
	s_and_not1_b32 s0, s10, exec_lo
	s_waitcnt vmcnt(0)
	v_cmp_neq_f32_e32 vcc_lo, 0, v10
	s_and_b32 s10, vcc_lo, exec_lo
	s_delay_alu instid0(SALU_CYCLE_1)
	s_or_b32 s10, s0, s10
.LBB142_2312:
	s_mov_b32 s0, 0
.LBB142_2313:
	s_delay_alu instid0(SALU_CYCLE_1)
	s_and_not1_b32 vcc_lo, exec_lo, s0
	s_cbranch_vccnz .LBB142_2315
; %bb.2314:
	global_load_u16 v10, v[0:1], off
	s_and_not1_b32 s0, s10, exec_lo
	s_waitcnt vmcnt(0)
	v_and_b32_e32 v10, 0x7fff, v10
	s_delay_alu instid0(VALU_DEP_1) | instskip(SKIP_1) | instid1(SALU_CYCLE_1)
	v_cmp_ne_u16_e32 vcc_lo, 0, v10
	s_and_b32 s10, vcc_lo, exec_lo
	s_or_b32 s10, s0, s10
.LBB142_2315:
	s_mov_b32 s0, 0
.LBB142_2316:
	s_delay_alu instid0(SALU_CYCLE_1)
	s_and_not1_b32 vcc_lo, exec_lo, s0
	s_cbranch_vccnz .LBB142_2336
; %bb.2317:
	v_cmp_gt_i16_e32 vcc_lo, 2, v5
	s_cbranch_vccnz .LBB142_2321
; %bb.2318:
	v_cmp_gt_i16_e32 vcc_lo, 3, v5
	s_cbranch_vccnz .LBB142_2322
; %bb.2319:
	v_cmp_lt_i16_e32 vcc_lo, 3, v5
	s_cbranch_vccz .LBB142_2323
; %bb.2320:
	global_load_b64 v[10:11], v[0:1], off
	s_mov_b32 s0, 0
	s_waitcnt vmcnt(0)
	v_cmp_ne_u64_e32 vcc_lo, 0, v[10:11]
	s_and_b32 s10, vcc_lo, exec_lo
	s_branch .LBB142_2324
.LBB142_2321:
	s_mov_b32 s0, -1
                                        ; implicit-def: $sgpr10
	s_branch .LBB142_2330
.LBB142_2322:
	s_mov_b32 s0, -1
                                        ; implicit-def: $sgpr10
	s_branch .LBB142_2327
.LBB142_2323:
	s_mov_b32 s0, -1
                                        ; implicit-def: $sgpr10
.LBB142_2324:
	s_delay_alu instid0(SALU_CYCLE_1)
	s_and_not1_b32 vcc_lo, exec_lo, s0
	s_cbranch_vccnz .LBB142_2326
; %bb.2325:
	global_load_b32 v10, v[0:1], off
	s_and_not1_b32 s0, s10, exec_lo
	s_waitcnt vmcnt(0)
	v_cmp_ne_u32_e32 vcc_lo, 0, v10
	s_and_b32 s10, vcc_lo, exec_lo
	s_delay_alu instid0(SALU_CYCLE_1)
	s_or_b32 s10, s0, s10
.LBB142_2326:
	s_mov_b32 s0, 0
.LBB142_2327:
	s_delay_alu instid0(SALU_CYCLE_1)
	s_and_not1_b32 vcc_lo, exec_lo, s0
	s_cbranch_vccnz .LBB142_2329
; %bb.2328:
	global_load_u16 v10, v[0:1], off
	s_and_not1_b32 s0, s10, exec_lo
	s_waitcnt vmcnt(0)
	v_cmp_ne_u16_e32 vcc_lo, 0, v10
	s_and_b32 s10, vcc_lo, exec_lo
	s_delay_alu instid0(SALU_CYCLE_1)
	s_or_b32 s10, s0, s10
.LBB142_2329:
	s_mov_b32 s0, 0
.LBB142_2330:
	s_delay_alu instid0(SALU_CYCLE_1)
	s_and_not1_b32 vcc_lo, exec_lo, s0
	s_cbranch_vccnz .LBB142_2336
; %bb.2331:
	v_cmp_lt_i16_e32 vcc_lo, 0, v5
	s_mov_b32 s0, 0
	s_cbranch_vccz .LBB142_2333
; %bb.2332:
	global_load_u8 v10, v[0:1], off
	s_waitcnt vmcnt(0)
	v_cmp_ne_u16_e32 vcc_lo, 0, v10
	s_and_b32 s10, vcc_lo, exec_lo
	s_branch .LBB142_2334
.LBB142_2333:
	s_mov_b32 s0, -1
                                        ; implicit-def: $sgpr10
.LBB142_2334:
	s_delay_alu instid0(SALU_CYCLE_1)
	s_and_not1_b32 vcc_lo, exec_lo, s0
	s_cbranch_vccnz .LBB142_2336
; %bb.2335:
	global_load_u8 v0, v[0:1], off
	s_and_not1_b32 s0, s10, exec_lo
	s_waitcnt vmcnt(0)
	v_cmp_ne_u16_e32 vcc_lo, 0, v0
	s_and_b32 s10, vcc_lo, exec_lo
	s_delay_alu instid0(SALU_CYCLE_1)
	s_or_b32 s10, s0, s10
.LBB142_2336:
	s_mov_b32 s19, -1
.LBB142_2337:
	s_delay_alu instid0(SALU_CYCLE_1)
	s_and_not1_b32 vcc_lo, exec_lo, s19
	s_cbranch_vccnz .LBB142_3037
; %bb.2338:
	v_add_nc_u32_e32 v0, s14, v8
	v_cmp_gt_i16_e32 vcc_lo, 11, v4
	s_delay_alu instid0(VALU_DEP_2) | instskip(SKIP_1) | instid1(VALU_DEP_1)
	v_ashrrev_i32_e32 v1, 31, v0
	v_add_co_u32 v0, s0, s6, v0
	v_add_co_ci_u32_e64 v1, s0, s7, v1, s0
	s_cbranch_vccnz .LBB142_2345
; %bb.2339:
	v_cmp_lt_i16_e32 vcc_lo, 25, v4
	s_mov_b32 s6, 0
	s_cbranch_vccz .LBB142_2346
; %bb.2340:
	v_cmp_lt_i16_e32 vcc_lo, 28, v4
	s_cbranch_vccz .LBB142_2347
; %bb.2341:
	v_cmp_lt_i16_e32 vcc_lo, 43, v4
	;; [unrolled: 3-line block ×3, first 2 shown]
	s_cbranch_vccz .LBB142_2351
; %bb.2343:
	v_cmp_eq_u16_e32 vcc_lo, 46, v4
	s_mov_b32 s14, 0
	s_cbranch_vccz .LBB142_2354
; %bb.2344:
	global_load_b32 v8, v[0:1], off
	s_mov_b32 s0, 0
	s_mov_b32 s7, -1
	s_branch .LBB142_2356
.LBB142_2345:
	s_mov_b32 s0, -1
	s_mov_b32 s7, 0
                                        ; implicit-def: $vgpr8
	s_branch .LBB142_2422
.LBB142_2346:
	s_mov_b32 s14, -1
	s_mov_b32 s7, 0
	s_mov_b32 s0, 0
                                        ; implicit-def: $vgpr8
	s_branch .LBB142_2385
.LBB142_2347:
	s_mov_b32 s14, -1
	s_mov_b32 s7, 0
	s_mov_b32 s0, 0
                                        ; implicit-def: $vgpr8
	s_branch .LBB142_2366
.LBB142_2348:
	s_mov_b32 s14, -1
	s_mov_b32 s7, 0
	s_mov_b32 s0, 0
                                        ; implicit-def: $vgpr8
	s_branch .LBB142_2361
.LBB142_2349:
	s_cbranch_execnz .LBB142_2352
; %bb.2350:
	s_mov_b32 s19, 0
	s_and_not1_b32 s10, s10, exec_lo
	s_or_b32 s13, s13, exec_lo
	s_cbranch_execz .LBB142_2286
	s_branch .LBB142_2287
.LBB142_2351:
	s_mov_b32 s14, -1
	s_mov_b32 s7, 0
	s_mov_b32 s0, 0
	s_branch .LBB142_2355
.LBB142_2352:
	s_trap 2
	s_sendmsg_rtn_b32 s0, sendmsg(MSG_RTN_GET_DOORBELL)
	s_mov_b32 ttmp2, m0
	s_waitcnt lgkmcnt(0)
	s_and_b32 s0, s0, 0x3ff
	s_delay_alu instid0(SALU_CYCLE_1) | instskip(NEXT) | instid1(SALU_CYCLE_1)
	s_bitset1_b32 s0, 10
	s_mov_b32 m0, s0
	s_sendmsg sendmsg(MSG_INTERRUPT)
	s_mov_b32 m0, ttmp2
.LBB142_2353:                           ; =>This Inner Loop Header: Depth=1
	s_sethalt 5
	s_branch .LBB142_2353
.LBB142_2354:
	s_mov_b32 s0, -1
	s_mov_b32 s7, 0
.LBB142_2355:
                                        ; implicit-def: $vgpr8
.LBB142_2356:
	s_and_b32 vcc_lo, exec_lo, s14
	s_cbranch_vccz .LBB142_2360
; %bb.2357:
	v_cmp_eq_u16_e32 vcc_lo, 44, v4
	s_cbranch_vccz .LBB142_2359
; %bb.2358:
	global_load_u8 v8, v[0:1], off
	s_mov_b32 s0, 0
	s_mov_b32 s7, -1
	s_waitcnt vmcnt(0)
	v_lshlrev_b32_e32 v10, 23, v8
	v_cmp_ne_u32_e32 vcc_lo, 0xff, v8
	s_delay_alu instid0(VALU_DEP_2) | instskip(SKIP_1) | instid1(VALU_DEP_2)
	v_cndmask_b32_e32 v10, 0x7f800001, v10, vcc_lo
	v_cmp_ne_u32_e32 vcc_lo, 0, v8
	v_cndmask_b32_e32 v8, 0x400000, v10, vcc_lo
	s_delay_alu instid0(VALU_DEP_1) | instskip(SKIP_1) | instid1(VALU_DEP_2)
	v_add_nc_u32_e32 v10, 0x7fff, v8
	v_cmp_o_f32_e32 vcc_lo, v8, v8
	v_lshrrev_b32_e32 v10, 16, v10
	s_delay_alu instid0(VALU_DEP_1)
	v_cndmask_b32_e32 v8, 0x7fc0, v10, vcc_lo
	s_branch .LBB142_2360
.LBB142_2359:
	s_mov_b32 s0, -1
                                        ; implicit-def: $vgpr8
.LBB142_2360:
	s_mov_b32 s14, 0
.LBB142_2361:
	s_delay_alu instid0(SALU_CYCLE_1)
	s_and_b32 vcc_lo, exec_lo, s14
	s_cbranch_vccz .LBB142_2365
; %bb.2362:
	v_cmp_eq_u16_e32 vcc_lo, 29, v4
	s_cbranch_vccz .LBB142_2364
; %bb.2363:
	global_load_b64 v[10:11], v[0:1], off
	s_mov_b32 s0, 0
	s_mov_b32 s7, -1
	s_mov_b32 s14, 0
	s_waitcnt vmcnt(0)
	v_clz_i32_u32_e32 v8, v11
	s_delay_alu instid0(VALU_DEP_1) | instskip(NEXT) | instid1(VALU_DEP_1)
	v_min_u32_e32 v8, 32, v8
	v_lshlrev_b64 v[10:11], v8, v[10:11]
	v_sub_nc_u32_e32 v8, 32, v8
	s_delay_alu instid0(VALU_DEP_2) | instskip(NEXT) | instid1(VALU_DEP_1)
	v_min_u32_e32 v10, 1, v10
	v_or_b32_e32 v10, v11, v10
	s_delay_alu instid0(VALU_DEP_1) | instskip(NEXT) | instid1(VALU_DEP_1)
	v_cvt_f32_u32_e32 v10, v10
	v_ldexp_f32 v8, v10, v8
	s_delay_alu instid0(VALU_DEP_1) | instskip(NEXT) | instid1(VALU_DEP_1)
	v_bfe_u32 v10, v8, 16, 1
	v_add3_u32 v8, v8, v10, 0x7fff
	s_delay_alu instid0(VALU_DEP_1)
	v_lshrrev_b32_e32 v8, 16, v8
	s_branch .LBB142_2366
.LBB142_2364:
	s_mov_b32 s0, -1
                                        ; implicit-def: $vgpr8
.LBB142_2365:
	s_mov_b32 s14, 0
.LBB142_2366:
	s_delay_alu instid0(SALU_CYCLE_1)
	s_and_b32 vcc_lo, exec_lo, s14
	s_cbranch_vccz .LBB142_2384
; %bb.2367:
	v_cmp_gt_i16_e32 vcc_lo, 27, v4
	s_cbranch_vccnz .LBB142_2370
; %bb.2368:
	v_cmp_lt_i16_e32 vcc_lo, 27, v4
	s_cbranch_vccz .LBB142_2371
; %bb.2369:
	global_load_b32 v8, v[0:1], off
	s_mov_b32 s7, 0
	s_waitcnt vmcnt(0)
	v_cvt_f32_u32_e32 v8, v8
	s_delay_alu instid0(VALU_DEP_1) | instskip(NEXT) | instid1(VALU_DEP_1)
	v_bfe_u32 v10, v8, 16, 1
	v_add3_u32 v8, v8, v10, 0x7fff
	s_delay_alu instid0(VALU_DEP_1)
	v_lshrrev_b32_e32 v8, 16, v8
	s_branch .LBB142_2372
.LBB142_2370:
	s_mov_b32 s7, -1
                                        ; implicit-def: $vgpr8
	s_branch .LBB142_2375
.LBB142_2371:
	s_mov_b32 s7, -1
                                        ; implicit-def: $vgpr8
.LBB142_2372:
	s_delay_alu instid0(SALU_CYCLE_1)
	s_and_not1_b32 vcc_lo, exec_lo, s7
	s_cbranch_vccnz .LBB142_2374
; %bb.2373:
	global_load_u16 v8, v[0:1], off
	s_waitcnt vmcnt(0)
	v_cvt_f32_u32_e32 v8, v8
	s_delay_alu instid0(VALU_DEP_1) | instskip(NEXT) | instid1(VALU_DEP_1)
	v_bfe_u32 v10, v8, 16, 1
	v_add3_u32 v8, v8, v10, 0x7fff
	s_delay_alu instid0(VALU_DEP_1)
	v_lshrrev_b32_e32 v8, 16, v8
.LBB142_2374:
	s_mov_b32 s7, 0
.LBB142_2375:
	s_delay_alu instid0(SALU_CYCLE_1)
	s_and_not1_b32 vcc_lo, exec_lo, s7
	s_cbranch_vccnz .LBB142_2383
; %bb.2376:
	global_load_u8 v8, v[0:1], off
	s_mov_b32 s7, 0
	s_mov_b32 s18, exec_lo
                                        ; implicit-def: $sgpr14
	s_waitcnt vmcnt(0)
	v_cmpx_lt_i16_e32 0x7f, v8
	s_xor_b32 s18, exec_lo, s18
	s_cbranch_execz .LBB142_2397
; %bb.2377:
	s_mov_b32 s7, -1
	s_mov_b32 s19, exec_lo
                                        ; implicit-def: $sgpr14
	v_cmpx_eq_u16_e32 0x80, v8
; %bb.2378:
	s_mov_b32 s14, 0x7f800001
	s_xor_b32 s7, exec_lo, -1
; %bb.2379:
	s_or_b32 exec_lo, exec_lo, s19
	s_delay_alu instid0(SALU_CYCLE_1)
	s_and_b32 s7, s7, exec_lo
	s_or_saveexec_b32 s18, s18
	v_mov_b32_e32 v10, s14
	s_xor_b32 exec_lo, exec_lo, s18
	s_cbranch_execnz .LBB142_2398
.LBB142_2380:
	s_or_b32 exec_lo, exec_lo, s18
	s_and_saveexec_b32 s14, s7
	s_cbranch_execz .LBB142_2382
.LBB142_2381:
	v_and_b32_e32 v10, 0xffff, v8
	v_lshlrev_b32_e32 v8, 24, v8
	s_delay_alu instid0(VALU_DEP_2) | instskip(NEXT) | instid1(VALU_DEP_2)
	v_and_b32_e32 v11, 7, v10
	v_and_b32_e32 v8, 0x80000000, v8
	s_delay_alu instid0(VALU_DEP_2) | instskip(NEXT) | instid1(VALU_DEP_1)
	v_clz_i32_u32_e32 v12, v11
	v_min_u32_e32 v12, 32, v12
	s_delay_alu instid0(VALU_DEP_1) | instskip(SKIP_1) | instid1(VALU_DEP_2)
	v_subrev_nc_u32_e32 v13, 28, v12
	v_sub_nc_u32_e32 v12, 29, v12
	v_lshlrev_b32_e32 v13, v13, v10
	v_bfe_u32 v10, v10, 3, 4
	s_delay_alu instid0(VALU_DEP_2) | instskip(NEXT) | instid1(VALU_DEP_2)
	v_and_b32_e32 v13, 7, v13
	v_cmp_eq_u32_e32 vcc_lo, 0, v10
	s_delay_alu instid0(VALU_DEP_2) | instskip(NEXT) | instid1(VALU_DEP_1)
	v_dual_cndmask_b32 v10, v10, v12 :: v_dual_cndmask_b32 v11, v11, v13
	v_lshl_add_u32 v10, v10, 23, 0x3b800000
	s_delay_alu instid0(VALU_DEP_2) | instskip(NEXT) | instid1(VALU_DEP_1)
	v_lshlrev_b32_e32 v11, 20, v11
	v_or3_b32 v10, v8, v10, v11
.LBB142_2382:
	s_or_b32 exec_lo, exec_lo, s14
	s_delay_alu instid0(VALU_DEP_1) | instskip(SKIP_1) | instid1(VALU_DEP_2)
	v_bfe_u32 v8, v10, 16, 1
	v_cmp_o_f32_e32 vcc_lo, v10, v10
	v_add3_u32 v8, v10, v8, 0x7fff
	s_delay_alu instid0(VALU_DEP_1) | instskip(NEXT) | instid1(VALU_DEP_1)
	v_lshrrev_b32_e32 v8, 16, v8
	v_cndmask_b32_e32 v8, 0x7fc0, v8, vcc_lo
.LBB142_2383:
	s_mov_b32 s7, -1
.LBB142_2384:
	s_mov_b32 s14, 0
.LBB142_2385:
	s_delay_alu instid0(SALU_CYCLE_1)
	s_and_b32 vcc_lo, exec_lo, s14
	s_cbranch_vccz .LBB142_2418
; %bb.2386:
	v_cmp_lt_i16_e32 vcc_lo, 22, v4
	s_cbranch_vccz .LBB142_2396
; %bb.2387:
	v_cmp_gt_i16_e32 vcc_lo, 24, v4
	s_cbranch_vccnz .LBB142_2399
; %bb.2388:
	v_cmp_lt_i16_e32 vcc_lo, 24, v4
	s_cbranch_vccz .LBB142_2400
; %bb.2389:
	global_load_u8 v8, v[0:1], off
	s_mov_b32 s14, exec_lo
                                        ; implicit-def: $sgpr7
	s_waitcnt vmcnt(0)
	v_cmpx_lt_i16_e32 0x7f, v8
	s_xor_b32 s14, exec_lo, s14
	s_cbranch_execz .LBB142_2412
; %bb.2390:
	s_mov_b32 s6, -1
	s_mov_b32 s18, exec_lo
                                        ; implicit-def: $sgpr7
	v_cmpx_eq_u16_e32 0x80, v8
; %bb.2391:
	s_mov_b32 s7, 0x7f800001
	s_xor_b32 s6, exec_lo, -1
; %bb.2392:
	s_or_b32 exec_lo, exec_lo, s18
	s_delay_alu instid0(SALU_CYCLE_1)
	s_and_b32 s6, s6, exec_lo
	s_or_saveexec_b32 s14, s14
	v_mov_b32_e32 v10, s7
	s_xor_b32 exec_lo, exec_lo, s14
	s_cbranch_execnz .LBB142_2413
.LBB142_2393:
	s_or_b32 exec_lo, exec_lo, s14
	s_and_saveexec_b32 s7, s6
	s_cbranch_execz .LBB142_2395
.LBB142_2394:
	v_and_b32_e32 v10, 0xffff, v8
	v_lshlrev_b32_e32 v8, 24, v8
	s_delay_alu instid0(VALU_DEP_2) | instskip(NEXT) | instid1(VALU_DEP_2)
	v_and_b32_e32 v11, 3, v10
	v_and_b32_e32 v8, 0x80000000, v8
	s_delay_alu instid0(VALU_DEP_2) | instskip(NEXT) | instid1(VALU_DEP_1)
	v_clz_i32_u32_e32 v12, v11
	v_min_u32_e32 v12, 32, v12
	s_delay_alu instid0(VALU_DEP_1) | instskip(SKIP_1) | instid1(VALU_DEP_2)
	v_subrev_nc_u32_e32 v13, 29, v12
	v_sub_nc_u32_e32 v12, 30, v12
	v_lshlrev_b32_e32 v13, v13, v10
	v_bfe_u32 v10, v10, 2, 5
	s_delay_alu instid0(VALU_DEP_2) | instskip(NEXT) | instid1(VALU_DEP_2)
	v_and_b32_e32 v13, 3, v13
	v_cmp_eq_u32_e32 vcc_lo, 0, v10
	s_delay_alu instid0(VALU_DEP_2) | instskip(NEXT) | instid1(VALU_DEP_1)
	v_dual_cndmask_b32 v10, v10, v12 :: v_dual_cndmask_b32 v11, v11, v13
	v_lshl_add_u32 v10, v10, 23, 0x37800000
	s_delay_alu instid0(VALU_DEP_2) | instskip(NEXT) | instid1(VALU_DEP_1)
	v_lshlrev_b32_e32 v11, 21, v11
	v_or3_b32 v10, v8, v10, v11
.LBB142_2395:
	s_or_b32 exec_lo, exec_lo, s7
	s_delay_alu instid0(VALU_DEP_1) | instskip(SKIP_2) | instid1(VALU_DEP_2)
	v_bfe_u32 v8, v10, 16, 1
	v_cmp_o_f32_e32 vcc_lo, v10, v10
	s_mov_b32 s6, 0
	v_add3_u32 v8, v10, v8, 0x7fff
	s_delay_alu instid0(VALU_DEP_1) | instskip(NEXT) | instid1(VALU_DEP_1)
	v_lshrrev_b32_e32 v8, 16, v8
	v_cndmask_b32_e32 v8, 0x7fc0, v8, vcc_lo
	s_branch .LBB142_2401
.LBB142_2396:
	s_mov_b32 s6, -1
                                        ; implicit-def: $vgpr8
	s_branch .LBB142_2407
.LBB142_2397:
	s_or_saveexec_b32 s18, s18
	v_mov_b32_e32 v10, s14
	s_xor_b32 exec_lo, exec_lo, s18
	s_cbranch_execz .LBB142_2380
.LBB142_2398:
	v_cmp_ne_u16_e32 vcc_lo, 0, v8
	v_mov_b32_e32 v10, 0
	s_and_not1_b32 s7, s7, exec_lo
	s_and_b32 s14, vcc_lo, exec_lo
	s_delay_alu instid0(SALU_CYCLE_1)
	s_or_b32 s7, s7, s14
	s_or_b32 exec_lo, exec_lo, s18
	s_and_saveexec_b32 s14, s7
	s_cbranch_execnz .LBB142_2381
	s_branch .LBB142_2382
.LBB142_2399:
	s_mov_b32 s6, -1
                                        ; implicit-def: $vgpr8
	s_branch .LBB142_2404
.LBB142_2400:
	s_mov_b32 s6, -1
                                        ; implicit-def: $vgpr8
.LBB142_2401:
	s_delay_alu instid0(SALU_CYCLE_1)
	s_and_b32 vcc_lo, exec_lo, s6
	s_cbranch_vccz .LBB142_2403
; %bb.2402:
	global_load_u8 v8, v[0:1], off
	s_waitcnt vmcnt(0)
	v_lshlrev_b32_e32 v8, 24, v8
	s_delay_alu instid0(VALU_DEP_1) | instskip(NEXT) | instid1(VALU_DEP_1)
	v_and_b32_e32 v10, 0x7f000000, v8
	v_clz_i32_u32_e32 v11, v10
	v_cmp_ne_u32_e32 vcc_lo, 0, v10
	v_add_nc_u32_e32 v13, 0x1000000, v10
	s_delay_alu instid0(VALU_DEP_3) | instskip(NEXT) | instid1(VALU_DEP_1)
	v_min_u32_e32 v11, 32, v11
	v_sub_nc_u32_e64 v11, v11, 4 clamp
	s_delay_alu instid0(VALU_DEP_1) | instskip(SKIP_1) | instid1(VALU_DEP_2)
	v_lshlrev_b32_e32 v12, v11, v10
	v_lshlrev_b32_e32 v11, 23, v11
	v_lshrrev_b32_e32 v12, 4, v12
	s_delay_alu instid0(VALU_DEP_1) | instskip(SKIP_1) | instid1(VALU_DEP_2)
	v_sub_nc_u32_e32 v11, v12, v11
	v_ashrrev_i32_e32 v12, 8, v13
	v_add_nc_u32_e32 v11, 0x3c000000, v11
	s_delay_alu instid0(VALU_DEP_1) | instskip(NEXT) | instid1(VALU_DEP_1)
	v_and_or_b32 v11, 0x7f800000, v12, v11
	v_cndmask_b32_e32 v10, 0, v11, vcc_lo
	s_delay_alu instid0(VALU_DEP_1) | instskip(SKIP_1) | instid1(VALU_DEP_2)
	v_and_or_b32 v8, 0x80000000, v8, v10
	v_bfe_u32 v10, v10, 16, 1
	v_cmp_o_f32_e32 vcc_lo, v8, v8
	s_delay_alu instid0(VALU_DEP_2) | instskip(NEXT) | instid1(VALU_DEP_1)
	v_add3_u32 v10, v8, v10, 0x7fff
	v_lshrrev_b32_e32 v10, 16, v10
	s_delay_alu instid0(VALU_DEP_1)
	v_cndmask_b32_e32 v8, 0x7fc0, v10, vcc_lo
.LBB142_2403:
	s_mov_b32 s6, 0
.LBB142_2404:
	s_delay_alu instid0(SALU_CYCLE_1)
	s_and_not1_b32 vcc_lo, exec_lo, s6
	s_cbranch_vccnz .LBB142_2406
; %bb.2405:
	global_load_u8 v8, v[0:1], off
	s_waitcnt vmcnt(0)
	v_lshlrev_b32_e32 v10, 25, v8
	v_lshlrev_b16 v8, 8, v8
	s_delay_alu instid0(VALU_DEP_2) | instskip(NEXT) | instid1(VALU_DEP_2)
	v_lshrrev_b32_e32 v11, 4, v10
	v_and_or_b32 v12, 0x7f00, v8, 0.5
	v_bfe_i32 v8, v8, 0, 16
	s_delay_alu instid0(VALU_DEP_3) | instskip(NEXT) | instid1(VALU_DEP_1)
	v_or_b32_e32 v11, 0x70000000, v11
	v_dual_add_f32 v12, -0.5, v12 :: v_dual_mul_f32 v11, 0x7800000, v11
	v_cmp_gt_u32_e32 vcc_lo, 0x8000000, v10
	s_delay_alu instid0(VALU_DEP_2) | instskip(NEXT) | instid1(VALU_DEP_1)
	v_cndmask_b32_e32 v10, v11, v12, vcc_lo
	v_and_or_b32 v8, 0x80000000, v8, v10
	v_bfe_u32 v10, v10, 16, 1
	s_delay_alu instid0(VALU_DEP_2) | instskip(NEXT) | instid1(VALU_DEP_2)
	v_cmp_o_f32_e32 vcc_lo, v8, v8
	v_add3_u32 v10, v8, v10, 0x7fff
	s_delay_alu instid0(VALU_DEP_1) | instskip(NEXT) | instid1(VALU_DEP_1)
	v_lshrrev_b32_e32 v10, 16, v10
	v_cndmask_b32_e32 v8, 0x7fc0, v10, vcc_lo
.LBB142_2406:
	s_mov_b32 s6, 0
	s_mov_b32 s7, -1
.LBB142_2407:
	s_and_not1_b32 vcc_lo, exec_lo, s6
	s_mov_b32 s6, 0
	s_cbranch_vccnz .LBB142_2418
; %bb.2408:
	v_cmp_lt_i16_e32 vcc_lo, 14, v4
	s_cbranch_vccz .LBB142_2411
; %bb.2409:
	v_cmp_eq_u16_e32 vcc_lo, 15, v4
	s_cbranch_vccz .LBB142_2414
; %bb.2410:
	global_load_u16 v8, v[0:1], off
	s_mov_b32 s0, 0
	s_mov_b32 s7, -1
	s_branch .LBB142_2416
.LBB142_2411:
	s_mov_b32 s6, -1
	s_branch .LBB142_2415
.LBB142_2412:
	s_or_saveexec_b32 s14, s14
	v_mov_b32_e32 v10, s7
	s_xor_b32 exec_lo, exec_lo, s14
	s_cbranch_execz .LBB142_2393
.LBB142_2413:
	v_cmp_ne_u16_e32 vcc_lo, 0, v8
	v_mov_b32_e32 v10, 0
	s_and_not1_b32 s6, s6, exec_lo
	s_and_b32 s7, vcc_lo, exec_lo
	s_delay_alu instid0(SALU_CYCLE_1)
	s_or_b32 s6, s6, s7
	s_or_b32 exec_lo, exec_lo, s14
	s_and_saveexec_b32 s7, s6
	s_cbranch_execnz .LBB142_2394
	s_branch .LBB142_2395
.LBB142_2414:
	s_mov_b32 s0, -1
.LBB142_2415:
                                        ; implicit-def: $vgpr8
.LBB142_2416:
	s_and_b32 vcc_lo, exec_lo, s6
	s_mov_b32 s6, 0
	s_cbranch_vccz .LBB142_2418
; %bb.2417:
	v_cmp_ne_u16_e64 s0, 11, v4
	s_mov_b32 s6, -1
                                        ; implicit-def: $vgpr8
.LBB142_2418:
	s_delay_alu instid0(VALU_DEP_1)
	s_and_b32 vcc_lo, exec_lo, s0
	s_cbranch_vccnz .LBB142_2483
; %bb.2419:
	s_and_not1_b32 vcc_lo, exec_lo, s6
	s_cbranch_vccnz .LBB142_2421
.LBB142_2420:
	global_load_u8 v8, v[0:1], off
	s_mov_b32 s7, -1
	s_waitcnt vmcnt(0)
	v_cmp_ne_u16_e32 vcc_lo, 0, v8
	v_cndmask_b32_e64 v8, 0, 1.0, vcc_lo
	s_delay_alu instid0(VALU_DEP_1)
	v_lshrrev_b32_e32 v8, 16, v8
.LBB142_2421:
	s_mov_b32 s0, 0
.LBB142_2422:
	s_delay_alu instid0(SALU_CYCLE_1)
	s_and_b32 vcc_lo, exec_lo, s0
	s_cbranch_vccz .LBB142_2471
; %bb.2423:
	v_cmp_gt_i16_e32 vcc_lo, 5, v4
	s_cbranch_vccnz .LBB142_2428
; %bb.2424:
	v_cmp_gt_i16_e32 vcc_lo, 8, v4
	s_cbranch_vccnz .LBB142_2429
	;; [unrolled: 3-line block ×3, first 2 shown]
; %bb.2426:
	v_cmp_lt_i16_e32 vcc_lo, 9, v4
	s_cbranch_vccz .LBB142_2431
; %bb.2427:
	global_load_b64 v[10:11], v[0:1], off
	s_mov_b32 s0, 0
	s_waitcnt vmcnt(0)
	v_cvt_f32_f64_e32 v8, v[10:11]
	s_delay_alu instid0(VALU_DEP_1) | instskip(SKIP_1) | instid1(VALU_DEP_2)
	v_bfe_u32 v10, v8, 16, 1
	v_cmp_o_f32_e32 vcc_lo, v8, v8
	v_add3_u32 v10, v8, v10, 0x7fff
	s_delay_alu instid0(VALU_DEP_1) | instskip(NEXT) | instid1(VALU_DEP_1)
	v_lshrrev_b32_e32 v10, 16, v10
	v_cndmask_b32_e32 v8, 0x7fc0, v10, vcc_lo
	s_branch .LBB142_2432
.LBB142_2428:
	s_mov_b32 s0, -1
                                        ; implicit-def: $vgpr8
	s_branch .LBB142_2450
.LBB142_2429:
	s_mov_b32 s0, -1
                                        ; implicit-def: $vgpr8
	s_branch .LBB142_2438
.LBB142_2430:
	s_mov_b32 s0, -1
                                        ; implicit-def: $vgpr8
	s_branch .LBB142_2435
.LBB142_2431:
	s_mov_b32 s0, -1
                                        ; implicit-def: $vgpr8
.LBB142_2432:
	s_delay_alu instid0(SALU_CYCLE_1)
	s_and_not1_b32 vcc_lo, exec_lo, s0
	s_cbranch_vccnz .LBB142_2434
; %bb.2433:
	global_load_b32 v8, v[0:1], off
	s_waitcnt vmcnt(0)
	v_bfe_u32 v10, v8, 16, 1
	v_cmp_o_f32_e32 vcc_lo, v8, v8
	s_delay_alu instid0(VALU_DEP_2) | instskip(NEXT) | instid1(VALU_DEP_1)
	v_add3_u32 v10, v8, v10, 0x7fff
	v_lshrrev_b32_e32 v10, 16, v10
	s_delay_alu instid0(VALU_DEP_1)
	v_cndmask_b32_e32 v8, 0x7fc0, v10, vcc_lo
.LBB142_2434:
	s_mov_b32 s0, 0
.LBB142_2435:
	s_delay_alu instid0(SALU_CYCLE_1)
	s_and_not1_b32 vcc_lo, exec_lo, s0
	s_cbranch_vccnz .LBB142_2437
; %bb.2436:
	global_load_b32 v8, v[0:1], off
	s_waitcnt vmcnt(0)
	v_cvt_f32_f16_e32 v10, v8
	v_cmp_o_f16_e32 vcc_lo, v8, v8
	s_delay_alu instid0(VALU_DEP_2) | instskip(NEXT) | instid1(VALU_DEP_1)
	v_bfe_u32 v11, v10, 16, 1
	v_add3_u32 v10, v10, v11, 0x7fff
	s_delay_alu instid0(VALU_DEP_1) | instskip(NEXT) | instid1(VALU_DEP_1)
	v_lshrrev_b32_e32 v10, 16, v10
	v_cndmask_b32_e32 v8, 0x7fc0, v10, vcc_lo
.LBB142_2437:
	s_mov_b32 s0, 0
.LBB142_2438:
	s_delay_alu instid0(SALU_CYCLE_1)
	s_and_not1_b32 vcc_lo, exec_lo, s0
	s_cbranch_vccnz .LBB142_2449
; %bb.2439:
	v_cmp_gt_i16_e32 vcc_lo, 6, v4
	s_cbranch_vccnz .LBB142_2442
; %bb.2440:
	v_cmp_lt_i16_e32 vcc_lo, 6, v4
	s_cbranch_vccz .LBB142_2443
; %bb.2441:
	global_load_b64 v[10:11], v[0:1], off
	s_mov_b32 s0, 0
	s_waitcnt vmcnt(0)
	v_cvt_f32_f64_e32 v8, v[10:11]
	s_delay_alu instid0(VALU_DEP_1) | instskip(SKIP_1) | instid1(VALU_DEP_2)
	v_bfe_u32 v10, v8, 16, 1
	v_cmp_o_f32_e32 vcc_lo, v8, v8
	v_add3_u32 v10, v8, v10, 0x7fff
	s_delay_alu instid0(VALU_DEP_1) | instskip(NEXT) | instid1(VALU_DEP_1)
	v_lshrrev_b32_e32 v10, 16, v10
	v_cndmask_b32_e32 v8, 0x7fc0, v10, vcc_lo
	s_branch .LBB142_2444
.LBB142_2442:
	s_mov_b32 s0, -1
                                        ; implicit-def: $vgpr8
	s_branch .LBB142_2447
.LBB142_2443:
	s_mov_b32 s0, -1
                                        ; implicit-def: $vgpr8
.LBB142_2444:
	s_delay_alu instid0(SALU_CYCLE_1)
	s_and_not1_b32 vcc_lo, exec_lo, s0
	s_cbranch_vccnz .LBB142_2446
; %bb.2445:
	global_load_b32 v8, v[0:1], off
	s_waitcnt vmcnt(0)
	v_bfe_u32 v10, v8, 16, 1
	v_cmp_o_f32_e32 vcc_lo, v8, v8
	s_delay_alu instid0(VALU_DEP_2) | instskip(NEXT) | instid1(VALU_DEP_1)
	v_add3_u32 v10, v8, v10, 0x7fff
	v_lshrrev_b32_e32 v10, 16, v10
	s_delay_alu instid0(VALU_DEP_1)
	v_cndmask_b32_e32 v8, 0x7fc0, v10, vcc_lo
.LBB142_2446:
	s_mov_b32 s0, 0
.LBB142_2447:
	s_delay_alu instid0(SALU_CYCLE_1)
	s_and_not1_b32 vcc_lo, exec_lo, s0
	s_cbranch_vccnz .LBB142_2449
; %bb.2448:
	global_load_u16 v8, v[0:1], off
	s_waitcnt vmcnt(0)
	v_cvt_f32_f16_e32 v10, v8
	v_cmp_o_f16_e32 vcc_lo, v8, v8
	s_delay_alu instid0(VALU_DEP_2) | instskip(NEXT) | instid1(VALU_DEP_1)
	v_bfe_u32 v11, v10, 16, 1
	v_add3_u32 v10, v10, v11, 0x7fff
	s_delay_alu instid0(VALU_DEP_1) | instskip(NEXT) | instid1(VALU_DEP_1)
	v_lshrrev_b32_e32 v10, 16, v10
	v_cndmask_b32_e32 v8, 0x7fc0, v10, vcc_lo
.LBB142_2449:
	s_mov_b32 s0, 0
.LBB142_2450:
	s_delay_alu instid0(SALU_CYCLE_1)
	s_and_not1_b32 vcc_lo, exec_lo, s0
	s_cbranch_vccnz .LBB142_2470
; %bb.2451:
	v_cmp_gt_i16_e32 vcc_lo, 2, v4
	s_cbranch_vccnz .LBB142_2455
; %bb.2452:
	v_cmp_gt_i16_e32 vcc_lo, 3, v4
	s_cbranch_vccnz .LBB142_2456
; %bb.2453:
	v_cmp_lt_i16_e32 vcc_lo, 3, v4
	s_cbranch_vccz .LBB142_2457
; %bb.2454:
	global_load_b64 v[10:11], v[0:1], off
	s_mov_b32 s0, 0
	s_waitcnt vmcnt(0)
	v_xor_b32_e32 v8, v10, v11
	v_cls_i32_e32 v12, v11
	s_delay_alu instid0(VALU_DEP_2) | instskip(NEXT) | instid1(VALU_DEP_2)
	v_ashrrev_i32_e32 v8, 31, v8
	v_add_nc_u32_e32 v12, -1, v12
	s_delay_alu instid0(VALU_DEP_2) | instskip(NEXT) | instid1(VALU_DEP_1)
	v_add_nc_u32_e32 v8, 32, v8
	v_min_u32_e32 v8, v12, v8
	s_delay_alu instid0(VALU_DEP_1) | instskip(SKIP_1) | instid1(VALU_DEP_2)
	v_lshlrev_b64 v[10:11], v8, v[10:11]
	v_sub_nc_u32_e32 v8, 32, v8
	v_min_u32_e32 v10, 1, v10
	s_delay_alu instid0(VALU_DEP_1) | instskip(NEXT) | instid1(VALU_DEP_1)
	v_or_b32_e32 v10, v11, v10
	v_cvt_f32_i32_e32 v10, v10
	s_delay_alu instid0(VALU_DEP_1) | instskip(NEXT) | instid1(VALU_DEP_1)
	v_ldexp_f32 v8, v10, v8
	v_bfe_u32 v10, v8, 16, 1
	s_delay_alu instid0(VALU_DEP_1) | instskip(NEXT) | instid1(VALU_DEP_1)
	v_add3_u32 v8, v8, v10, 0x7fff
	v_lshrrev_b32_e32 v8, 16, v8
	s_branch .LBB142_2458
.LBB142_2455:
	s_mov_b32 s0, -1
                                        ; implicit-def: $vgpr8
	s_branch .LBB142_2464
.LBB142_2456:
	s_mov_b32 s0, -1
                                        ; implicit-def: $vgpr8
	s_branch .LBB142_2461
.LBB142_2457:
	s_mov_b32 s0, -1
                                        ; implicit-def: $vgpr8
.LBB142_2458:
	s_delay_alu instid0(SALU_CYCLE_1)
	s_and_not1_b32 vcc_lo, exec_lo, s0
	s_cbranch_vccnz .LBB142_2460
; %bb.2459:
	global_load_b32 v8, v[0:1], off
	s_waitcnt vmcnt(0)
	v_cvt_f32_i32_e32 v8, v8
	s_delay_alu instid0(VALU_DEP_1) | instskip(NEXT) | instid1(VALU_DEP_1)
	v_bfe_u32 v10, v8, 16, 1
	v_add3_u32 v8, v8, v10, 0x7fff
	s_delay_alu instid0(VALU_DEP_1)
	v_lshrrev_b32_e32 v8, 16, v8
.LBB142_2460:
	s_mov_b32 s0, 0
.LBB142_2461:
	s_delay_alu instid0(SALU_CYCLE_1)
	s_and_not1_b32 vcc_lo, exec_lo, s0
	s_cbranch_vccnz .LBB142_2463
; %bb.2462:
	global_load_i16 v8, v[0:1], off
	s_waitcnt vmcnt(0)
	v_cvt_f32_i32_e32 v8, v8
	s_delay_alu instid0(VALU_DEP_1) | instskip(NEXT) | instid1(VALU_DEP_1)
	v_bfe_u32 v10, v8, 16, 1
	v_add3_u32 v8, v8, v10, 0x7fff
	s_delay_alu instid0(VALU_DEP_1)
	v_lshrrev_b32_e32 v8, 16, v8
.LBB142_2463:
	s_mov_b32 s0, 0
.LBB142_2464:
	s_delay_alu instid0(SALU_CYCLE_1)
	s_and_not1_b32 vcc_lo, exec_lo, s0
	s_cbranch_vccnz .LBB142_2470
; %bb.2465:
	v_cmp_lt_i16_e32 vcc_lo, 0, v4
	s_mov_b32 s0, 0
	s_cbranch_vccz .LBB142_2467
; %bb.2466:
	global_load_i8 v4, v[0:1], off
	s_waitcnt vmcnt(0)
	v_cvt_f32_i32_e32 v4, v4
	s_delay_alu instid0(VALU_DEP_1) | instskip(NEXT) | instid1(VALU_DEP_1)
	v_bfe_u32 v8, v4, 16, 1
	v_add3_u32 v4, v4, v8, 0x7fff
	s_delay_alu instid0(VALU_DEP_1)
	v_lshrrev_b32_e32 v8, 16, v4
	s_branch .LBB142_2468
.LBB142_2467:
	s_mov_b32 s0, -1
                                        ; implicit-def: $vgpr8
.LBB142_2468:
	s_delay_alu instid0(SALU_CYCLE_1)
	s_and_not1_b32 vcc_lo, exec_lo, s0
	s_cbranch_vccnz .LBB142_2470
; %bb.2469:
	global_load_u8 v0, v[0:1], off
	s_waitcnt vmcnt(0)
	v_cvt_f32_ubyte0_e32 v0, v0
	s_delay_alu instid0(VALU_DEP_1) | instskip(NEXT) | instid1(VALU_DEP_1)
	v_bfe_u32 v1, v0, 16, 1
	v_add3_u32 v0, v0, v1, 0x7fff
	s_delay_alu instid0(VALU_DEP_1)
	v_lshrrev_b32_e32 v8, 16, v0
.LBB142_2470:
	s_mov_b32 s7, -1
.LBB142_2471:
	s_delay_alu instid0(SALU_CYCLE_1)
	s_and_not1_b32 vcc_lo, exec_lo, s7
	s_cbranch_vccnz .LBB142_3037
; %bb.2472:
	v_add_nc_u32_e32 v0, s17, v9
	v_cmp_gt_i16_e32 vcc_lo, 11, v5
	s_delay_alu instid0(VALU_DEP_2) | instskip(SKIP_1) | instid1(VALU_DEP_1)
	v_ashrrev_i32_e32 v1, 31, v0
	v_add_co_u32 v0, s0, s2, v0
	v_add_co_ci_u32_e64 v1, s0, s3, v1, s0
	s_cbranch_vccnz .LBB142_2479
; %bb.2473:
	v_cmp_lt_i16_e32 vcc_lo, 25, v5
	s_mov_b32 s0, 0
	s_cbranch_vccz .LBB142_2480
; %bb.2474:
	v_cmp_lt_i16_e32 vcc_lo, 28, v5
	s_cbranch_vccz .LBB142_2481
; %bb.2475:
	v_cmp_lt_i16_e32 vcc_lo, 43, v5
	;; [unrolled: 3-line block ×3, first 2 shown]
	s_cbranch_vccz .LBB142_2485
; %bb.2477:
	v_cmp_eq_u16_e32 vcc_lo, 46, v5
	s_mov_b32 s7, 0
	s_cbranch_vccz .LBB142_2488
; %bb.2478:
	global_load_b32 v4, v[0:1], off
	s_mov_b32 s3, 0
	s_mov_b32 s6, -1
	s_waitcnt vmcnt(0)
	v_and_b32_e32 v4, 0x7fff7fff, v4
	s_delay_alu instid0(VALU_DEP_1)
	v_cmp_ne_u32_e32 vcc_lo, 0, v4
	s_and_b32 s2, vcc_lo, exec_lo
	s_branch .LBB142_2490
.LBB142_2479:
	s_mov_b32 s0, -1
	s_mov_b32 s6, 0
                                        ; implicit-def: $sgpr2
	s_branch .LBB142_2554
.LBB142_2480:
	s_mov_b32 s7, -1
	s_mov_b32 s6, 0
	s_mov_b32 s3, 0
                                        ; implicit-def: $sgpr2
	s_branch .LBB142_2517
.LBB142_2481:
	s_mov_b32 s7, -1
	s_mov_b32 s6, 0
	s_mov_b32 s3, 0
                                        ; implicit-def: $sgpr2
	s_branch .LBB142_2498
.LBB142_2482:
	s_mov_b32 s7, -1
	s_mov_b32 s6, 0
	s_mov_b32 s3, 0
                                        ; implicit-def: $sgpr2
	s_branch .LBB142_2493
.LBB142_2483:
	s_cbranch_execnz .LBB142_2486
; %bb.2484:
	s_or_b32 s13, s13, exec_lo
                                        ; implicit-def: $vgpr8
	s_cbranch_execz .LBB142_2420
	s_branch .LBB142_2421
.LBB142_2485:
	s_mov_b32 s7, -1
	s_mov_b32 s6, 0
	s_mov_b32 s3, 0
	s_branch .LBB142_2489
.LBB142_2486:
	s_trap 2
	s_sendmsg_rtn_b32 s0, sendmsg(MSG_RTN_GET_DOORBELL)
	s_mov_b32 ttmp2, m0
	s_waitcnt lgkmcnt(0)
	s_and_b32 s0, s0, 0x3ff
	s_delay_alu instid0(SALU_CYCLE_1) | instskip(NEXT) | instid1(SALU_CYCLE_1)
	s_bitset1_b32 s0, 10
	s_mov_b32 m0, s0
	s_sendmsg sendmsg(MSG_INTERRUPT)
	s_mov_b32 m0, ttmp2
.LBB142_2487:                           ; =>This Inner Loop Header: Depth=1
	s_sethalt 5
	s_branch .LBB142_2487
.LBB142_2488:
	s_mov_b32 s3, -1
	s_mov_b32 s6, 0
.LBB142_2489:
                                        ; implicit-def: $sgpr2
.LBB142_2490:
	s_and_b32 vcc_lo, exec_lo, s7
	s_cbranch_vccz .LBB142_2492
; %bb.2491:
	v_cmp_ne_u16_e64 s3, 44, v5
	s_mov_b32 s6, -1
	s_or_b32 s2, s2, exec_lo
.LBB142_2492:
	s_mov_b32 s7, 0
.LBB142_2493:
	s_delay_alu instid0(SALU_CYCLE_1)
	s_and_b32 vcc_lo, exec_lo, s7
	s_cbranch_vccz .LBB142_2497
; %bb.2494:
	v_cmp_eq_u16_e32 vcc_lo, 29, v5
	s_cbranch_vccz .LBB142_2496
; %bb.2495:
	global_load_b64 v[9:10], v[0:1], off
	s_mov_b32 s3, 0
	s_mov_b32 s6, -1
	s_mov_b32 s7, 0
	s_waitcnt vmcnt(0)
	v_cmp_ne_u64_e32 vcc_lo, 0, v[9:10]
	s_and_b32 s2, vcc_lo, exec_lo
	s_branch .LBB142_2498
.LBB142_2496:
	s_mov_b32 s3, -1
                                        ; implicit-def: $sgpr2
.LBB142_2497:
	s_mov_b32 s7, 0
.LBB142_2498:
	s_delay_alu instid0(SALU_CYCLE_1)
	s_and_b32 vcc_lo, exec_lo, s7
	s_cbranch_vccz .LBB142_2516
; %bb.2499:
	v_cmp_gt_i16_e32 vcc_lo, 27, v5
	s_cbranch_vccnz .LBB142_2502
; %bb.2500:
	v_cmp_lt_i16_e32 vcc_lo, 27, v5
	s_cbranch_vccz .LBB142_2503
; %bb.2501:
	global_load_b32 v4, v[0:1], off
	s_mov_b32 s6, 0
	s_waitcnt vmcnt(0)
	v_cmp_ne_u32_e32 vcc_lo, 0, v4
	s_and_b32 s2, vcc_lo, exec_lo
	s_branch .LBB142_2504
.LBB142_2502:
	s_mov_b32 s6, -1
                                        ; implicit-def: $sgpr2
	s_branch .LBB142_2507
.LBB142_2503:
	s_mov_b32 s6, -1
                                        ; implicit-def: $sgpr2
.LBB142_2504:
	s_delay_alu instid0(SALU_CYCLE_1)
	s_and_not1_b32 vcc_lo, exec_lo, s6
	s_cbranch_vccnz .LBB142_2506
; %bb.2505:
	global_load_u16 v4, v[0:1], off
	s_and_not1_b32 s2, s2, exec_lo
	s_waitcnt vmcnt(0)
	v_cmp_ne_u16_e32 vcc_lo, 0, v4
	s_and_b32 s6, vcc_lo, exec_lo
	s_delay_alu instid0(SALU_CYCLE_1)
	s_or_b32 s2, s2, s6
.LBB142_2506:
	s_mov_b32 s6, 0
.LBB142_2507:
	s_delay_alu instid0(SALU_CYCLE_1)
	s_and_not1_b32 vcc_lo, exec_lo, s6
	s_cbranch_vccnz .LBB142_2515
; %bb.2508:
	global_load_u8 v4, v[0:1], off
	s_mov_b32 s6, 0
	s_mov_b32 s7, exec_lo
                                        ; implicit-def: $sgpr2
	s_waitcnt vmcnt(0)
	v_cmpx_lt_i16_e32 0x7f, v4
	s_xor_b32 s7, exec_lo, s7
	s_cbranch_execz .LBB142_2529
; %bb.2509:
	s_mov_b32 s6, -1
	s_mov_b32 s14, exec_lo
                                        ; implicit-def: $sgpr2
	v_cmpx_eq_u16_e32 0x80, v4
; %bb.2510:
	s_mov_b32 s2, -1
	s_xor_b32 s6, exec_lo, -1
; %bb.2511:
	s_or_b32 exec_lo, exec_lo, s14
	s_delay_alu instid0(SALU_CYCLE_1)
	s_and_b32 s6, s6, exec_lo
	s_and_not1_saveexec_b32 s7, s7
	s_cbranch_execnz .LBB142_2530
.LBB142_2512:
	s_or_b32 exec_lo, exec_lo, s7
	s_and_saveexec_b32 s7, s6
	s_cbranch_execz .LBB142_2514
.LBB142_2513:
	v_and_b32_e32 v4, 0xffff, v4
	s_and_not1_b32 s2, s2, exec_lo
	s_delay_alu instid0(VALU_DEP_1) | instskip(NEXT) | instid1(VALU_DEP_1)
	v_and_b32_e32 v9, 7, v4
	v_clz_i32_u32_e32 v10, v9
	s_delay_alu instid0(VALU_DEP_1) | instskip(NEXT) | instid1(VALU_DEP_1)
	v_min_u32_e32 v10, 32, v10
	v_subrev_nc_u32_e32 v11, 28, v10
	v_sub_nc_u32_e32 v10, 29, v10
	s_delay_alu instid0(VALU_DEP_2) | instskip(SKIP_1) | instid1(VALU_DEP_2)
	v_lshlrev_b32_e32 v11, v11, v4
	v_bfe_u32 v4, v4, 3, 4
	v_and_b32_e32 v11, 7, v11
	s_delay_alu instid0(VALU_DEP_2) | instskip(NEXT) | instid1(VALU_DEP_2)
	v_cmp_eq_u32_e32 vcc_lo, 0, v4
	v_dual_cndmask_b32 v4, v4, v10 :: v_dual_cndmask_b32 v9, v9, v11
	s_delay_alu instid0(VALU_DEP_1) | instskip(NEXT) | instid1(VALU_DEP_2)
	v_lshl_add_u32 v4, v4, 23, 0x3b800000
	v_lshlrev_b32_e32 v9, 20, v9
	s_delay_alu instid0(VALU_DEP_1) | instskip(NEXT) | instid1(VALU_DEP_1)
	v_and_or_b32 v4, 0x7f800000, v4, v9
	v_cmp_ne_u32_e32 vcc_lo, 0, v4
	s_and_b32 s6, vcc_lo, exec_lo
	s_delay_alu instid0(SALU_CYCLE_1)
	s_or_b32 s2, s2, s6
.LBB142_2514:
	s_or_b32 exec_lo, exec_lo, s7
.LBB142_2515:
	s_mov_b32 s6, -1
.LBB142_2516:
	s_mov_b32 s7, 0
.LBB142_2517:
	s_delay_alu instid0(SALU_CYCLE_1)
	s_and_b32 vcc_lo, exec_lo, s7
	s_cbranch_vccz .LBB142_2550
; %bb.2518:
	v_cmp_lt_i16_e32 vcc_lo, 22, v5
	s_cbranch_vccz .LBB142_2528
; %bb.2519:
	v_cmp_gt_i16_e32 vcc_lo, 24, v5
	s_cbranch_vccnz .LBB142_2531
; %bb.2520:
	v_cmp_lt_i16_e32 vcc_lo, 24, v5
	s_cbranch_vccz .LBB142_2532
; %bb.2521:
	global_load_u8 v4, v[0:1], off
	s_mov_b32 s6, exec_lo
                                        ; implicit-def: $sgpr2
	s_waitcnt vmcnt(0)
	v_cmpx_lt_i16_e32 0x7f, v4
	s_xor_b32 s6, exec_lo, s6
	s_cbranch_execz .LBB142_2544
; %bb.2522:
	s_mov_b32 s0, -1
	s_mov_b32 s7, exec_lo
                                        ; implicit-def: $sgpr2
	v_cmpx_eq_u16_e32 0x80, v4
; %bb.2523:
	s_mov_b32 s2, -1
	s_xor_b32 s0, exec_lo, -1
; %bb.2524:
	s_or_b32 exec_lo, exec_lo, s7
	s_delay_alu instid0(SALU_CYCLE_1)
	s_and_b32 s0, s0, exec_lo
	s_and_not1_saveexec_b32 s6, s6
	s_cbranch_execnz .LBB142_2545
.LBB142_2525:
	s_or_b32 exec_lo, exec_lo, s6
	s_and_saveexec_b32 s6, s0
	s_cbranch_execz .LBB142_2527
.LBB142_2526:
	v_and_b32_e32 v4, 0xffff, v4
	s_and_not1_b32 s0, s2, exec_lo
	s_delay_alu instid0(VALU_DEP_1) | instskip(NEXT) | instid1(VALU_DEP_1)
	v_and_b32_e32 v9, 3, v4
	v_clz_i32_u32_e32 v10, v9
	s_delay_alu instid0(VALU_DEP_1) | instskip(NEXT) | instid1(VALU_DEP_1)
	v_min_u32_e32 v10, 32, v10
	v_subrev_nc_u32_e32 v11, 29, v10
	v_sub_nc_u32_e32 v10, 30, v10
	s_delay_alu instid0(VALU_DEP_2) | instskip(SKIP_1) | instid1(VALU_DEP_2)
	v_lshlrev_b32_e32 v11, v11, v4
	v_bfe_u32 v4, v4, 2, 5
	v_and_b32_e32 v11, 3, v11
	s_delay_alu instid0(VALU_DEP_2) | instskip(NEXT) | instid1(VALU_DEP_2)
	v_cmp_eq_u32_e32 vcc_lo, 0, v4
	v_dual_cndmask_b32 v4, v4, v10 :: v_dual_cndmask_b32 v9, v9, v11
	s_delay_alu instid0(VALU_DEP_1) | instskip(NEXT) | instid1(VALU_DEP_2)
	v_lshl_add_u32 v4, v4, 23, 0x37800000
	v_lshlrev_b32_e32 v9, 21, v9
	s_delay_alu instid0(VALU_DEP_1) | instskip(NEXT) | instid1(VALU_DEP_1)
	v_and_or_b32 v4, 0x7f800000, v4, v9
	v_cmp_ne_u32_e32 vcc_lo, 0, v4
	s_and_b32 s2, vcc_lo, exec_lo
	s_delay_alu instid0(SALU_CYCLE_1)
	s_or_b32 s2, s0, s2
.LBB142_2527:
	s_or_b32 exec_lo, exec_lo, s6
	s_mov_b32 s0, 0
	s_branch .LBB142_2533
.LBB142_2528:
	s_mov_b32 s0, -1
                                        ; implicit-def: $sgpr2
	s_branch .LBB142_2539
.LBB142_2529:
	s_and_not1_saveexec_b32 s7, s7
	s_cbranch_execz .LBB142_2512
.LBB142_2530:
	v_cmp_ne_u16_e32 vcc_lo, 0, v4
	s_and_not1_b32 s6, s6, exec_lo
	s_and_not1_b32 s2, s2, exec_lo
	s_and_b32 s14, vcc_lo, exec_lo
	s_delay_alu instid0(SALU_CYCLE_1)
	s_or_b32 s6, s6, s14
	s_or_b32 exec_lo, exec_lo, s7
	s_and_saveexec_b32 s7, s6
	s_cbranch_execnz .LBB142_2513
	s_branch .LBB142_2514
.LBB142_2531:
	s_mov_b32 s0, -1
                                        ; implicit-def: $sgpr2
	s_branch .LBB142_2536
.LBB142_2532:
	s_mov_b32 s0, -1
                                        ; implicit-def: $sgpr2
.LBB142_2533:
	s_delay_alu instid0(SALU_CYCLE_1)
	s_and_b32 vcc_lo, exec_lo, s0
	s_cbranch_vccz .LBB142_2535
; %bb.2534:
	global_load_u8 v4, v[0:1], off
	s_and_not1_b32 s2, s2, exec_lo
	s_waitcnt vmcnt(0)
	v_lshlrev_b32_e32 v4, 24, v4
	s_delay_alu instid0(VALU_DEP_1) | instskip(NEXT) | instid1(VALU_DEP_1)
	v_and_b32_e32 v4, 0x7f000000, v4
	v_clz_i32_u32_e32 v9, v4
	v_add_nc_u32_e32 v11, 0x1000000, v4
	v_cmp_ne_u32_e32 vcc_lo, 0, v4
	s_delay_alu instid0(VALU_DEP_3) | instskip(NEXT) | instid1(VALU_DEP_3)
	v_min_u32_e32 v9, 32, v9
	v_ashrrev_i32_e32 v11, 8, v11
	s_delay_alu instid0(VALU_DEP_2) | instskip(NEXT) | instid1(VALU_DEP_1)
	v_sub_nc_u32_e64 v9, v9, 4 clamp
	v_lshlrev_b32_e32 v10, v9, v4
	v_lshlrev_b32_e32 v9, 23, v9
	s_delay_alu instid0(VALU_DEP_2) | instskip(NEXT) | instid1(VALU_DEP_1)
	v_lshrrev_b32_e32 v10, 4, v10
	v_sub_nc_u32_e32 v9, v10, v9
	v_and_b32_e32 v10, 0x7f800000, v11
	s_delay_alu instid0(VALU_DEP_2) | instskip(NEXT) | instid1(VALU_DEP_1)
	v_add_nc_u32_e32 v9, 0x3c000000, v9
	v_and_or_b32 v9, 0x7ff00000, v9, v10
	s_delay_alu instid0(VALU_DEP_1) | instskip(NEXT) | instid1(VALU_DEP_1)
	v_cmp_ne_u32_e64 s0, 0, v9
	s_and_b32 s0, vcc_lo, s0
	s_delay_alu instid0(SALU_CYCLE_1) | instskip(NEXT) | instid1(SALU_CYCLE_1)
	s_and_b32 s0, s0, exec_lo
	s_or_b32 s2, s2, s0
.LBB142_2535:
	s_mov_b32 s0, 0
.LBB142_2536:
	s_delay_alu instid0(SALU_CYCLE_1)
	s_and_not1_b32 vcc_lo, exec_lo, s0
	s_cbranch_vccnz .LBB142_2538
; %bb.2537:
	global_load_u8 v4, v[0:1], off
	s_and_not1_b32 s0, s2, exec_lo
	s_waitcnt vmcnt(0)
	v_lshlrev_b32_e32 v9, 25, v4
	v_lshlrev_b32_e32 v4, 8, v4
	s_delay_alu instid0(VALU_DEP_2) | instskip(NEXT) | instid1(VALU_DEP_2)
	v_lshrrev_b32_e32 v10, 4, v9
	v_and_or_b32 v4, 0x7f00, v4, 0.5
	s_delay_alu instid0(VALU_DEP_2) | instskip(NEXT) | instid1(VALU_DEP_2)
	v_or_b32_e32 v10, 0x70000000, v10
	v_add_f32_e32 v4, -0.5, v4
	s_delay_alu instid0(VALU_DEP_2) | instskip(SKIP_1) | instid1(VALU_DEP_2)
	v_mul_f32_e32 v10, 0x7800000, v10
	v_cmp_gt_u32_e32 vcc_lo, 0x8000000, v9
	v_cndmask_b32_e32 v4, v10, v4, vcc_lo
	s_delay_alu instid0(VALU_DEP_1) | instskip(SKIP_1) | instid1(SALU_CYCLE_1)
	v_cmp_neq_f32_e32 vcc_lo, 0, v4
	s_and_b32 s2, vcc_lo, exec_lo
	s_or_b32 s2, s0, s2
.LBB142_2538:
	s_mov_b32 s0, 0
	s_mov_b32 s6, -1
.LBB142_2539:
	s_and_not1_b32 vcc_lo, exec_lo, s0
	s_mov_b32 s0, 0
	s_cbranch_vccnz .LBB142_2550
; %bb.2540:
	v_cmp_lt_i16_e32 vcc_lo, 14, v5
	s_cbranch_vccz .LBB142_2543
; %bb.2541:
	v_cmp_eq_u16_e32 vcc_lo, 15, v5
	s_cbranch_vccz .LBB142_2546
; %bb.2542:
	global_load_u16 v4, v[0:1], off
	s_mov_b32 s3, 0
	s_mov_b32 s6, -1
	s_waitcnt vmcnt(0)
	v_and_b32_e32 v4, 0x7fff, v4
	s_delay_alu instid0(VALU_DEP_1)
	v_cmp_ne_u16_e32 vcc_lo, 0, v4
	s_and_b32 s2, vcc_lo, exec_lo
	s_branch .LBB142_2548
.LBB142_2543:
	s_mov_b32 s0, -1
	s_branch .LBB142_2547
.LBB142_2544:
	s_and_not1_saveexec_b32 s6, s6
	s_cbranch_execz .LBB142_2525
.LBB142_2545:
	v_cmp_ne_u16_e32 vcc_lo, 0, v4
	s_and_not1_b32 s0, s0, exec_lo
	s_and_not1_b32 s2, s2, exec_lo
	s_and_b32 s7, vcc_lo, exec_lo
	s_delay_alu instid0(SALU_CYCLE_1)
	s_or_b32 s0, s0, s7
	s_or_b32 exec_lo, exec_lo, s6
	s_and_saveexec_b32 s6, s0
	s_cbranch_execnz .LBB142_2526
	s_branch .LBB142_2527
.LBB142_2546:
	s_mov_b32 s3, -1
.LBB142_2547:
                                        ; implicit-def: $sgpr2
.LBB142_2548:
	s_and_b32 vcc_lo, exec_lo, s0
	s_mov_b32 s0, 0
	s_cbranch_vccz .LBB142_2550
; %bb.2549:
	v_cmp_ne_u16_e64 s3, 11, v5
	s_mov_b32 s0, -1
	s_and_not1_b32 s2, s2, exec_lo
.LBB142_2550:
	s_delay_alu instid0(VALU_DEP_1)
	s_and_b32 vcc_lo, exec_lo, s3
	s_cbranch_vccnz .LBB142_3083
; %bb.2551:
	s_and_not1_b32 vcc_lo, exec_lo, s0
	s_cbranch_vccnz .LBB142_2553
.LBB142_2552:
	global_load_u8 v4, v[0:1], off
	s_and_not1_b32 s0, s2, exec_lo
	s_mov_b32 s6, -1
	s_waitcnt vmcnt(0)
	v_cmp_ne_u16_e32 vcc_lo, 0, v4
	s_and_b32 s2, vcc_lo, exec_lo
	s_delay_alu instid0(SALU_CYCLE_1)
	s_or_b32 s2, s0, s2
.LBB142_2553:
	s_mov_b32 s0, 0
.LBB142_2554:
	s_delay_alu instid0(SALU_CYCLE_1)
	s_and_b32 vcc_lo, exec_lo, s0
	s_cbranch_vccz .LBB142_2603
; %bb.2555:
	v_cmp_gt_i16_e32 vcc_lo, 5, v5
	s_cbranch_vccnz .LBB142_2560
; %bb.2556:
	v_cmp_gt_i16_e32 vcc_lo, 8, v5
	s_cbranch_vccnz .LBB142_2561
	;; [unrolled: 3-line block ×3, first 2 shown]
; %bb.2558:
	v_cmp_lt_i16_e32 vcc_lo, 9, v5
	s_cbranch_vccz .LBB142_2563
; %bb.2559:
	global_load_b128 v[9:12], v[0:1], off
	s_waitcnt vmcnt(0)
	v_cmp_neq_f64_e32 vcc_lo, 0, v[9:10]
	v_cmp_neq_f64_e64 s0, 0, v[11:12]
	s_delay_alu instid0(VALU_DEP_1)
	s_or_b32 s2, vcc_lo, s0
	s_mov_b32 s0, 0
	s_and_b32 s2, s2, exec_lo
	s_branch .LBB142_2564
.LBB142_2560:
	s_mov_b32 s0, -1
                                        ; implicit-def: $sgpr2
	s_branch .LBB142_2582
.LBB142_2561:
	s_mov_b32 s0, -1
                                        ; implicit-def: $sgpr2
	s_branch .LBB142_2570
.LBB142_2562:
	s_mov_b32 s0, -1
                                        ; implicit-def: $sgpr2
	s_branch .LBB142_2567
.LBB142_2563:
	s_mov_b32 s0, -1
                                        ; implicit-def: $sgpr2
.LBB142_2564:
	s_delay_alu instid0(SALU_CYCLE_1)
	s_and_not1_b32 vcc_lo, exec_lo, s0
	s_cbranch_vccnz .LBB142_2566
; %bb.2565:
	global_load_b64 v[9:10], v[0:1], off
	s_and_not1_b32 s0, s2, exec_lo
	s_waitcnt vmcnt(0)
	v_or_b32_e32 v4, v9, v10
	s_delay_alu instid0(VALU_DEP_1) | instskip(NEXT) | instid1(VALU_DEP_1)
	v_and_b32_e32 v4, 0x7fffffff, v4
	v_cmp_ne_u32_e32 vcc_lo, 0, v4
	s_and_b32 s2, vcc_lo, exec_lo
	s_delay_alu instid0(SALU_CYCLE_1)
	s_or_b32 s2, s0, s2
.LBB142_2566:
	s_mov_b32 s0, 0
.LBB142_2567:
	s_delay_alu instid0(SALU_CYCLE_1)
	s_and_not1_b32 vcc_lo, exec_lo, s0
	s_cbranch_vccnz .LBB142_2569
; %bb.2568:
	global_load_b32 v4, v[0:1], off
	s_and_not1_b32 s0, s2, exec_lo
	s_waitcnt vmcnt(0)
	v_and_b32_e32 v4, 0x7fff7fff, v4
	s_delay_alu instid0(VALU_DEP_1) | instskip(SKIP_1) | instid1(SALU_CYCLE_1)
	v_cmp_ne_u32_e32 vcc_lo, 0, v4
	s_and_b32 s2, vcc_lo, exec_lo
	s_or_b32 s2, s0, s2
.LBB142_2569:
	s_mov_b32 s0, 0
.LBB142_2570:
	s_delay_alu instid0(SALU_CYCLE_1)
	s_and_not1_b32 vcc_lo, exec_lo, s0
	s_cbranch_vccnz .LBB142_2581
; %bb.2571:
	v_cmp_gt_i16_e32 vcc_lo, 6, v5
	s_cbranch_vccnz .LBB142_2574
; %bb.2572:
	v_cmp_lt_i16_e32 vcc_lo, 6, v5
	s_cbranch_vccz .LBB142_2575
; %bb.2573:
	global_load_b64 v[9:10], v[0:1], off
	s_mov_b32 s0, 0
	s_waitcnt vmcnt(0)
	v_cmp_neq_f64_e32 vcc_lo, 0, v[9:10]
	s_and_b32 s2, vcc_lo, exec_lo
	s_branch .LBB142_2576
.LBB142_2574:
	s_mov_b32 s0, -1
                                        ; implicit-def: $sgpr2
	s_branch .LBB142_2579
.LBB142_2575:
	s_mov_b32 s0, -1
                                        ; implicit-def: $sgpr2
.LBB142_2576:
	s_delay_alu instid0(SALU_CYCLE_1)
	s_and_not1_b32 vcc_lo, exec_lo, s0
	s_cbranch_vccnz .LBB142_2578
; %bb.2577:
	global_load_b32 v4, v[0:1], off
	s_and_not1_b32 s0, s2, exec_lo
	s_waitcnt vmcnt(0)
	v_cmp_neq_f32_e32 vcc_lo, 0, v4
	s_and_b32 s2, vcc_lo, exec_lo
	s_delay_alu instid0(SALU_CYCLE_1)
	s_or_b32 s2, s0, s2
.LBB142_2578:
	s_mov_b32 s0, 0
.LBB142_2579:
	s_delay_alu instid0(SALU_CYCLE_1)
	s_and_not1_b32 vcc_lo, exec_lo, s0
	s_cbranch_vccnz .LBB142_2581
; %bb.2580:
	global_load_u16 v4, v[0:1], off
	s_and_not1_b32 s0, s2, exec_lo
	s_waitcnt vmcnt(0)
	v_and_b32_e32 v4, 0x7fff, v4
	s_delay_alu instid0(VALU_DEP_1) | instskip(SKIP_1) | instid1(SALU_CYCLE_1)
	v_cmp_ne_u16_e32 vcc_lo, 0, v4
	s_and_b32 s2, vcc_lo, exec_lo
	s_or_b32 s2, s0, s2
.LBB142_2581:
	s_mov_b32 s0, 0
.LBB142_2582:
	s_delay_alu instid0(SALU_CYCLE_1)
	s_and_not1_b32 vcc_lo, exec_lo, s0
	s_cbranch_vccnz .LBB142_2602
; %bb.2583:
	v_cmp_gt_i16_e32 vcc_lo, 2, v5
	s_cbranch_vccnz .LBB142_2587
; %bb.2584:
	v_cmp_gt_i16_e32 vcc_lo, 3, v5
	s_cbranch_vccnz .LBB142_2588
; %bb.2585:
	v_cmp_lt_i16_e32 vcc_lo, 3, v5
	s_cbranch_vccz .LBB142_2589
; %bb.2586:
	global_load_b64 v[9:10], v[0:1], off
	s_mov_b32 s0, 0
	s_waitcnt vmcnt(0)
	v_cmp_ne_u64_e32 vcc_lo, 0, v[9:10]
	s_and_b32 s2, vcc_lo, exec_lo
	s_branch .LBB142_2590
.LBB142_2587:
	s_mov_b32 s0, -1
                                        ; implicit-def: $sgpr2
	s_branch .LBB142_2596
.LBB142_2588:
	s_mov_b32 s0, -1
                                        ; implicit-def: $sgpr2
	s_branch .LBB142_2593
.LBB142_2589:
	s_mov_b32 s0, -1
                                        ; implicit-def: $sgpr2
.LBB142_2590:
	s_delay_alu instid0(SALU_CYCLE_1)
	s_and_not1_b32 vcc_lo, exec_lo, s0
	s_cbranch_vccnz .LBB142_2592
; %bb.2591:
	global_load_b32 v4, v[0:1], off
	s_and_not1_b32 s0, s2, exec_lo
	s_waitcnt vmcnt(0)
	v_cmp_ne_u32_e32 vcc_lo, 0, v4
	s_and_b32 s2, vcc_lo, exec_lo
	s_delay_alu instid0(SALU_CYCLE_1)
	s_or_b32 s2, s0, s2
.LBB142_2592:
	s_mov_b32 s0, 0
.LBB142_2593:
	s_delay_alu instid0(SALU_CYCLE_1)
	s_and_not1_b32 vcc_lo, exec_lo, s0
	s_cbranch_vccnz .LBB142_2595
; %bb.2594:
	global_load_u16 v4, v[0:1], off
	s_and_not1_b32 s0, s2, exec_lo
	s_waitcnt vmcnt(0)
	v_cmp_ne_u16_e32 vcc_lo, 0, v4
	s_and_b32 s2, vcc_lo, exec_lo
	s_delay_alu instid0(SALU_CYCLE_1)
	s_or_b32 s2, s0, s2
.LBB142_2595:
	s_mov_b32 s0, 0
.LBB142_2596:
	s_delay_alu instid0(SALU_CYCLE_1)
	s_and_not1_b32 vcc_lo, exec_lo, s0
	s_cbranch_vccnz .LBB142_2602
; %bb.2597:
	v_cmp_lt_i16_e32 vcc_lo, 0, v5
	s_mov_b32 s0, 0
	s_cbranch_vccz .LBB142_2599
; %bb.2598:
	global_load_u8 v4, v[0:1], off
	s_waitcnt vmcnt(0)
	v_cmp_ne_u16_e32 vcc_lo, 0, v4
	s_and_b32 s2, vcc_lo, exec_lo
	s_branch .LBB142_2600
.LBB142_2599:
	s_mov_b32 s0, -1
                                        ; implicit-def: $sgpr2
.LBB142_2600:
	s_delay_alu instid0(SALU_CYCLE_1)
	s_and_not1_b32 vcc_lo, exec_lo, s0
	s_cbranch_vccnz .LBB142_2602
; %bb.2601:
	global_load_u8 v0, v[0:1], off
	s_and_not1_b32 s0, s2, exec_lo
	s_waitcnt vmcnt(0)
	v_cmp_ne_u16_e32 vcc_lo, 0, v0
	s_and_b32 s2, vcc_lo, exec_lo
	s_delay_alu instid0(SALU_CYCLE_1)
	s_or_b32 s2, s0, s2
.LBB142_2602:
	s_mov_b32 s6, -1
.LBB142_2603:
	s_delay_alu instid0(SALU_CYCLE_1)
	s_and_not1_b32 vcc_lo, exec_lo, s6
	s_cbranch_vccnz .LBB142_3037
; %bb.2604:
	v_cndmask_b32_e64 v0, 0, 1.0, s1
	s_waitcnt vmcnt(0)
	v_lshlrev_b32_e32 v1, 16, v3
	v_mul_lo_u32 v2, s8, v2
	v_and_b32_e64 v3, 0xff, s12
	s_delay_alu instid0(VALU_DEP_3) | instskip(NEXT) | instid1(VALU_DEP_2)
	v_mul_f32_e32 v0, v1, v0
	v_cmp_gt_i16_e32 vcc_lo, 11, v3
	s_delay_alu instid0(VALU_DEP_4) | instskip(NEXT) | instid1(VALU_DEP_3)
	v_ashrrev_i32_e32 v1, 31, v2
	v_mul_f32_e32 v4, s11, v0
	s_and_b32 vcc_lo, exec_lo, vcc_lo
	s_delay_alu instid0(VALU_DEP_1) | instskip(NEXT) | instid1(VALU_DEP_1)
	v_bfe_u32 v0, v4, 16, 1
	v_add3_u32 v0, v4, v0, 0x7fff
	s_delay_alu instid0(VALU_DEP_1) | instskip(SKIP_1) | instid1(VALU_DEP_1)
	v_lshrrev_b32_e32 v5, 16, v0
	v_add_co_u32 v0, s0, s4, v2
	v_add_co_ci_u32_e64 v1, s0, s5, v1, s0
	v_cmp_o_f32_e64 s0, v4, v4
	s_delay_alu instid0(VALU_DEP_1)
	v_cndmask_b32_e64 v4, 0x7fc0, v5, s0
	s_cbranch_vccnz .LBB142_2682
; %bb.2605:
	v_cmp_lt_i16_e32 vcc_lo, 25, v3
	s_mov_b32 s6, -1
	s_mov_b32 s1, 0
	s_mov_b32 s3, 0
	;; [unrolled: 1-line block ×3, first 2 shown]
	s_cbranch_vccz .LBB142_2638
; %bb.2606:
	v_cmp_lt_i16_e32 vcc_lo, 28, v3
	s_cbranch_vccz .LBB142_2621
; %bb.2607:
	v_cmp_lt_i16_e32 vcc_lo, 43, v3
	;; [unrolled: 3-line block ×3, first 2 shown]
	s_cbranch_vccz .LBB142_2611
; %bb.2609:
	v_cmp_eq_u16_e32 vcc_lo, 46, v3
	s_mov_b32 s0, -1
	s_mov_b32 s6, 0
	s_cbranch_vccz .LBB142_2611
; %bb.2610:
	v_and_b32_e32 v5, 0xffff, v4
	s_mov_b32 s0, 0
	s_mov_b32 s3, -1
	global_store_b32 v[0:1], v5, off
.LBB142_2611:
	s_and_b32 vcc_lo, exec_lo, s6
	s_cbranch_vccz .LBB142_2616
; %bb.2612:
	v_cmp_eq_u16_e32 vcc_lo, 44, v3
	s_mov_b32 s0, -1
	s_cbranch_vccz .LBB142_2616
; %bb.2613:
	v_and_b32_e32 v5, 0xffff, v4
	v_mov_b32_e32 v9, 0xff
	s_mov_b32 s3, exec_lo
	s_delay_alu instid0(VALU_DEP_2) | instskip(NEXT) | instid1(VALU_DEP_1)
	v_bfe_u32 v10, v5, 7, 8
	v_cmpx_ne_u32_e32 0xff, v10
; %bb.2614:
	v_lshlrev_b32_e32 v9, 16, v5
	v_and_b32_e32 v11, 64, v5
	v_lshrrev_b32_e32 v5, 7, v5
	s_delay_alu instid0(VALU_DEP_3) | instskip(NEXT) | instid1(VALU_DEP_3)
	v_and_or_b32 v9, 0x3f0000, v9, v10
	v_cmp_ne_u32_e32 vcc_lo, 0, v11
	s_delay_alu instid0(VALU_DEP_2) | instskip(NEXT) | instid1(VALU_DEP_1)
	v_cmp_ne_u32_e64 s0, 0, v9
	s_and_b32 s0, vcc_lo, s0
	s_delay_alu instid0(SALU_CYCLE_1) | instskip(NEXT) | instid1(VALU_DEP_1)
	v_cndmask_b32_e64 v9, 0, 1, s0
	v_add_nc_u32_e32 v9, v5, v9
; %bb.2615:
	s_or_b32 exec_lo, exec_lo, s3
	s_mov_b32 s0, 0
	s_mov_b32 s3, -1
	global_store_b8 v[0:1], v9, off
.LBB142_2616:
	s_mov_b32 s6, 0
.LBB142_2617:
	s_delay_alu instid0(SALU_CYCLE_1)
	s_and_b32 vcc_lo, exec_lo, s6
	s_cbranch_vccz .LBB142_2620
; %bb.2618:
	v_cmp_eq_u16_e32 vcc_lo, 29, v3
	s_mov_b32 s0, -1
	s_cbranch_vccz .LBB142_2620
; %bb.2619:
	v_lshlrev_b32_e32 v5, 16, v4
	s_mov_b32 s0, 0
	s_mov_b32 s3, -1
	s_delay_alu instid0(VALU_DEP_1) | instskip(NEXT) | instid1(VALU_DEP_1)
	v_trunc_f32_e32 v5, v5
	v_mul_f32_e32 v9, 0x2f800000, v5
	s_delay_alu instid0(VALU_DEP_1) | instskip(NEXT) | instid1(VALU_DEP_1)
	v_floor_f32_e32 v9, v9
	v_fmamk_f32 v5, v9, 0xcf800000, v5
	v_cvt_u32_f32_e32 v10, v9
	s_delay_alu instid0(VALU_DEP_2)
	v_cvt_u32_f32_e32 v9, v5
	global_store_b64 v[0:1], v[9:10], off
.LBB142_2620:
	s_mov_b32 s6, 0
.LBB142_2621:
	s_delay_alu instid0(SALU_CYCLE_1)
	s_and_b32 vcc_lo, exec_lo, s6
	s_cbranch_vccz .LBB142_2637
; %bb.2622:
	v_cmp_gt_i16_e32 vcc_lo, 27, v3
	s_mov_b32 s3, -1
	s_cbranch_vccnz .LBB142_2628
; %bb.2623:
	v_cmp_lt_i16_e32 vcc_lo, 27, v3
	s_cbranch_vccz .LBB142_2625
; %bb.2624:
	v_lshlrev_b32_e32 v5, 16, v4
	s_mov_b32 s3, 0
	s_delay_alu instid0(VALU_DEP_1)
	v_cvt_u32_f32_e32 v5, v5
	global_store_b32 v[0:1], v5, off
.LBB142_2625:
	s_and_not1_b32 vcc_lo, exec_lo, s3
	s_cbranch_vccnz .LBB142_2627
; %bb.2626:
	v_lshlrev_b32_e32 v5, 16, v4
	s_delay_alu instid0(VALU_DEP_1)
	v_cvt_u32_f32_e32 v5, v5
	global_store_b16 v[0:1], v5, off
.LBB142_2627:
	s_mov_b32 s3, 0
.LBB142_2628:
	s_delay_alu instid0(SALU_CYCLE_1)
	s_and_not1_b32 vcc_lo, exec_lo, s3
	s_cbranch_vccnz .LBB142_2636
; %bb.2629:
	v_dual_mov_b32 v11, 0x80 :: v_dual_lshlrev_b32 v10, 16, v4
	s_mov_b32 s3, exec_lo
	s_delay_alu instid0(VALU_DEP_1) | instskip(NEXT) | instid1(VALU_DEP_1)
	v_and_b32_e32 v9, 0x7fffffff, v10
	v_cmpx_gt_u32_e32 0x43800000, v9
	s_cbranch_execz .LBB142_2635
; %bb.2630:
	v_and_b32_e32 v5, 0xffff, v4
	v_cmp_lt_u32_e32 vcc_lo, 0x3bffffff, v9
	s_mov_b32 s6, 0
                                        ; implicit-def: $vgpr9
	s_and_saveexec_b32 s7, vcc_lo
	s_delay_alu instid0(SALU_CYCLE_1)
	s_xor_b32 s7, exec_lo, s7
	s_cbranch_execz .LBB142_3085
; %bb.2631:
	v_bfe_u32 v9, v5, 4, 1
	s_mov_b32 s6, exec_lo
	s_delay_alu instid0(VALU_DEP_1) | instskip(NEXT) | instid1(VALU_DEP_1)
	v_add3_u32 v9, v10, v9, 0x487ffff
                                        ; implicit-def: $vgpr10
	v_lshrrev_b32_e32 v9, 20, v9
	s_or_saveexec_b32 s7, s7
                                        ; implicit-def: $sgpr12
	s_delay_alu instid0(SALU_CYCLE_1)
	s_xor_b32 exec_lo, exec_lo, s7
	s_cbranch_execnz .LBB142_3086
.LBB142_2632:
	s_or_b32 exec_lo, exec_lo, s7
	v_mov_b32_e32 v11, s12
	s_and_saveexec_b32 s7, s6
.LBB142_2633:
	v_lshrrev_b32_e32 v5, 8, v5
	s_delay_alu instid0(VALU_DEP_1)
	v_and_or_b32 v11, 0x80, v5, v9
.LBB142_2634:
	s_or_b32 exec_lo, exec_lo, s7
.LBB142_2635:
	s_delay_alu instid0(SALU_CYCLE_1)
	s_or_b32 exec_lo, exec_lo, s3
	global_store_b8 v[0:1], v11, off
.LBB142_2636:
	s_mov_b32 s3, -1
.LBB142_2637:
	s_mov_b32 s6, 0
.LBB142_2638:
	s_delay_alu instid0(SALU_CYCLE_1)
	s_and_b32 vcc_lo, exec_lo, s6
	s_cbranch_vccz .LBB142_2678
; %bb.2639:
	v_cmp_lt_i16_e32 vcc_lo, 22, v3
	s_mov_b32 s1, -1
	s_cbranch_vccz .LBB142_2671
; %bb.2640:
	v_cmp_gt_i16_e32 vcc_lo, 24, v3
	s_cbranch_vccnz .LBB142_2660
; %bb.2641:
	v_cmp_lt_i16_e32 vcc_lo, 24, v3
	s_cbranch_vccz .LBB142_2649
; %bb.2642:
	v_dual_mov_b32 v11, 0x80 :: v_dual_lshlrev_b32 v10, 16, v4
	s_mov_b32 s1, exec_lo
	s_delay_alu instid0(VALU_DEP_1) | instskip(NEXT) | instid1(VALU_DEP_1)
	v_and_b32_e32 v9, 0x7fffffff, v10
	v_cmpx_gt_u32_e32 0x47800000, v9
	s_cbranch_execz .LBB142_2648
; %bb.2643:
	v_and_b32_e32 v5, 0xffff, v4
	v_cmp_lt_u32_e32 vcc_lo, 0x37ffffff, v9
	s_mov_b32 s3, 0
                                        ; implicit-def: $vgpr9
	s_and_saveexec_b32 s6, vcc_lo
	s_delay_alu instid0(SALU_CYCLE_1)
	s_xor_b32 s6, exec_lo, s6
	s_cbranch_execz .LBB142_3091
; %bb.2644:
	v_bfe_u32 v9, v5, 5, 1
	s_mov_b32 s3, exec_lo
	s_delay_alu instid0(VALU_DEP_1) | instskip(NEXT) | instid1(VALU_DEP_1)
	v_add3_u32 v9, v10, v9, 0x88fffff
                                        ; implicit-def: $vgpr10
	v_lshrrev_b32_e32 v9, 21, v9
	s_or_saveexec_b32 s6, s6
                                        ; implicit-def: $sgpr7
	s_delay_alu instid0(SALU_CYCLE_1)
	s_xor_b32 exec_lo, exec_lo, s6
	s_cbranch_execnz .LBB142_3092
.LBB142_2645:
	s_or_b32 exec_lo, exec_lo, s6
	v_mov_b32_e32 v11, s7
	s_and_saveexec_b32 s6, s3
.LBB142_2646:
	v_lshrrev_b32_e32 v5, 8, v5
	s_delay_alu instid0(VALU_DEP_1)
	v_and_or_b32 v11, 0x80, v5, v9
.LBB142_2647:
	s_or_b32 exec_lo, exec_lo, s6
.LBB142_2648:
	s_delay_alu instid0(SALU_CYCLE_1)
	s_or_b32 exec_lo, exec_lo, s1
	s_mov_b32 s1, 0
	global_store_b8 v[0:1], v11, off
.LBB142_2649:
	s_and_b32 vcc_lo, exec_lo, s1
	s_cbranch_vccz .LBB142_2659
; %bb.2650:
	v_lshlrev_b32_e32 v10, 16, v4
	v_and_b32_e32 v5, 0xffff, v4
	s_mov_b32 s1, exec_lo
                                        ; implicit-def: $vgpr9
	s_delay_alu instid0(VALU_DEP_2) | instskip(NEXT) | instid1(VALU_DEP_1)
	v_and_b32_e32 v11, 0x7fffffff, v10
	v_cmpx_gt_u32_e32 0x43f00000, v11
	s_xor_b32 s1, exec_lo, s1
	s_cbranch_execz .LBB142_2656
; %bb.2651:
	s_mov_b32 s3, exec_lo
                                        ; implicit-def: $vgpr9
	v_cmpx_lt_u32_e32 0x3c7fffff, v11
	s_xor_b32 s3, exec_lo, s3
; %bb.2652:
	v_bfe_u32 v9, v5, 4, 1
	s_delay_alu instid0(VALU_DEP_1) | instskip(NEXT) | instid1(VALU_DEP_1)
	v_add3_u32 v9, v10, v9, 0x407ffff
	v_and_b32_e32 v10, 0xff00000, v9
	v_lshrrev_b32_e32 v9, 20, v9
	s_delay_alu instid0(VALU_DEP_2) | instskip(NEXT) | instid1(VALU_DEP_2)
	v_cmp_ne_u32_e32 vcc_lo, 0x7f00000, v10
                                        ; implicit-def: $vgpr10
	v_cndmask_b32_e32 v9, 0x7e, v9, vcc_lo
; %bb.2653:
	s_and_not1_saveexec_b32 s3, s3
; %bb.2654:
	v_add_f32_e64 v9, 0x46800000, |v10|
; %bb.2655:
	s_or_b32 exec_lo, exec_lo, s3
                                        ; implicit-def: $vgpr11
.LBB142_2656:
	s_and_not1_saveexec_b32 s1, s1
; %bb.2657:
	v_mov_b32_e32 v9, 0x7f
	v_cmp_lt_u32_e32 vcc_lo, 0x7f800000, v11
	s_delay_alu instid0(VALU_DEP_2)
	v_cndmask_b32_e32 v9, 0x7e, v9, vcc_lo
; %bb.2658:
	s_or_b32 exec_lo, exec_lo, s1
	v_lshrrev_b32_e32 v5, 8, v5
	s_delay_alu instid0(VALU_DEP_1)
	v_and_or_b32 v5, 0x80, v5, v9
	global_store_b8 v[0:1], v5, off
.LBB142_2659:
	s_mov_b32 s1, 0
.LBB142_2660:
	s_delay_alu instid0(SALU_CYCLE_1)
	s_and_not1_b32 vcc_lo, exec_lo, s1
	s_cbranch_vccnz .LBB142_2670
; %bb.2661:
	v_lshlrev_b32_e32 v10, 16, v4
	v_and_b32_e32 v5, 0xffff, v4
	s_mov_b32 s1, exec_lo
                                        ; implicit-def: $vgpr9
	s_delay_alu instid0(VALU_DEP_2) | instskip(NEXT) | instid1(VALU_DEP_1)
	v_and_b32_e32 v11, 0x7fffffff, v10
	v_cmpx_gt_u32_e32 0x47800000, v11
	s_xor_b32 s1, exec_lo, s1
	s_cbranch_execz .LBB142_2667
; %bb.2662:
	s_mov_b32 s3, exec_lo
                                        ; implicit-def: $vgpr9
	v_cmpx_lt_u32_e32 0x387fffff, v11
	s_xor_b32 s3, exec_lo, s3
; %bb.2663:
	v_bfe_u32 v9, v5, 5, 1
	s_delay_alu instid0(VALU_DEP_1) | instskip(NEXT) | instid1(VALU_DEP_1)
	v_add3_u32 v9, v10, v9, 0x80fffff
                                        ; implicit-def: $vgpr10
	v_lshrrev_b32_e32 v9, 21, v9
; %bb.2664:
	s_and_not1_saveexec_b32 s3, s3
; %bb.2665:
	v_add_f32_e64 v9, 0x43000000, |v10|
; %bb.2666:
	s_or_b32 exec_lo, exec_lo, s3
                                        ; implicit-def: $vgpr11
.LBB142_2667:
	s_and_not1_saveexec_b32 s1, s1
; %bb.2668:
	v_mov_b32_e32 v9, 0x7f
	v_cmp_lt_u32_e32 vcc_lo, 0x7f800000, v11
	s_delay_alu instid0(VALU_DEP_2)
	v_cndmask_b32_e32 v9, 0x7c, v9, vcc_lo
; %bb.2669:
	s_or_b32 exec_lo, exec_lo, s1
	v_lshrrev_b32_e32 v5, 8, v5
	s_delay_alu instid0(VALU_DEP_1)
	v_and_or_b32 v5, 0x80, v5, v9
	global_store_b8 v[0:1], v5, off
.LBB142_2670:
	s_mov_b32 s1, 0
	s_mov_b32 s3, -1
.LBB142_2671:
	s_and_not1_b32 vcc_lo, exec_lo, s1
	s_mov_b32 s1, 0
	s_cbranch_vccnz .LBB142_2678
; %bb.2672:
	v_cmp_lt_i16_e32 vcc_lo, 14, v3
	s_mov_b32 s1, -1
	s_cbranch_vccz .LBB142_2676
; %bb.2673:
	v_cmp_eq_u16_e32 vcc_lo, 15, v3
	s_mov_b32 s0, -1
	s_cbranch_vccz .LBB142_2675
; %bb.2674:
	s_mov_b32 s0, 0
	s_mov_b32 s3, -1
	global_store_b16 v[0:1], v4, off
.LBB142_2675:
	s_mov_b32 s1, 0
.LBB142_2676:
	s_delay_alu instid0(SALU_CYCLE_1)
	s_and_b32 vcc_lo, exec_lo, s1
	s_mov_b32 s1, 0
	s_cbranch_vccz .LBB142_2678
; %bb.2677:
	v_cmp_ne_u16_e64 s0, 11, v3
	s_mov_b32 s1, -1
.LBB142_2678:
	s_delay_alu instid0(VALU_DEP_1)
	s_and_b32 vcc_lo, exec_lo, s0
	s_cbranch_vccnz .LBB142_3089
; %bb.2679:
	s_and_not1_b32 vcc_lo, exec_lo, s1
	s_cbranch_vccnz .LBB142_2681
.LBB142_2680:
	v_and_b32_e32 v5, 0x7fff, v4
	s_mov_b32 s3, -1
	s_delay_alu instid0(VALU_DEP_1)
	v_cmp_ne_u16_e32 vcc_lo, 0, v5
	v_cndmask_b32_e64 v5, 0, 1, vcc_lo
	global_store_b8 v[0:1], v5, off
.LBB142_2681:
	s_mov_b32 s0, 0
	s_branch .LBB142_2683
.LBB142_2682:
	s_mov_b32 s0, -1
	s_mov_b32 s3, 0
.LBB142_2683:
	s_and_b32 vcc_lo, exec_lo, s0
	s_cbranch_vccz .LBB142_2722
; %bb.2684:
	v_cmp_gt_i16_e32 vcc_lo, 5, v3
	s_mov_b32 s0, -1
	s_cbranch_vccnz .LBB142_2705
; %bb.2685:
	v_cmp_gt_i16_e32 vcc_lo, 8, v3
	s_cbranch_vccnz .LBB142_2695
; %bb.2686:
	v_cmp_gt_i16_e32 vcc_lo, 9, v3
	s_cbranch_vccnz .LBB142_2692
; %bb.2687:
	v_cmp_lt_i16_e32 vcc_lo, 9, v3
	s_cbranch_vccz .LBB142_2689
; %bb.2688:
	v_mov_b32_e32 v11, 0
	v_lshlrev_b32_e32 v5, 16, v4
	s_mov_b32 s0, 0
	s_delay_alu instid0(VALU_DEP_2) | instskip(NEXT) | instid1(VALU_DEP_2)
	v_mov_b32_e32 v12, v11
	v_cvt_f64_f32_e32 v[9:10], v5
	global_store_b128 v[0:1], v[9:12], off
.LBB142_2689:
	s_and_not1_b32 vcc_lo, exec_lo, s0
	s_cbranch_vccnz .LBB142_2691
; %bb.2690:
	v_dual_mov_b32 v10, 0 :: v_dual_lshlrev_b32 v9, 16, v4
	global_store_b64 v[0:1], v[9:10], off
.LBB142_2691:
	s_mov_b32 s0, 0
.LBB142_2692:
	s_delay_alu instid0(SALU_CYCLE_1)
	s_and_not1_b32 vcc_lo, exec_lo, s0
	s_cbranch_vccnz .LBB142_2694
; %bb.2693:
	v_lshlrev_b32_e32 v5, 16, v4
	s_delay_alu instid0(VALU_DEP_1) | instskip(NEXT) | instid1(VALU_DEP_1)
	v_cvt_f16_f32_e32 v5, v5
	v_and_b32_e32 v5, 0xffff, v5
	global_store_b32 v[0:1], v5, off
.LBB142_2694:
	s_mov_b32 s0, 0
.LBB142_2695:
	s_delay_alu instid0(SALU_CYCLE_1)
	s_and_not1_b32 vcc_lo, exec_lo, s0
	s_cbranch_vccnz .LBB142_2704
; %bb.2696:
	v_cmp_gt_i16_e32 vcc_lo, 6, v3
	s_mov_b32 s0, -1
	s_cbranch_vccnz .LBB142_2702
; %bb.2697:
	v_cmp_lt_i16_e32 vcc_lo, 6, v3
	s_cbranch_vccz .LBB142_2699
; %bb.2698:
	v_lshlrev_b32_e32 v5, 16, v4
	s_mov_b32 s0, 0
	s_delay_alu instid0(VALU_DEP_1)
	v_cvt_f64_f32_e32 v[9:10], v5
	global_store_b64 v[0:1], v[9:10], off
.LBB142_2699:
	s_and_not1_b32 vcc_lo, exec_lo, s0
	s_cbranch_vccnz .LBB142_2701
; %bb.2700:
	v_lshlrev_b32_e32 v5, 16, v4
	global_store_b32 v[0:1], v5, off
.LBB142_2701:
	s_mov_b32 s0, 0
.LBB142_2702:
	s_delay_alu instid0(SALU_CYCLE_1)
	s_and_not1_b32 vcc_lo, exec_lo, s0
	s_cbranch_vccnz .LBB142_2704
; %bb.2703:
	v_lshlrev_b32_e32 v5, 16, v4
	s_delay_alu instid0(VALU_DEP_1)
	v_cvt_f16_f32_e32 v5, v5
	global_store_b16 v[0:1], v5, off
.LBB142_2704:
	s_mov_b32 s0, 0
.LBB142_2705:
	s_delay_alu instid0(SALU_CYCLE_1)
	s_and_not1_b32 vcc_lo, exec_lo, s0
	s_cbranch_vccnz .LBB142_2721
; %bb.2706:
	v_cmp_gt_i16_e32 vcc_lo, 2, v3
	s_mov_b32 s0, -1
	s_cbranch_vccnz .LBB142_2716
; %bb.2707:
	v_cmp_gt_i16_e32 vcc_lo, 3, v3
	s_cbranch_vccnz .LBB142_2713
; %bb.2708:
	v_cmp_lt_i16_e32 vcc_lo, 3, v3
	s_cbranch_vccz .LBB142_2710
; %bb.2709:
	v_lshlrev_b32_e32 v5, 16, v4
	s_mov_b32 s0, 0
	s_delay_alu instid0(VALU_DEP_1) | instskip(NEXT) | instid1(VALU_DEP_1)
	v_trunc_f32_e32 v5, v5
	v_mul_f32_e64 v9, 0x2f800000, |v5|
	s_delay_alu instid0(VALU_DEP_1) | instskip(NEXT) | instid1(VALU_DEP_1)
	v_floor_f32_e32 v9, v9
	v_fma_f32 v10, 0xcf800000, v9, |v5|
	v_ashrrev_i32_e32 v5, 31, v5
	v_cvt_u32_f32_e32 v9, v9
	s_delay_alu instid0(VALU_DEP_3) | instskip(NEXT) | instid1(VALU_DEP_2)
	v_cvt_u32_f32_e32 v10, v10
	v_xor_b32_e32 v11, v9, v5
	s_delay_alu instid0(VALU_DEP_2) | instskip(NEXT) | instid1(VALU_DEP_1)
	v_xor_b32_e32 v10, v10, v5
	v_sub_co_u32 v9, vcc_lo, v10, v5
	s_delay_alu instid0(VALU_DEP_3)
	v_sub_co_ci_u32_e32 v10, vcc_lo, v11, v5, vcc_lo
	global_store_b64 v[0:1], v[9:10], off
.LBB142_2710:
	s_and_not1_b32 vcc_lo, exec_lo, s0
	s_cbranch_vccnz .LBB142_2712
; %bb.2711:
	v_lshlrev_b32_e32 v5, 16, v4
	s_delay_alu instid0(VALU_DEP_1)
	v_cvt_i32_f32_e32 v5, v5
	global_store_b32 v[0:1], v5, off
.LBB142_2712:
	s_mov_b32 s0, 0
.LBB142_2713:
	s_delay_alu instid0(SALU_CYCLE_1)
	s_and_not1_b32 vcc_lo, exec_lo, s0
	s_cbranch_vccnz .LBB142_2715
; %bb.2714:
	v_lshlrev_b32_e32 v5, 16, v4
	s_delay_alu instid0(VALU_DEP_1)
	v_cvt_i32_f32_e32 v5, v5
	global_store_b16 v[0:1], v5, off
.LBB142_2715:
	s_mov_b32 s0, 0
.LBB142_2716:
	s_delay_alu instid0(SALU_CYCLE_1)
	s_and_not1_b32 vcc_lo, exec_lo, s0
	s_cbranch_vccnz .LBB142_2721
; %bb.2717:
	v_cmp_lt_i16_e32 vcc_lo, 0, v3
	s_mov_b32 s0, -1
	s_cbranch_vccz .LBB142_2719
; %bb.2718:
	v_lshlrev_b32_e32 v5, 16, v4
	s_mov_b32 s0, 0
	s_delay_alu instid0(VALU_DEP_1)
	v_cvt_i32_f32_e32 v5, v5
	global_store_b8 v[0:1], v5, off
.LBB142_2719:
	s_and_not1_b32 vcc_lo, exec_lo, s0
	s_cbranch_vccnz .LBB142_2721
; %bb.2720:
	v_lshlrev_b32_e32 v4, 16, v4
	s_delay_alu instid0(VALU_DEP_1) | instskip(NEXT) | instid1(VALU_DEP_1)
	v_trunc_f32_e32 v4, v4
	v_mul_f32_e64 v5, 0x2f800000, |v4|
	s_delay_alu instid0(VALU_DEP_1) | instskip(NEXT) | instid1(VALU_DEP_1)
	v_floor_f32_e32 v5, v5
	v_fma_f32 v5, 0xcf800000, v5, |v4|
	v_ashrrev_i32_e32 v4, 31, v4
	s_delay_alu instid0(VALU_DEP_2) | instskip(NEXT) | instid1(VALU_DEP_1)
	v_cvt_u32_f32_e32 v5, v5
	v_xor_b32_e32 v5, v5, v4
	s_delay_alu instid0(VALU_DEP_1)
	v_sub_nc_u32_e32 v4, v5, v4
	global_store_b8 v[0:1], v4, off
.LBB142_2721:
	s_mov_b32 s3, -1
.LBB142_2722:
	s_delay_alu instid0(SALU_CYCLE_1)
	s_and_not1_b32 vcc_lo, exec_lo, s3
	s_cbranch_vccnz .LBB142_3037
; %bb.2723:
	v_cndmask_b32_e64 v0, 0, 1.0, s9
	v_lshlrev_b32_e32 v1, 16, v6
	s_lshl_b32 s1, s8, 7
	v_cmp_gt_i16_e32 vcc_lo, 11, v3
	v_add_nc_u32_e32 v2, s1, v2
	s_delay_alu instid0(VALU_DEP_3) | instskip(SKIP_1) | instid1(VALU_DEP_2)
	v_mul_f32_e32 v0, v1, v0
	s_and_b32 vcc_lo, exec_lo, vcc_lo
	v_ashrrev_i32_e32 v1, 31, v2
	s_delay_alu instid0(VALU_DEP_2) | instskip(NEXT) | instid1(VALU_DEP_1)
	v_mul_f32_e32 v4, s11, v0
	v_bfe_u32 v0, v4, 16, 1
	s_delay_alu instid0(VALU_DEP_1) | instskip(NEXT) | instid1(VALU_DEP_1)
	v_add3_u32 v0, v4, v0, 0x7fff
	v_lshrrev_b32_e32 v5, 16, v0
	v_add_co_u32 v0, s0, s4, v2
	s_delay_alu instid0(VALU_DEP_1) | instskip(SKIP_1) | instid1(VALU_DEP_1)
	v_add_co_ci_u32_e64 v1, s0, s5, v1, s0
	v_cmp_o_f32_e64 s0, v4, v4
	v_cndmask_b32_e64 v4, 0x7fc0, v5, s0
	s_cbranch_vccnz .LBB142_2801
; %bb.2724:
	v_cmp_lt_i16_e32 vcc_lo, 25, v3
	s_mov_b32 s7, -1
	s_mov_b32 s3, 0
	s_mov_b32 s6, 0
	;; [unrolled: 1-line block ×3, first 2 shown]
	s_cbranch_vccz .LBB142_2757
; %bb.2725:
	v_cmp_lt_i16_e32 vcc_lo, 28, v3
	s_cbranch_vccz .LBB142_2740
; %bb.2726:
	v_cmp_lt_i16_e32 vcc_lo, 43, v3
	;; [unrolled: 3-line block ×3, first 2 shown]
	s_cbranch_vccz .LBB142_2730
; %bb.2728:
	v_cmp_eq_u16_e32 vcc_lo, 46, v3
	s_mov_b32 s0, -1
	s_mov_b32 s7, 0
	s_cbranch_vccz .LBB142_2730
; %bb.2729:
	v_and_b32_e32 v5, 0xffff, v4
	s_mov_b32 s0, 0
	s_mov_b32 s6, -1
	global_store_b32 v[0:1], v5, off
.LBB142_2730:
	s_and_b32 vcc_lo, exec_lo, s7
	s_cbranch_vccz .LBB142_2735
; %bb.2731:
	v_cmp_eq_u16_e32 vcc_lo, 44, v3
	s_mov_b32 s0, -1
	s_cbranch_vccz .LBB142_2735
; %bb.2732:
	v_and_b32_e32 v5, 0xffff, v4
	v_mov_b32_e32 v6, 0xff
	s_mov_b32 s6, exec_lo
	s_delay_alu instid0(VALU_DEP_2) | instskip(NEXT) | instid1(VALU_DEP_1)
	v_bfe_u32 v9, v5, 7, 8
	v_cmpx_ne_u32_e32 0xff, v9
; %bb.2733:
	v_lshlrev_b32_e32 v6, 16, v5
	v_and_b32_e32 v10, 64, v5
	v_lshrrev_b32_e32 v5, 7, v5
	s_delay_alu instid0(VALU_DEP_3) | instskip(NEXT) | instid1(VALU_DEP_3)
	v_and_or_b32 v6, 0x3f0000, v6, v9
	v_cmp_ne_u32_e32 vcc_lo, 0, v10
	s_delay_alu instid0(VALU_DEP_2) | instskip(NEXT) | instid1(VALU_DEP_1)
	v_cmp_ne_u32_e64 s0, 0, v6
	s_and_b32 s0, vcc_lo, s0
	s_delay_alu instid0(SALU_CYCLE_1) | instskip(NEXT) | instid1(VALU_DEP_1)
	v_cndmask_b32_e64 v6, 0, 1, s0
	v_add_nc_u32_e32 v6, v5, v6
; %bb.2734:
	s_or_b32 exec_lo, exec_lo, s6
	s_mov_b32 s0, 0
	s_mov_b32 s6, -1
	global_store_b8 v[0:1], v6, off
.LBB142_2735:
	s_mov_b32 s7, 0
.LBB142_2736:
	s_delay_alu instid0(SALU_CYCLE_1)
	s_and_b32 vcc_lo, exec_lo, s7
	s_cbranch_vccz .LBB142_2739
; %bb.2737:
	v_cmp_eq_u16_e32 vcc_lo, 29, v3
	s_mov_b32 s0, -1
	s_cbranch_vccz .LBB142_2739
; %bb.2738:
	v_lshlrev_b32_e32 v5, 16, v4
	s_mov_b32 s0, 0
	s_mov_b32 s6, -1
	s_delay_alu instid0(VALU_DEP_1) | instskip(NEXT) | instid1(VALU_DEP_1)
	v_trunc_f32_e32 v5, v5
	v_mul_f32_e32 v6, 0x2f800000, v5
	s_delay_alu instid0(VALU_DEP_1) | instskip(NEXT) | instid1(VALU_DEP_1)
	v_floor_f32_e32 v6, v6
	v_fmamk_f32 v5, v6, 0xcf800000, v5
	v_cvt_u32_f32_e32 v6, v6
	s_delay_alu instid0(VALU_DEP_2)
	v_cvt_u32_f32_e32 v5, v5
	global_store_b64 v[0:1], v[5:6], off
.LBB142_2739:
	s_mov_b32 s7, 0
.LBB142_2740:
	s_delay_alu instid0(SALU_CYCLE_1)
	s_and_b32 vcc_lo, exec_lo, s7
	s_cbranch_vccz .LBB142_2756
; %bb.2741:
	v_cmp_gt_i16_e32 vcc_lo, 27, v3
	s_mov_b32 s6, -1
	s_cbranch_vccnz .LBB142_2747
; %bb.2742:
	v_cmp_lt_i16_e32 vcc_lo, 27, v3
	s_cbranch_vccz .LBB142_2744
; %bb.2743:
	v_lshlrev_b32_e32 v5, 16, v4
	s_mov_b32 s6, 0
	s_delay_alu instid0(VALU_DEP_1)
	v_cvt_u32_f32_e32 v5, v5
	global_store_b32 v[0:1], v5, off
.LBB142_2744:
	s_and_not1_b32 vcc_lo, exec_lo, s6
	s_cbranch_vccnz .LBB142_2746
; %bb.2745:
	v_lshlrev_b32_e32 v5, 16, v4
	s_delay_alu instid0(VALU_DEP_1)
	v_cvt_u32_f32_e32 v5, v5
	global_store_b16 v[0:1], v5, off
.LBB142_2746:
	s_mov_b32 s6, 0
.LBB142_2747:
	s_delay_alu instid0(SALU_CYCLE_1)
	s_and_not1_b32 vcc_lo, exec_lo, s6
	s_cbranch_vccnz .LBB142_2755
; %bb.2748:
	v_dual_mov_b32 v10, 0x80 :: v_dual_lshlrev_b32 v9, 16, v4
	s_mov_b32 s6, exec_lo
	s_delay_alu instid0(VALU_DEP_1) | instskip(NEXT) | instid1(VALU_DEP_1)
	v_and_b32_e32 v6, 0x7fffffff, v9
	v_cmpx_gt_u32_e32 0x43800000, v6
	s_cbranch_execz .LBB142_2754
; %bb.2749:
	v_and_b32_e32 v5, 0xffff, v4
	v_cmp_lt_u32_e32 vcc_lo, 0x3bffffff, v6
	s_mov_b32 s7, 0
                                        ; implicit-def: $vgpr6
	s_and_saveexec_b32 s8, vcc_lo
	s_delay_alu instid0(SALU_CYCLE_1)
	s_xor_b32 s8, exec_lo, s8
	s_cbranch_execz .LBB142_3093
; %bb.2750:
	v_bfe_u32 v6, v5, 4, 1
	s_mov_b32 s7, exec_lo
	s_delay_alu instid0(VALU_DEP_1) | instskip(NEXT) | instid1(VALU_DEP_1)
	v_add3_u32 v6, v9, v6, 0x487ffff
                                        ; implicit-def: $vgpr9
	v_lshrrev_b32_e32 v6, 20, v6
	s_or_saveexec_b32 s8, s8
                                        ; implicit-def: $sgpr9
	s_delay_alu instid0(SALU_CYCLE_1)
	s_xor_b32 exec_lo, exec_lo, s8
	s_cbranch_execnz .LBB142_3094
.LBB142_2751:
	s_or_b32 exec_lo, exec_lo, s8
	v_mov_b32_e32 v10, s9
	s_and_saveexec_b32 s8, s7
.LBB142_2752:
	v_lshrrev_b32_e32 v5, 8, v5
	s_delay_alu instid0(VALU_DEP_1)
	v_and_or_b32 v10, 0x80, v5, v6
.LBB142_2753:
	s_or_b32 exec_lo, exec_lo, s8
.LBB142_2754:
	s_delay_alu instid0(SALU_CYCLE_1)
	s_or_b32 exec_lo, exec_lo, s6
	global_store_b8 v[0:1], v10, off
.LBB142_2755:
	s_mov_b32 s6, -1
.LBB142_2756:
	s_mov_b32 s7, 0
.LBB142_2757:
	s_delay_alu instid0(SALU_CYCLE_1)
	s_and_b32 vcc_lo, exec_lo, s7
	s_cbranch_vccz .LBB142_2797
; %bb.2758:
	v_cmp_lt_i16_e32 vcc_lo, 22, v3
	s_mov_b32 s3, -1
	s_cbranch_vccz .LBB142_2790
; %bb.2759:
	v_cmp_gt_i16_e32 vcc_lo, 24, v3
	s_cbranch_vccnz .LBB142_2779
; %bb.2760:
	v_cmp_lt_i16_e32 vcc_lo, 24, v3
	s_cbranch_vccz .LBB142_2768
; %bb.2761:
	v_dual_mov_b32 v10, 0x80 :: v_dual_lshlrev_b32 v9, 16, v4
	s_mov_b32 s3, exec_lo
	s_delay_alu instid0(VALU_DEP_1) | instskip(NEXT) | instid1(VALU_DEP_1)
	v_and_b32_e32 v6, 0x7fffffff, v9
	v_cmpx_gt_u32_e32 0x47800000, v6
	s_cbranch_execz .LBB142_2767
; %bb.2762:
	v_and_b32_e32 v5, 0xffff, v4
	v_cmp_lt_u32_e32 vcc_lo, 0x37ffffff, v6
	s_mov_b32 s6, 0
                                        ; implicit-def: $vgpr6
	s_and_saveexec_b32 s7, vcc_lo
	s_delay_alu instid0(SALU_CYCLE_1)
	s_xor_b32 s7, exec_lo, s7
	s_cbranch_execz .LBB142_3099
; %bb.2763:
	v_bfe_u32 v6, v5, 5, 1
	s_mov_b32 s6, exec_lo
	s_delay_alu instid0(VALU_DEP_1) | instskip(NEXT) | instid1(VALU_DEP_1)
	v_add3_u32 v6, v9, v6, 0x88fffff
                                        ; implicit-def: $vgpr9
	v_lshrrev_b32_e32 v6, 21, v6
	s_or_saveexec_b32 s7, s7
                                        ; implicit-def: $sgpr8
	s_delay_alu instid0(SALU_CYCLE_1)
	s_xor_b32 exec_lo, exec_lo, s7
	s_cbranch_execnz .LBB142_3100
.LBB142_2764:
	s_or_b32 exec_lo, exec_lo, s7
	v_mov_b32_e32 v10, s8
	s_and_saveexec_b32 s7, s6
.LBB142_2765:
	v_lshrrev_b32_e32 v5, 8, v5
	s_delay_alu instid0(VALU_DEP_1)
	v_and_or_b32 v10, 0x80, v5, v6
.LBB142_2766:
	s_or_b32 exec_lo, exec_lo, s7
.LBB142_2767:
	s_delay_alu instid0(SALU_CYCLE_1)
	s_or_b32 exec_lo, exec_lo, s3
	s_mov_b32 s3, 0
	global_store_b8 v[0:1], v10, off
.LBB142_2768:
	s_and_b32 vcc_lo, exec_lo, s3
	s_cbranch_vccz .LBB142_2778
; %bb.2769:
	v_lshlrev_b32_e32 v9, 16, v4
	v_and_b32_e32 v5, 0xffff, v4
	s_mov_b32 s3, exec_lo
                                        ; implicit-def: $vgpr6
	s_delay_alu instid0(VALU_DEP_2) | instskip(NEXT) | instid1(VALU_DEP_1)
	v_and_b32_e32 v10, 0x7fffffff, v9
	v_cmpx_gt_u32_e32 0x43f00000, v10
	s_xor_b32 s3, exec_lo, s3
	s_cbranch_execz .LBB142_2775
; %bb.2770:
	s_mov_b32 s6, exec_lo
                                        ; implicit-def: $vgpr6
	v_cmpx_lt_u32_e32 0x3c7fffff, v10
	s_xor_b32 s6, exec_lo, s6
; %bb.2771:
	v_bfe_u32 v6, v5, 4, 1
	s_delay_alu instid0(VALU_DEP_1) | instskip(NEXT) | instid1(VALU_DEP_1)
	v_add3_u32 v6, v9, v6, 0x407ffff
	v_and_b32_e32 v9, 0xff00000, v6
	v_lshrrev_b32_e32 v6, 20, v6
	s_delay_alu instid0(VALU_DEP_2) | instskip(NEXT) | instid1(VALU_DEP_2)
	v_cmp_ne_u32_e32 vcc_lo, 0x7f00000, v9
                                        ; implicit-def: $vgpr9
	v_cndmask_b32_e32 v6, 0x7e, v6, vcc_lo
; %bb.2772:
	s_and_not1_saveexec_b32 s6, s6
; %bb.2773:
	v_add_f32_e64 v6, 0x46800000, |v9|
; %bb.2774:
	s_or_b32 exec_lo, exec_lo, s6
                                        ; implicit-def: $vgpr10
.LBB142_2775:
	s_and_not1_saveexec_b32 s3, s3
; %bb.2776:
	v_mov_b32_e32 v6, 0x7f
	v_cmp_lt_u32_e32 vcc_lo, 0x7f800000, v10
	s_delay_alu instid0(VALU_DEP_2)
	v_cndmask_b32_e32 v6, 0x7e, v6, vcc_lo
; %bb.2777:
	s_or_b32 exec_lo, exec_lo, s3
	v_lshrrev_b32_e32 v5, 8, v5
	s_delay_alu instid0(VALU_DEP_1)
	v_and_or_b32 v5, 0x80, v5, v6
	global_store_b8 v[0:1], v5, off
.LBB142_2778:
	s_mov_b32 s3, 0
.LBB142_2779:
	s_delay_alu instid0(SALU_CYCLE_1)
	s_and_not1_b32 vcc_lo, exec_lo, s3
	s_cbranch_vccnz .LBB142_2789
; %bb.2780:
	v_lshlrev_b32_e32 v9, 16, v4
	v_and_b32_e32 v5, 0xffff, v4
	s_mov_b32 s3, exec_lo
                                        ; implicit-def: $vgpr6
	s_delay_alu instid0(VALU_DEP_2) | instskip(NEXT) | instid1(VALU_DEP_1)
	v_and_b32_e32 v10, 0x7fffffff, v9
	v_cmpx_gt_u32_e32 0x47800000, v10
	s_xor_b32 s3, exec_lo, s3
	s_cbranch_execz .LBB142_2786
; %bb.2781:
	s_mov_b32 s6, exec_lo
                                        ; implicit-def: $vgpr6
	v_cmpx_lt_u32_e32 0x387fffff, v10
	s_xor_b32 s6, exec_lo, s6
; %bb.2782:
	v_bfe_u32 v6, v5, 5, 1
	s_delay_alu instid0(VALU_DEP_1) | instskip(NEXT) | instid1(VALU_DEP_1)
	v_add3_u32 v6, v9, v6, 0x80fffff
                                        ; implicit-def: $vgpr9
	v_lshrrev_b32_e32 v6, 21, v6
; %bb.2783:
	s_and_not1_saveexec_b32 s6, s6
; %bb.2784:
	v_add_f32_e64 v6, 0x43000000, |v9|
; %bb.2785:
	s_or_b32 exec_lo, exec_lo, s6
                                        ; implicit-def: $vgpr10
.LBB142_2786:
	s_and_not1_saveexec_b32 s3, s3
; %bb.2787:
	v_mov_b32_e32 v6, 0x7f
	v_cmp_lt_u32_e32 vcc_lo, 0x7f800000, v10
	s_delay_alu instid0(VALU_DEP_2)
	v_cndmask_b32_e32 v6, 0x7c, v6, vcc_lo
; %bb.2788:
	s_or_b32 exec_lo, exec_lo, s3
	v_lshrrev_b32_e32 v5, 8, v5
	s_delay_alu instid0(VALU_DEP_1)
	v_and_or_b32 v5, 0x80, v5, v6
	global_store_b8 v[0:1], v5, off
.LBB142_2789:
	s_mov_b32 s3, 0
	s_mov_b32 s6, -1
.LBB142_2790:
	s_and_not1_b32 vcc_lo, exec_lo, s3
	s_mov_b32 s3, 0
	s_cbranch_vccnz .LBB142_2797
; %bb.2791:
	v_cmp_lt_i16_e32 vcc_lo, 14, v3
	s_mov_b32 s3, -1
	s_cbranch_vccz .LBB142_2795
; %bb.2792:
	v_cmp_eq_u16_e32 vcc_lo, 15, v3
	s_mov_b32 s0, -1
	s_cbranch_vccz .LBB142_2794
; %bb.2793:
	s_mov_b32 s0, 0
	s_mov_b32 s6, -1
	global_store_b16 v[0:1], v4, off
.LBB142_2794:
	s_mov_b32 s3, 0
.LBB142_2795:
	s_delay_alu instid0(SALU_CYCLE_1)
	s_and_b32 vcc_lo, exec_lo, s3
	s_mov_b32 s3, 0
	s_cbranch_vccz .LBB142_2797
; %bb.2796:
	v_cmp_ne_u16_e64 s0, 11, v3
	s_mov_b32 s3, -1
.LBB142_2797:
	s_delay_alu instid0(VALU_DEP_1)
	s_and_b32 vcc_lo, exec_lo, s0
	s_cbranch_vccnz .LBB142_3097
; %bb.2798:
	s_and_not1_b32 vcc_lo, exec_lo, s3
	s_cbranch_vccnz .LBB142_2800
.LBB142_2799:
	v_and_b32_e32 v5, 0x7fff, v4
	s_mov_b32 s6, -1
	s_delay_alu instid0(VALU_DEP_1)
	v_cmp_ne_u16_e32 vcc_lo, 0, v5
	v_cndmask_b32_e64 v5, 0, 1, vcc_lo
	global_store_b8 v[0:1], v5, off
.LBB142_2800:
	s_mov_b32 s0, 0
	s_branch .LBB142_2802
.LBB142_2801:
	s_mov_b32 s0, -1
	s_mov_b32 s6, 0
.LBB142_2802:
	s_and_b32 vcc_lo, exec_lo, s0
	s_cbranch_vccz .LBB142_2841
; %bb.2803:
	v_cmp_gt_i16_e32 vcc_lo, 5, v3
	s_mov_b32 s0, -1
	s_cbranch_vccnz .LBB142_2824
; %bb.2804:
	v_cmp_gt_i16_e32 vcc_lo, 8, v3
	s_cbranch_vccnz .LBB142_2814
; %bb.2805:
	v_cmp_gt_i16_e32 vcc_lo, 9, v3
	s_cbranch_vccnz .LBB142_2811
; %bb.2806:
	v_cmp_lt_i16_e32 vcc_lo, 9, v3
	s_cbranch_vccz .LBB142_2808
; %bb.2807:
	v_mov_b32_e32 v11, 0
	v_lshlrev_b32_e32 v5, 16, v4
	s_mov_b32 s0, 0
	s_delay_alu instid0(VALU_DEP_2) | instskip(NEXT) | instid1(VALU_DEP_2)
	v_mov_b32_e32 v12, v11
	v_cvt_f64_f32_e32 v[9:10], v5
	global_store_b128 v[0:1], v[9:12], off
.LBB142_2808:
	s_and_not1_b32 vcc_lo, exec_lo, s0
	s_cbranch_vccnz .LBB142_2810
; %bb.2809:
	v_dual_mov_b32 v6, 0 :: v_dual_lshlrev_b32 v5, 16, v4
	global_store_b64 v[0:1], v[5:6], off
.LBB142_2810:
	s_mov_b32 s0, 0
.LBB142_2811:
	s_delay_alu instid0(SALU_CYCLE_1)
	s_and_not1_b32 vcc_lo, exec_lo, s0
	s_cbranch_vccnz .LBB142_2813
; %bb.2812:
	v_lshlrev_b32_e32 v5, 16, v4
	s_delay_alu instid0(VALU_DEP_1) | instskip(NEXT) | instid1(VALU_DEP_1)
	v_cvt_f16_f32_e32 v5, v5
	v_and_b32_e32 v5, 0xffff, v5
	global_store_b32 v[0:1], v5, off
.LBB142_2813:
	s_mov_b32 s0, 0
.LBB142_2814:
	s_delay_alu instid0(SALU_CYCLE_1)
	s_and_not1_b32 vcc_lo, exec_lo, s0
	s_cbranch_vccnz .LBB142_2823
; %bb.2815:
	v_cmp_gt_i16_e32 vcc_lo, 6, v3
	s_mov_b32 s0, -1
	s_cbranch_vccnz .LBB142_2821
; %bb.2816:
	v_cmp_lt_i16_e32 vcc_lo, 6, v3
	s_cbranch_vccz .LBB142_2818
; %bb.2817:
	v_lshlrev_b32_e32 v5, 16, v4
	s_mov_b32 s0, 0
	s_delay_alu instid0(VALU_DEP_1)
	v_cvt_f64_f32_e32 v[5:6], v5
	global_store_b64 v[0:1], v[5:6], off
.LBB142_2818:
	s_and_not1_b32 vcc_lo, exec_lo, s0
	s_cbranch_vccnz .LBB142_2820
; %bb.2819:
	v_lshlrev_b32_e32 v5, 16, v4
	global_store_b32 v[0:1], v5, off
.LBB142_2820:
	s_mov_b32 s0, 0
.LBB142_2821:
	s_delay_alu instid0(SALU_CYCLE_1)
	s_and_not1_b32 vcc_lo, exec_lo, s0
	s_cbranch_vccnz .LBB142_2823
; %bb.2822:
	v_lshlrev_b32_e32 v5, 16, v4
	s_delay_alu instid0(VALU_DEP_1)
	v_cvt_f16_f32_e32 v5, v5
	global_store_b16 v[0:1], v5, off
.LBB142_2823:
	s_mov_b32 s0, 0
.LBB142_2824:
	s_delay_alu instid0(SALU_CYCLE_1)
	s_and_not1_b32 vcc_lo, exec_lo, s0
	s_cbranch_vccnz .LBB142_2840
; %bb.2825:
	v_cmp_gt_i16_e32 vcc_lo, 2, v3
	s_mov_b32 s0, -1
	s_cbranch_vccnz .LBB142_2835
; %bb.2826:
	v_cmp_gt_i16_e32 vcc_lo, 3, v3
	s_cbranch_vccnz .LBB142_2832
; %bb.2827:
	v_cmp_lt_i16_e32 vcc_lo, 3, v3
	s_cbranch_vccz .LBB142_2829
; %bb.2828:
	v_lshlrev_b32_e32 v5, 16, v4
	s_mov_b32 s0, 0
	s_delay_alu instid0(VALU_DEP_1) | instskip(NEXT) | instid1(VALU_DEP_1)
	v_trunc_f32_e32 v5, v5
	v_mul_f32_e64 v6, 0x2f800000, |v5|
	v_ashrrev_i32_e32 v10, 31, v5
	s_delay_alu instid0(VALU_DEP_2) | instskip(NEXT) | instid1(VALU_DEP_1)
	v_floor_f32_e32 v6, v6
	v_fma_f32 v9, 0xcf800000, v6, |v5|
	v_cvt_u32_f32_e32 v6, v6
	s_delay_alu instid0(VALU_DEP_2) | instskip(NEXT) | instid1(VALU_DEP_2)
	v_cvt_u32_f32_e32 v5, v9
	v_xor_b32_e32 v6, v6, v10
	s_delay_alu instid0(VALU_DEP_2) | instskip(NEXT) | instid1(VALU_DEP_1)
	v_xor_b32_e32 v5, v5, v10
	v_sub_co_u32 v5, vcc_lo, v5, v10
	s_delay_alu instid0(VALU_DEP_3)
	v_sub_co_ci_u32_e32 v6, vcc_lo, v6, v10, vcc_lo
	global_store_b64 v[0:1], v[5:6], off
.LBB142_2829:
	s_and_not1_b32 vcc_lo, exec_lo, s0
	s_cbranch_vccnz .LBB142_2831
; %bb.2830:
	v_lshlrev_b32_e32 v5, 16, v4
	s_delay_alu instid0(VALU_DEP_1)
	v_cvt_i32_f32_e32 v5, v5
	global_store_b32 v[0:1], v5, off
.LBB142_2831:
	s_mov_b32 s0, 0
.LBB142_2832:
	s_delay_alu instid0(SALU_CYCLE_1)
	s_and_not1_b32 vcc_lo, exec_lo, s0
	s_cbranch_vccnz .LBB142_2834
; %bb.2833:
	v_lshlrev_b32_e32 v5, 16, v4
	s_delay_alu instid0(VALU_DEP_1)
	v_cvt_i32_f32_e32 v5, v5
	global_store_b16 v[0:1], v5, off
.LBB142_2834:
	s_mov_b32 s0, 0
.LBB142_2835:
	s_delay_alu instid0(SALU_CYCLE_1)
	s_and_not1_b32 vcc_lo, exec_lo, s0
	s_cbranch_vccnz .LBB142_2840
; %bb.2836:
	v_cmp_lt_i16_e32 vcc_lo, 0, v3
	s_mov_b32 s0, -1
	s_cbranch_vccz .LBB142_2838
; %bb.2837:
	v_lshlrev_b32_e32 v5, 16, v4
	s_mov_b32 s0, 0
	s_delay_alu instid0(VALU_DEP_1)
	v_cvt_i32_f32_e32 v5, v5
	global_store_b8 v[0:1], v5, off
.LBB142_2838:
	s_and_not1_b32 vcc_lo, exec_lo, s0
	s_cbranch_vccnz .LBB142_2840
; %bb.2839:
	v_lshlrev_b32_e32 v4, 16, v4
	s_delay_alu instid0(VALU_DEP_1) | instskip(NEXT) | instid1(VALU_DEP_1)
	v_trunc_f32_e32 v4, v4
	v_mul_f32_e64 v5, 0x2f800000, |v4|
	s_delay_alu instid0(VALU_DEP_1) | instskip(NEXT) | instid1(VALU_DEP_1)
	v_floor_f32_e32 v5, v5
	v_fma_f32 v5, 0xcf800000, v5, |v4|
	v_ashrrev_i32_e32 v4, 31, v4
	s_delay_alu instid0(VALU_DEP_2) | instskip(NEXT) | instid1(VALU_DEP_1)
	v_cvt_u32_f32_e32 v5, v5
	v_xor_b32_e32 v5, v5, v4
	s_delay_alu instid0(VALU_DEP_1)
	v_sub_nc_u32_e32 v4, v5, v4
	global_store_b8 v[0:1], v4, off
.LBB142_2840:
	s_mov_b32 s6, -1
.LBB142_2841:
	s_delay_alu instid0(SALU_CYCLE_1)
	s_and_not1_b32 vcc_lo, exec_lo, s6
	s_cbranch_vccnz .LBB142_3037
; %bb.2842:
	v_cndmask_b32_e64 v0, 0, 1.0, s10
	v_lshlrev_b32_e32 v1, 16, v7
	v_add_nc_u32_e32 v2, s1, v2
	v_cmp_gt_i16_e32 vcc_lo, 11, v3
	s_delay_alu instid0(VALU_DEP_3) | instskip(NEXT) | instid1(VALU_DEP_3)
	v_mul_f32_e32 v0, v1, v0
	v_ashrrev_i32_e32 v1, 31, v2
	s_and_b32 vcc_lo, exec_lo, vcc_lo
	s_delay_alu instid0(VALU_DEP_2) | instskip(NEXT) | instid1(VALU_DEP_1)
	v_mul_f32_e32 v4, s11, v0
	v_bfe_u32 v0, v4, 16, 1
	s_delay_alu instid0(VALU_DEP_1) | instskip(NEXT) | instid1(VALU_DEP_1)
	v_add3_u32 v0, v4, v0, 0x7fff
	v_lshrrev_b32_e32 v5, 16, v0
	v_add_co_u32 v0, s0, s4, v2
	s_delay_alu instid0(VALU_DEP_1) | instskip(SKIP_1) | instid1(VALU_DEP_1)
	v_add_co_ci_u32_e64 v1, s0, s5, v1, s0
	v_cmp_o_f32_e64 s0, v4, v4
	v_cndmask_b32_e64 v4, 0x7fc0, v5, s0
	s_cbranch_vccnz .LBB142_2920
; %bb.2843:
	v_cmp_lt_i16_e32 vcc_lo, 25, v3
	s_mov_b32 s7, -1
	s_mov_b32 s3, 0
	s_mov_b32 s6, 0
	;; [unrolled: 1-line block ×3, first 2 shown]
	s_cbranch_vccz .LBB142_2876
; %bb.2844:
	v_cmp_lt_i16_e32 vcc_lo, 28, v3
	s_cbranch_vccz .LBB142_2859
; %bb.2845:
	v_cmp_lt_i16_e32 vcc_lo, 43, v3
	;; [unrolled: 3-line block ×3, first 2 shown]
	s_cbranch_vccz .LBB142_2849
; %bb.2847:
	v_cmp_eq_u16_e32 vcc_lo, 46, v3
	s_mov_b32 s0, -1
	s_mov_b32 s7, 0
	s_cbranch_vccz .LBB142_2849
; %bb.2848:
	v_and_b32_e32 v5, 0xffff, v4
	s_mov_b32 s0, 0
	s_mov_b32 s6, -1
	global_store_b32 v[0:1], v5, off
.LBB142_2849:
	s_and_b32 vcc_lo, exec_lo, s7
	s_cbranch_vccz .LBB142_2854
; %bb.2850:
	v_cmp_eq_u16_e32 vcc_lo, 44, v3
	s_mov_b32 s0, -1
	s_cbranch_vccz .LBB142_2854
; %bb.2851:
	v_and_b32_e32 v5, 0xffff, v4
	v_mov_b32_e32 v6, 0xff
	s_mov_b32 s6, exec_lo
	s_delay_alu instid0(VALU_DEP_2) | instskip(NEXT) | instid1(VALU_DEP_1)
	v_bfe_u32 v7, v5, 7, 8
	v_cmpx_ne_u32_e32 0xff, v7
; %bb.2852:
	v_lshlrev_b32_e32 v6, 16, v5
	v_and_b32_e32 v9, 64, v5
	v_lshrrev_b32_e32 v5, 7, v5
	s_delay_alu instid0(VALU_DEP_3) | instskip(NEXT) | instid1(VALU_DEP_3)
	v_and_or_b32 v6, 0x3f0000, v6, v7
	v_cmp_ne_u32_e32 vcc_lo, 0, v9
	s_delay_alu instid0(VALU_DEP_2) | instskip(NEXT) | instid1(VALU_DEP_1)
	v_cmp_ne_u32_e64 s0, 0, v6
	s_and_b32 s0, vcc_lo, s0
	s_delay_alu instid0(SALU_CYCLE_1) | instskip(NEXT) | instid1(VALU_DEP_1)
	v_cndmask_b32_e64 v6, 0, 1, s0
	v_add_nc_u32_e32 v6, v5, v6
; %bb.2853:
	s_or_b32 exec_lo, exec_lo, s6
	s_mov_b32 s0, 0
	s_mov_b32 s6, -1
	global_store_b8 v[0:1], v6, off
.LBB142_2854:
	s_mov_b32 s7, 0
.LBB142_2855:
	s_delay_alu instid0(SALU_CYCLE_1)
	s_and_b32 vcc_lo, exec_lo, s7
	s_cbranch_vccz .LBB142_2858
; %bb.2856:
	v_cmp_eq_u16_e32 vcc_lo, 29, v3
	s_mov_b32 s0, -1
	s_cbranch_vccz .LBB142_2858
; %bb.2857:
	v_lshlrev_b32_e32 v5, 16, v4
	s_mov_b32 s0, 0
	s_mov_b32 s6, -1
	s_delay_alu instid0(VALU_DEP_1) | instskip(NEXT) | instid1(VALU_DEP_1)
	v_trunc_f32_e32 v5, v5
	v_mul_f32_e32 v6, 0x2f800000, v5
	s_delay_alu instid0(VALU_DEP_1) | instskip(NEXT) | instid1(VALU_DEP_1)
	v_floor_f32_e32 v6, v6
	v_fmamk_f32 v5, v6, 0xcf800000, v5
	v_cvt_u32_f32_e32 v6, v6
	s_delay_alu instid0(VALU_DEP_2)
	v_cvt_u32_f32_e32 v5, v5
	global_store_b64 v[0:1], v[5:6], off
.LBB142_2858:
	s_mov_b32 s7, 0
.LBB142_2859:
	s_delay_alu instid0(SALU_CYCLE_1)
	s_and_b32 vcc_lo, exec_lo, s7
	s_cbranch_vccz .LBB142_2875
; %bb.2860:
	v_cmp_gt_i16_e32 vcc_lo, 27, v3
	s_mov_b32 s6, -1
	s_cbranch_vccnz .LBB142_2866
; %bb.2861:
	v_cmp_lt_i16_e32 vcc_lo, 27, v3
	s_cbranch_vccz .LBB142_2863
; %bb.2862:
	v_lshlrev_b32_e32 v5, 16, v4
	s_mov_b32 s6, 0
	s_delay_alu instid0(VALU_DEP_1)
	v_cvt_u32_f32_e32 v5, v5
	global_store_b32 v[0:1], v5, off
.LBB142_2863:
	s_and_not1_b32 vcc_lo, exec_lo, s6
	s_cbranch_vccnz .LBB142_2865
; %bb.2864:
	v_lshlrev_b32_e32 v5, 16, v4
	s_delay_alu instid0(VALU_DEP_1)
	v_cvt_u32_f32_e32 v5, v5
	global_store_b16 v[0:1], v5, off
.LBB142_2865:
	s_mov_b32 s6, 0
.LBB142_2866:
	s_delay_alu instid0(SALU_CYCLE_1)
	s_and_not1_b32 vcc_lo, exec_lo, s6
	s_cbranch_vccnz .LBB142_2874
; %bb.2867:
	v_lshlrev_b32_e32 v7, 16, v4
	v_mov_b32_e32 v9, 0x80
	s_mov_b32 s6, exec_lo
	s_delay_alu instid0(VALU_DEP_2) | instskip(NEXT) | instid1(VALU_DEP_1)
	v_and_b32_e32 v6, 0x7fffffff, v7
	v_cmpx_gt_u32_e32 0x43800000, v6
	s_cbranch_execz .LBB142_2873
; %bb.2868:
	v_and_b32_e32 v5, 0xffff, v4
	v_cmp_lt_u32_e32 vcc_lo, 0x3bffffff, v6
	s_mov_b32 s7, 0
                                        ; implicit-def: $vgpr6
	s_and_saveexec_b32 s8, vcc_lo
	s_delay_alu instid0(SALU_CYCLE_1)
	s_xor_b32 s8, exec_lo, s8
	s_cbranch_execz .LBB142_3101
; %bb.2869:
	v_bfe_u32 v6, v5, 4, 1
	s_mov_b32 s7, exec_lo
	s_delay_alu instid0(VALU_DEP_1) | instskip(NEXT) | instid1(VALU_DEP_1)
	v_add3_u32 v6, v7, v6, 0x487ffff
                                        ; implicit-def: $vgpr7
	v_lshrrev_b32_e32 v6, 20, v6
	s_or_saveexec_b32 s8, s8
                                        ; implicit-def: $sgpr9
	s_delay_alu instid0(SALU_CYCLE_1)
	s_xor_b32 exec_lo, exec_lo, s8
	s_cbranch_execnz .LBB142_3102
.LBB142_2870:
	s_or_b32 exec_lo, exec_lo, s8
	v_mov_b32_e32 v9, s9
	s_and_saveexec_b32 s8, s7
.LBB142_2871:
	v_lshrrev_b32_e32 v5, 8, v5
	s_delay_alu instid0(VALU_DEP_1)
	v_and_or_b32 v9, 0x80, v5, v6
.LBB142_2872:
	s_or_b32 exec_lo, exec_lo, s8
.LBB142_2873:
	s_delay_alu instid0(SALU_CYCLE_1)
	s_or_b32 exec_lo, exec_lo, s6
	global_store_b8 v[0:1], v9, off
.LBB142_2874:
	s_mov_b32 s6, -1
.LBB142_2875:
	s_mov_b32 s7, 0
.LBB142_2876:
	s_delay_alu instid0(SALU_CYCLE_1)
	s_and_b32 vcc_lo, exec_lo, s7
	s_cbranch_vccz .LBB142_2916
; %bb.2877:
	v_cmp_lt_i16_e32 vcc_lo, 22, v3
	s_mov_b32 s3, -1
	s_cbranch_vccz .LBB142_2909
; %bb.2878:
	v_cmp_gt_i16_e32 vcc_lo, 24, v3
	s_cbranch_vccnz .LBB142_2898
; %bb.2879:
	v_cmp_lt_i16_e32 vcc_lo, 24, v3
	s_cbranch_vccz .LBB142_2887
; %bb.2880:
	v_lshlrev_b32_e32 v7, 16, v4
	v_mov_b32_e32 v9, 0x80
	s_mov_b32 s3, exec_lo
	s_delay_alu instid0(VALU_DEP_2) | instskip(NEXT) | instid1(VALU_DEP_1)
	v_and_b32_e32 v6, 0x7fffffff, v7
	v_cmpx_gt_u32_e32 0x47800000, v6
	s_cbranch_execz .LBB142_2886
; %bb.2881:
	v_and_b32_e32 v5, 0xffff, v4
	v_cmp_lt_u32_e32 vcc_lo, 0x37ffffff, v6
	s_mov_b32 s6, 0
                                        ; implicit-def: $vgpr6
	s_and_saveexec_b32 s7, vcc_lo
	s_delay_alu instid0(SALU_CYCLE_1)
	s_xor_b32 s7, exec_lo, s7
	s_cbranch_execz .LBB142_3107
; %bb.2882:
	v_bfe_u32 v6, v5, 5, 1
	s_mov_b32 s6, exec_lo
	s_delay_alu instid0(VALU_DEP_1) | instskip(NEXT) | instid1(VALU_DEP_1)
	v_add3_u32 v6, v7, v6, 0x88fffff
                                        ; implicit-def: $vgpr7
	v_lshrrev_b32_e32 v6, 21, v6
	s_or_saveexec_b32 s7, s7
                                        ; implicit-def: $sgpr8
	s_delay_alu instid0(SALU_CYCLE_1)
	s_xor_b32 exec_lo, exec_lo, s7
	s_cbranch_execnz .LBB142_3108
.LBB142_2883:
	s_or_b32 exec_lo, exec_lo, s7
	v_mov_b32_e32 v9, s8
	s_and_saveexec_b32 s7, s6
.LBB142_2884:
	v_lshrrev_b32_e32 v5, 8, v5
	s_delay_alu instid0(VALU_DEP_1)
	v_and_or_b32 v9, 0x80, v5, v6
.LBB142_2885:
	s_or_b32 exec_lo, exec_lo, s7
.LBB142_2886:
	s_delay_alu instid0(SALU_CYCLE_1)
	s_or_b32 exec_lo, exec_lo, s3
	s_mov_b32 s3, 0
	global_store_b8 v[0:1], v9, off
.LBB142_2887:
	s_and_b32 vcc_lo, exec_lo, s3
	s_cbranch_vccz .LBB142_2897
; %bb.2888:
	v_lshlrev_b32_e32 v7, 16, v4
	v_and_b32_e32 v5, 0xffff, v4
	s_mov_b32 s3, exec_lo
                                        ; implicit-def: $vgpr6
	s_delay_alu instid0(VALU_DEP_2) | instskip(NEXT) | instid1(VALU_DEP_1)
	v_and_b32_e32 v9, 0x7fffffff, v7
	v_cmpx_gt_u32_e32 0x43f00000, v9
	s_xor_b32 s3, exec_lo, s3
	s_cbranch_execz .LBB142_2894
; %bb.2889:
	s_mov_b32 s6, exec_lo
                                        ; implicit-def: $vgpr6
	v_cmpx_lt_u32_e32 0x3c7fffff, v9
	s_xor_b32 s6, exec_lo, s6
; %bb.2890:
	v_bfe_u32 v6, v5, 4, 1
	s_delay_alu instid0(VALU_DEP_1) | instskip(NEXT) | instid1(VALU_DEP_1)
	v_add3_u32 v6, v7, v6, 0x407ffff
	v_and_b32_e32 v7, 0xff00000, v6
	v_lshrrev_b32_e32 v6, 20, v6
	s_delay_alu instid0(VALU_DEP_2) | instskip(NEXT) | instid1(VALU_DEP_2)
	v_cmp_ne_u32_e32 vcc_lo, 0x7f00000, v7
                                        ; implicit-def: $vgpr7
	v_cndmask_b32_e32 v6, 0x7e, v6, vcc_lo
; %bb.2891:
	s_and_not1_saveexec_b32 s6, s6
; %bb.2892:
	v_add_f32_e64 v6, 0x46800000, |v7|
; %bb.2893:
	s_or_b32 exec_lo, exec_lo, s6
                                        ; implicit-def: $vgpr9
.LBB142_2894:
	s_and_not1_saveexec_b32 s3, s3
; %bb.2895:
	v_mov_b32_e32 v6, 0x7f
	v_cmp_lt_u32_e32 vcc_lo, 0x7f800000, v9
	s_delay_alu instid0(VALU_DEP_2)
	v_cndmask_b32_e32 v6, 0x7e, v6, vcc_lo
; %bb.2896:
	s_or_b32 exec_lo, exec_lo, s3
	v_lshrrev_b32_e32 v5, 8, v5
	s_delay_alu instid0(VALU_DEP_1)
	v_and_or_b32 v5, 0x80, v5, v6
	global_store_b8 v[0:1], v5, off
.LBB142_2897:
	s_mov_b32 s3, 0
.LBB142_2898:
	s_delay_alu instid0(SALU_CYCLE_1)
	s_and_not1_b32 vcc_lo, exec_lo, s3
	s_cbranch_vccnz .LBB142_2908
; %bb.2899:
	v_lshlrev_b32_e32 v7, 16, v4
	v_and_b32_e32 v5, 0xffff, v4
	s_mov_b32 s3, exec_lo
                                        ; implicit-def: $vgpr6
	s_delay_alu instid0(VALU_DEP_2) | instskip(NEXT) | instid1(VALU_DEP_1)
	v_and_b32_e32 v9, 0x7fffffff, v7
	v_cmpx_gt_u32_e32 0x47800000, v9
	s_xor_b32 s3, exec_lo, s3
	s_cbranch_execz .LBB142_2905
; %bb.2900:
	s_mov_b32 s6, exec_lo
                                        ; implicit-def: $vgpr6
	v_cmpx_lt_u32_e32 0x387fffff, v9
	s_xor_b32 s6, exec_lo, s6
; %bb.2901:
	v_bfe_u32 v6, v5, 5, 1
	s_delay_alu instid0(VALU_DEP_1) | instskip(NEXT) | instid1(VALU_DEP_1)
	v_add3_u32 v6, v7, v6, 0x80fffff
                                        ; implicit-def: $vgpr7
	v_lshrrev_b32_e32 v6, 21, v6
; %bb.2902:
	s_and_not1_saveexec_b32 s6, s6
; %bb.2903:
	v_add_f32_e64 v6, 0x43000000, |v7|
; %bb.2904:
	s_or_b32 exec_lo, exec_lo, s6
                                        ; implicit-def: $vgpr9
.LBB142_2905:
	s_and_not1_saveexec_b32 s3, s3
; %bb.2906:
	v_mov_b32_e32 v6, 0x7f
	v_cmp_lt_u32_e32 vcc_lo, 0x7f800000, v9
	s_delay_alu instid0(VALU_DEP_2)
	v_cndmask_b32_e32 v6, 0x7c, v6, vcc_lo
; %bb.2907:
	s_or_b32 exec_lo, exec_lo, s3
	v_lshrrev_b32_e32 v5, 8, v5
	s_delay_alu instid0(VALU_DEP_1)
	v_and_or_b32 v5, 0x80, v5, v6
	global_store_b8 v[0:1], v5, off
.LBB142_2908:
	s_mov_b32 s3, 0
	s_mov_b32 s6, -1
.LBB142_2909:
	s_and_not1_b32 vcc_lo, exec_lo, s3
	s_mov_b32 s3, 0
	s_cbranch_vccnz .LBB142_2916
; %bb.2910:
	v_cmp_lt_i16_e32 vcc_lo, 14, v3
	s_mov_b32 s3, -1
	s_cbranch_vccz .LBB142_2914
; %bb.2911:
	v_cmp_eq_u16_e32 vcc_lo, 15, v3
	s_mov_b32 s0, -1
	s_cbranch_vccz .LBB142_2913
; %bb.2912:
	s_mov_b32 s0, 0
	s_mov_b32 s6, -1
	global_store_b16 v[0:1], v4, off
.LBB142_2913:
	s_mov_b32 s3, 0
.LBB142_2914:
	s_delay_alu instid0(SALU_CYCLE_1)
	s_and_b32 vcc_lo, exec_lo, s3
	s_mov_b32 s3, 0
	s_cbranch_vccz .LBB142_2916
; %bb.2915:
	v_cmp_ne_u16_e64 s0, 11, v3
	s_mov_b32 s3, -1
.LBB142_2916:
	s_delay_alu instid0(VALU_DEP_1)
	s_and_b32 vcc_lo, exec_lo, s0
	s_cbranch_vccnz .LBB142_3105
; %bb.2917:
	s_and_not1_b32 vcc_lo, exec_lo, s3
	s_cbranch_vccnz .LBB142_2919
.LBB142_2918:
	v_and_b32_e32 v5, 0x7fff, v4
	s_mov_b32 s6, -1
	s_delay_alu instid0(VALU_DEP_1)
	v_cmp_ne_u16_e32 vcc_lo, 0, v5
	v_cndmask_b32_e64 v5, 0, 1, vcc_lo
	global_store_b8 v[0:1], v5, off
.LBB142_2919:
	s_mov_b32 s0, 0
	s_branch .LBB142_2921
.LBB142_2920:
	s_mov_b32 s0, -1
	s_mov_b32 s6, 0
.LBB142_2921:
	s_and_b32 vcc_lo, exec_lo, s0
	s_cbranch_vccz .LBB142_2960
; %bb.2922:
	v_cmp_gt_i16_e32 vcc_lo, 5, v3
	s_mov_b32 s0, -1
	s_cbranch_vccnz .LBB142_2943
; %bb.2923:
	v_cmp_gt_i16_e32 vcc_lo, 8, v3
	s_cbranch_vccnz .LBB142_2933
; %bb.2924:
	v_cmp_gt_i16_e32 vcc_lo, 9, v3
	s_cbranch_vccnz .LBB142_2930
; %bb.2925:
	v_cmp_lt_i16_e32 vcc_lo, 9, v3
	s_cbranch_vccz .LBB142_2927
; %bb.2926:
	v_mov_b32_e32 v11, 0
	v_lshlrev_b32_e32 v5, 16, v4
	s_mov_b32 s0, 0
	s_delay_alu instid0(VALU_DEP_2) | instskip(NEXT) | instid1(VALU_DEP_2)
	v_mov_b32_e32 v12, v11
	v_cvt_f64_f32_e32 v[9:10], v5
	global_store_b128 v[0:1], v[9:12], off
.LBB142_2927:
	s_and_not1_b32 vcc_lo, exec_lo, s0
	s_cbranch_vccnz .LBB142_2929
; %bb.2928:
	v_dual_mov_b32 v6, 0 :: v_dual_lshlrev_b32 v5, 16, v4
	global_store_b64 v[0:1], v[5:6], off
.LBB142_2929:
	s_mov_b32 s0, 0
.LBB142_2930:
	s_delay_alu instid0(SALU_CYCLE_1)
	s_and_not1_b32 vcc_lo, exec_lo, s0
	s_cbranch_vccnz .LBB142_2932
; %bb.2931:
	v_lshlrev_b32_e32 v5, 16, v4
	s_delay_alu instid0(VALU_DEP_1) | instskip(NEXT) | instid1(VALU_DEP_1)
	v_cvt_f16_f32_e32 v5, v5
	v_and_b32_e32 v5, 0xffff, v5
	global_store_b32 v[0:1], v5, off
.LBB142_2932:
	s_mov_b32 s0, 0
.LBB142_2933:
	s_delay_alu instid0(SALU_CYCLE_1)
	s_and_not1_b32 vcc_lo, exec_lo, s0
	s_cbranch_vccnz .LBB142_2942
; %bb.2934:
	v_cmp_gt_i16_e32 vcc_lo, 6, v3
	s_mov_b32 s0, -1
	s_cbranch_vccnz .LBB142_2940
; %bb.2935:
	v_cmp_lt_i16_e32 vcc_lo, 6, v3
	s_cbranch_vccz .LBB142_2937
; %bb.2936:
	v_lshlrev_b32_e32 v5, 16, v4
	s_mov_b32 s0, 0
	s_delay_alu instid0(VALU_DEP_1)
	v_cvt_f64_f32_e32 v[5:6], v5
	global_store_b64 v[0:1], v[5:6], off
.LBB142_2937:
	s_and_not1_b32 vcc_lo, exec_lo, s0
	s_cbranch_vccnz .LBB142_2939
; %bb.2938:
	v_lshlrev_b32_e32 v5, 16, v4
	global_store_b32 v[0:1], v5, off
.LBB142_2939:
	s_mov_b32 s0, 0
.LBB142_2940:
	s_delay_alu instid0(SALU_CYCLE_1)
	s_and_not1_b32 vcc_lo, exec_lo, s0
	s_cbranch_vccnz .LBB142_2942
; %bb.2941:
	v_lshlrev_b32_e32 v5, 16, v4
	s_delay_alu instid0(VALU_DEP_1)
	v_cvt_f16_f32_e32 v5, v5
	global_store_b16 v[0:1], v5, off
.LBB142_2942:
	s_mov_b32 s0, 0
.LBB142_2943:
	s_delay_alu instid0(SALU_CYCLE_1)
	s_and_not1_b32 vcc_lo, exec_lo, s0
	s_cbranch_vccnz .LBB142_2959
; %bb.2944:
	v_cmp_gt_i16_e32 vcc_lo, 2, v3
	s_mov_b32 s0, -1
	s_cbranch_vccnz .LBB142_2954
; %bb.2945:
	v_cmp_gt_i16_e32 vcc_lo, 3, v3
	s_cbranch_vccnz .LBB142_2951
; %bb.2946:
	v_cmp_lt_i16_e32 vcc_lo, 3, v3
	s_cbranch_vccz .LBB142_2948
; %bb.2947:
	v_lshlrev_b32_e32 v5, 16, v4
	s_mov_b32 s0, 0
	s_delay_alu instid0(VALU_DEP_1) | instskip(NEXT) | instid1(VALU_DEP_1)
	v_trunc_f32_e32 v5, v5
	v_mul_f32_e64 v6, 0x2f800000, |v5|
	v_ashrrev_i32_e32 v9, 31, v5
	s_delay_alu instid0(VALU_DEP_2) | instskip(NEXT) | instid1(VALU_DEP_1)
	v_floor_f32_e32 v6, v6
	v_fma_f32 v7, 0xcf800000, v6, |v5|
	v_cvt_u32_f32_e32 v6, v6
	s_delay_alu instid0(VALU_DEP_2) | instskip(NEXT) | instid1(VALU_DEP_2)
	v_cvt_u32_f32_e32 v5, v7
	v_xor_b32_e32 v6, v6, v9
	s_delay_alu instid0(VALU_DEP_2) | instskip(NEXT) | instid1(VALU_DEP_1)
	v_xor_b32_e32 v5, v5, v9
	v_sub_co_u32 v5, vcc_lo, v5, v9
	s_delay_alu instid0(VALU_DEP_3)
	v_sub_co_ci_u32_e32 v6, vcc_lo, v6, v9, vcc_lo
	global_store_b64 v[0:1], v[5:6], off
.LBB142_2948:
	s_and_not1_b32 vcc_lo, exec_lo, s0
	s_cbranch_vccnz .LBB142_2950
; %bb.2949:
	v_lshlrev_b32_e32 v5, 16, v4
	s_delay_alu instid0(VALU_DEP_1)
	v_cvt_i32_f32_e32 v5, v5
	global_store_b32 v[0:1], v5, off
.LBB142_2950:
	s_mov_b32 s0, 0
.LBB142_2951:
	s_delay_alu instid0(SALU_CYCLE_1)
	s_and_not1_b32 vcc_lo, exec_lo, s0
	s_cbranch_vccnz .LBB142_2953
; %bb.2952:
	v_lshlrev_b32_e32 v5, 16, v4
	s_delay_alu instid0(VALU_DEP_1)
	v_cvt_i32_f32_e32 v5, v5
	global_store_b16 v[0:1], v5, off
.LBB142_2953:
	s_mov_b32 s0, 0
.LBB142_2954:
	s_delay_alu instid0(SALU_CYCLE_1)
	s_and_not1_b32 vcc_lo, exec_lo, s0
	s_cbranch_vccnz .LBB142_2959
; %bb.2955:
	v_cmp_lt_i16_e32 vcc_lo, 0, v3
	s_mov_b32 s0, -1
	s_cbranch_vccz .LBB142_2957
; %bb.2956:
	v_lshlrev_b32_e32 v5, 16, v4
	s_mov_b32 s0, 0
	s_delay_alu instid0(VALU_DEP_1)
	v_cvt_i32_f32_e32 v5, v5
	global_store_b8 v[0:1], v5, off
.LBB142_2957:
	s_and_not1_b32 vcc_lo, exec_lo, s0
	s_cbranch_vccnz .LBB142_2959
; %bb.2958:
	v_lshlrev_b32_e32 v4, 16, v4
	s_delay_alu instid0(VALU_DEP_1) | instskip(NEXT) | instid1(VALU_DEP_1)
	v_trunc_f32_e32 v4, v4
	v_mul_f32_e64 v5, 0x2f800000, |v4|
	s_delay_alu instid0(VALU_DEP_1) | instskip(NEXT) | instid1(VALU_DEP_1)
	v_floor_f32_e32 v5, v5
	v_fma_f32 v5, 0xcf800000, v5, |v4|
	v_ashrrev_i32_e32 v4, 31, v4
	s_delay_alu instid0(VALU_DEP_2) | instskip(NEXT) | instid1(VALU_DEP_1)
	v_cvt_u32_f32_e32 v5, v5
	v_xor_b32_e32 v5, v5, v4
	s_delay_alu instid0(VALU_DEP_1)
	v_sub_nc_u32_e32 v4, v5, v4
	global_store_b8 v[0:1], v4, off
.LBB142_2959:
	s_mov_b32 s6, -1
.LBB142_2960:
	s_delay_alu instid0(SALU_CYCLE_1)
	s_and_not1_b32 vcc_lo, exec_lo, s6
	s_cbranch_vccnz .LBB142_3037
; %bb.2961:
	v_cndmask_b32_e64 v0, 0, 1.0, s2
	v_lshlrev_b32_e32 v1, 16, v8
	v_cmp_gt_i16_e32 vcc_lo, 11, v3
	s_delay_alu instid0(VALU_DEP_2) | instskip(SKIP_1) | instid1(VALU_DEP_1)
	v_dual_mul_f32 v0, v1, v0 :: v_dual_add_nc_u32 v1, s1, v2
	s_and_b32 vcc_lo, exec_lo, vcc_lo
	v_mul_f32_e32 v4, s11, v0
	s_delay_alu instid0(VALU_DEP_2) | instskip(NEXT) | instid1(VALU_DEP_2)
	v_ashrrev_i32_e32 v2, 31, v1
	v_bfe_u32 v0, v4, 16, 1
	s_delay_alu instid0(VALU_DEP_1) | instskip(NEXT) | instid1(VALU_DEP_1)
	v_add3_u32 v0, v4, v0, 0x7fff
	v_lshrrev_b32_e32 v5, 16, v0
	v_add_co_u32 v0, s0, s4, v1
	s_delay_alu instid0(VALU_DEP_1) | instskip(SKIP_1) | instid1(VALU_DEP_1)
	v_add_co_ci_u32_e64 v1, s0, s5, v2, s0
	v_cmp_o_f32_e64 s0, v4, v4
	v_cndmask_b32_e64 v4, 0x7fc0, v5, s0
	s_cbranch_vccnz .LBB142_3082
; %bb.2962:
	v_cmp_lt_i16_e32 vcc_lo, 25, v3
	s_mov_b32 s2, -1
	s_mov_b32 s1, 0
	s_mov_b32 s0, 0
	s_cbranch_vccz .LBB142_2995
; %bb.2963:
	v_cmp_lt_i16_e32 vcc_lo, 28, v3
	s_cbranch_vccz .LBB142_2979
; %bb.2964:
	v_cmp_lt_i16_e32 vcc_lo, 43, v3
	;; [unrolled: 3-line block ×3, first 2 shown]
	s_cbranch_vccz .LBB142_2969
; %bb.2966:
	v_cmp_eq_u16_e32 vcc_lo, 46, v3
	s_mov_b32 s0, -1
	s_cbranch_vccz .LBB142_2968
; %bb.2967:
	v_and_b32_e32 v2, 0xffff, v4
	s_mov_b32 s0, 0
	global_store_b32 v[0:1], v2, off
.LBB142_2968:
	s_mov_b32 s2, 0
.LBB142_2969:
	s_delay_alu instid0(SALU_CYCLE_1)
	s_and_b32 vcc_lo, exec_lo, s2
	s_cbranch_vccz .LBB142_2974
; %bb.2970:
	v_cmp_eq_u16_e32 vcc_lo, 44, v3
	s_mov_b32 s0, -1
	s_cbranch_vccz .LBB142_2974
; %bb.2971:
	v_and_b32_e32 v2, 0xffff, v4
	v_mov_b32_e32 v5, 0xff
	s_mov_b32 s2, exec_lo
	s_delay_alu instid0(VALU_DEP_2) | instskip(NEXT) | instid1(VALU_DEP_1)
	v_bfe_u32 v6, v2, 7, 8
	v_cmpx_ne_u32_e32 0xff, v6
; %bb.2972:
	v_lshlrev_b32_e32 v5, 16, v2
	v_and_b32_e32 v7, 64, v2
	v_lshrrev_b32_e32 v2, 7, v2
	s_delay_alu instid0(VALU_DEP_3) | instskip(NEXT) | instid1(VALU_DEP_3)
	v_and_or_b32 v5, 0x3f0000, v5, v6
	v_cmp_ne_u32_e32 vcc_lo, 0, v7
	s_delay_alu instid0(VALU_DEP_2) | instskip(NEXT) | instid1(VALU_DEP_1)
	v_cmp_ne_u32_e64 s0, 0, v5
	s_and_b32 s0, vcc_lo, s0
	s_delay_alu instid0(SALU_CYCLE_1) | instskip(NEXT) | instid1(VALU_DEP_1)
	v_cndmask_b32_e64 v5, 0, 1, s0
	v_add_nc_u32_e32 v5, v2, v5
; %bb.2973:
	s_or_b32 exec_lo, exec_lo, s2
	s_mov_b32 s0, 0
	global_store_b8 v[0:1], v5, off
.LBB142_2974:
	s_mov_b32 s2, 0
.LBB142_2975:
	s_delay_alu instid0(SALU_CYCLE_1)
	s_and_b32 vcc_lo, exec_lo, s2
	s_cbranch_vccz .LBB142_2978
; %bb.2976:
	v_cmp_eq_u16_e32 vcc_lo, 29, v3
	s_mov_b32 s0, -1
	s_cbranch_vccz .LBB142_2978
; %bb.2977:
	v_lshlrev_b32_e32 v2, 16, v4
	s_mov_b32 s0, 0
	s_delay_alu instid0(VALU_DEP_1) | instskip(NEXT) | instid1(VALU_DEP_1)
	v_trunc_f32_e32 v2, v2
	v_mul_f32_e32 v5, 0x2f800000, v2
	s_delay_alu instid0(VALU_DEP_1) | instskip(NEXT) | instid1(VALU_DEP_1)
	v_floor_f32_e32 v5, v5
	v_fmamk_f32 v2, v5, 0xcf800000, v2
	v_cvt_u32_f32_e32 v6, v5
	s_delay_alu instid0(VALU_DEP_2)
	v_cvt_u32_f32_e32 v5, v2
	global_store_b64 v[0:1], v[5:6], off
.LBB142_2978:
	s_mov_b32 s2, 0
.LBB142_2979:
	s_delay_alu instid0(SALU_CYCLE_1)
	s_and_b32 vcc_lo, exec_lo, s2
	s_cbranch_vccz .LBB142_2994
; %bb.2980:
	v_cmp_gt_i16_e32 vcc_lo, 27, v3
	s_mov_b32 s2, -1
	s_cbranch_vccnz .LBB142_2986
; %bb.2981:
	v_cmp_lt_i16_e32 vcc_lo, 27, v3
	s_cbranch_vccz .LBB142_2983
; %bb.2982:
	v_lshlrev_b32_e32 v2, 16, v4
	s_mov_b32 s2, 0
	s_delay_alu instid0(VALU_DEP_1)
	v_cvt_u32_f32_e32 v2, v2
	global_store_b32 v[0:1], v2, off
.LBB142_2983:
	s_and_not1_b32 vcc_lo, exec_lo, s2
	s_cbranch_vccnz .LBB142_2985
; %bb.2984:
	v_lshlrev_b32_e32 v2, 16, v4
	s_delay_alu instid0(VALU_DEP_1)
	v_cvt_u32_f32_e32 v2, v2
	global_store_b16 v[0:1], v2, off
.LBB142_2985:
	s_mov_b32 s2, 0
.LBB142_2986:
	s_delay_alu instid0(SALU_CYCLE_1)
	s_and_not1_b32 vcc_lo, exec_lo, s2
	s_cbranch_vccnz .LBB142_2994
; %bb.2987:
	v_dual_mov_b32 v7, 0x80 :: v_dual_lshlrev_b32 v6, 16, v4
	s_mov_b32 s2, exec_lo
	s_delay_alu instid0(VALU_DEP_1) | instskip(NEXT) | instid1(VALU_DEP_1)
	v_and_b32_e32 v5, 0x7fffffff, v6
	v_cmpx_gt_u32_e32 0x43800000, v5
	s_cbranch_execz .LBB142_2993
; %bb.2988:
	v_and_b32_e32 v2, 0xffff, v4
	v_cmp_lt_u32_e32 vcc_lo, 0x3bffffff, v5
	s_mov_b32 s3, 0
                                        ; implicit-def: $vgpr5
	s_and_saveexec_b32 s4, vcc_lo
	s_delay_alu instid0(SALU_CYCLE_1)
	s_xor_b32 s4, exec_lo, s4
	s_cbranch_execz .LBB142_3109
; %bb.2989:
	v_bfe_u32 v5, v2, 4, 1
	s_mov_b32 s3, exec_lo
	s_delay_alu instid0(VALU_DEP_1) | instskip(NEXT) | instid1(VALU_DEP_1)
	v_add3_u32 v5, v6, v5, 0x487ffff
                                        ; implicit-def: $vgpr6
	v_lshrrev_b32_e32 v5, 20, v5
	s_or_saveexec_b32 s4, s4
                                        ; implicit-def: $sgpr5
	s_delay_alu instid0(SALU_CYCLE_1)
	s_xor_b32 exec_lo, exec_lo, s4
	s_cbranch_execnz .LBB142_3110
.LBB142_2990:
	s_or_b32 exec_lo, exec_lo, s4
	v_mov_b32_e32 v7, s5
	s_and_saveexec_b32 s4, s3
.LBB142_2991:
	v_lshrrev_b32_e32 v2, 8, v2
	s_delay_alu instid0(VALU_DEP_1)
	v_and_or_b32 v7, 0x80, v2, v5
.LBB142_2992:
	s_or_b32 exec_lo, exec_lo, s4
.LBB142_2993:
	s_delay_alu instid0(SALU_CYCLE_1)
	s_or_b32 exec_lo, exec_lo, s2
	global_store_b8 v[0:1], v7, off
.LBB142_2994:
	s_mov_b32 s2, 0
.LBB142_2995:
	s_delay_alu instid0(SALU_CYCLE_1)
	s_and_b32 vcc_lo, exec_lo, s2
	s_cbranch_vccz .LBB142_3035
; %bb.2996:
	v_cmp_lt_i16_e32 vcc_lo, 22, v3
	s_mov_b32 s1, -1
	s_cbranch_vccz .LBB142_3028
; %bb.2997:
	v_cmp_gt_i16_e32 vcc_lo, 24, v3
	s_cbranch_vccnz .LBB142_3017
; %bb.2998:
	v_cmp_lt_i16_e32 vcc_lo, 24, v3
	s_cbranch_vccz .LBB142_3006
; %bb.2999:
	v_dual_mov_b32 v7, 0x80 :: v_dual_lshlrev_b32 v6, 16, v4
	s_mov_b32 s1, exec_lo
	s_delay_alu instid0(VALU_DEP_1) | instskip(NEXT) | instid1(VALU_DEP_1)
	v_and_b32_e32 v5, 0x7fffffff, v6
	v_cmpx_gt_u32_e32 0x47800000, v5
	s_cbranch_execz .LBB142_3005
; %bb.3000:
	v_and_b32_e32 v2, 0xffff, v4
	v_cmp_lt_u32_e32 vcc_lo, 0x37ffffff, v5
	s_mov_b32 s2, 0
                                        ; implicit-def: $vgpr5
	s_and_saveexec_b32 s3, vcc_lo
	s_delay_alu instid0(SALU_CYCLE_1)
	s_xor_b32 s3, exec_lo, s3
	s_cbranch_execz .LBB142_3115
; %bb.3001:
	v_bfe_u32 v5, v2, 5, 1
	s_mov_b32 s2, exec_lo
	s_delay_alu instid0(VALU_DEP_1) | instskip(NEXT) | instid1(VALU_DEP_1)
	v_add3_u32 v5, v6, v5, 0x88fffff
                                        ; implicit-def: $vgpr6
	v_lshrrev_b32_e32 v5, 21, v5
	s_or_saveexec_b32 s3, s3
                                        ; implicit-def: $sgpr4
	s_delay_alu instid0(SALU_CYCLE_1)
	s_xor_b32 exec_lo, exec_lo, s3
	s_cbranch_execnz .LBB142_3116
.LBB142_3002:
	s_or_b32 exec_lo, exec_lo, s3
	v_mov_b32_e32 v7, s4
	s_and_saveexec_b32 s3, s2
.LBB142_3003:
	v_lshrrev_b32_e32 v2, 8, v2
	s_delay_alu instid0(VALU_DEP_1)
	v_and_or_b32 v7, 0x80, v2, v5
.LBB142_3004:
	s_or_b32 exec_lo, exec_lo, s3
.LBB142_3005:
	s_delay_alu instid0(SALU_CYCLE_1)
	s_or_b32 exec_lo, exec_lo, s1
	s_mov_b32 s1, 0
	global_store_b8 v[0:1], v7, off
.LBB142_3006:
	s_and_b32 vcc_lo, exec_lo, s1
	s_cbranch_vccz .LBB142_3016
; %bb.3007:
	v_lshlrev_b32_e32 v6, 16, v4
	v_and_b32_e32 v2, 0xffff, v4
	s_mov_b32 s1, exec_lo
                                        ; implicit-def: $vgpr5
	s_delay_alu instid0(VALU_DEP_2) | instskip(NEXT) | instid1(VALU_DEP_1)
	v_and_b32_e32 v7, 0x7fffffff, v6
	v_cmpx_gt_u32_e32 0x43f00000, v7
	s_xor_b32 s1, exec_lo, s1
	s_cbranch_execz .LBB142_3013
; %bb.3008:
	s_mov_b32 s2, exec_lo
                                        ; implicit-def: $vgpr5
	v_cmpx_lt_u32_e32 0x3c7fffff, v7
	s_xor_b32 s2, exec_lo, s2
; %bb.3009:
	v_bfe_u32 v5, v2, 4, 1
	s_delay_alu instid0(VALU_DEP_1) | instskip(NEXT) | instid1(VALU_DEP_1)
	v_add3_u32 v5, v6, v5, 0x407ffff
	v_and_b32_e32 v6, 0xff00000, v5
	v_lshrrev_b32_e32 v5, 20, v5
	s_delay_alu instid0(VALU_DEP_2) | instskip(NEXT) | instid1(VALU_DEP_2)
	v_cmp_ne_u32_e32 vcc_lo, 0x7f00000, v6
                                        ; implicit-def: $vgpr6
	v_cndmask_b32_e32 v5, 0x7e, v5, vcc_lo
; %bb.3010:
	s_and_not1_saveexec_b32 s2, s2
; %bb.3011:
	v_add_f32_e64 v5, 0x46800000, |v6|
; %bb.3012:
	s_or_b32 exec_lo, exec_lo, s2
                                        ; implicit-def: $vgpr7
.LBB142_3013:
	s_and_not1_saveexec_b32 s1, s1
; %bb.3014:
	v_mov_b32_e32 v5, 0x7f
	v_cmp_lt_u32_e32 vcc_lo, 0x7f800000, v7
	s_delay_alu instid0(VALU_DEP_2)
	v_cndmask_b32_e32 v5, 0x7e, v5, vcc_lo
; %bb.3015:
	s_or_b32 exec_lo, exec_lo, s1
	v_lshrrev_b32_e32 v2, 8, v2
	s_delay_alu instid0(VALU_DEP_1)
	v_and_or_b32 v2, 0x80, v2, v5
	global_store_b8 v[0:1], v2, off
.LBB142_3016:
	s_mov_b32 s1, 0
.LBB142_3017:
	s_delay_alu instid0(SALU_CYCLE_1)
	s_and_not1_b32 vcc_lo, exec_lo, s1
	s_cbranch_vccnz .LBB142_3027
; %bb.3018:
	v_lshlrev_b32_e32 v6, 16, v4
	v_and_b32_e32 v2, 0xffff, v4
	s_mov_b32 s1, exec_lo
                                        ; implicit-def: $vgpr5
	s_delay_alu instid0(VALU_DEP_2) | instskip(NEXT) | instid1(VALU_DEP_1)
	v_and_b32_e32 v7, 0x7fffffff, v6
	v_cmpx_gt_u32_e32 0x47800000, v7
	s_xor_b32 s1, exec_lo, s1
	s_cbranch_execz .LBB142_3024
; %bb.3019:
	s_mov_b32 s2, exec_lo
                                        ; implicit-def: $vgpr5
	v_cmpx_lt_u32_e32 0x387fffff, v7
	s_xor_b32 s2, exec_lo, s2
; %bb.3020:
	v_bfe_u32 v5, v2, 5, 1
	s_delay_alu instid0(VALU_DEP_1) | instskip(NEXT) | instid1(VALU_DEP_1)
	v_add3_u32 v5, v6, v5, 0x80fffff
                                        ; implicit-def: $vgpr6
	v_lshrrev_b32_e32 v5, 21, v5
; %bb.3021:
	s_and_not1_saveexec_b32 s2, s2
; %bb.3022:
	v_add_f32_e64 v5, 0x43000000, |v6|
; %bb.3023:
	s_or_b32 exec_lo, exec_lo, s2
                                        ; implicit-def: $vgpr7
.LBB142_3024:
	s_and_not1_saveexec_b32 s1, s1
; %bb.3025:
	v_mov_b32_e32 v5, 0x7f
	v_cmp_lt_u32_e32 vcc_lo, 0x7f800000, v7
	s_delay_alu instid0(VALU_DEP_2)
	v_cndmask_b32_e32 v5, 0x7c, v5, vcc_lo
; %bb.3026:
	s_or_b32 exec_lo, exec_lo, s1
	v_lshrrev_b32_e32 v2, 8, v2
	s_delay_alu instid0(VALU_DEP_1)
	v_and_or_b32 v2, 0x80, v2, v5
	global_store_b8 v[0:1], v2, off
.LBB142_3027:
	s_mov_b32 s1, 0
.LBB142_3028:
	s_delay_alu instid0(SALU_CYCLE_1)
	s_and_not1_b32 vcc_lo, exec_lo, s1
	s_mov_b32 s1, 0
	s_cbranch_vccnz .LBB142_3035
; %bb.3029:
	v_cmp_lt_i16_e32 vcc_lo, 14, v3
	s_mov_b32 s1, -1
	s_cbranch_vccz .LBB142_3033
; %bb.3030:
	v_cmp_eq_u16_e32 vcc_lo, 15, v3
	s_mov_b32 s0, -1
	s_cbranch_vccz .LBB142_3032
; %bb.3031:
	s_mov_b32 s0, 0
	global_store_b16 v[0:1], v4, off
.LBB142_3032:
	s_mov_b32 s1, 0
.LBB142_3033:
	s_delay_alu instid0(SALU_CYCLE_1)
	s_and_b32 vcc_lo, exec_lo, s1
	s_mov_b32 s1, 0
	s_cbranch_vccz .LBB142_3035
; %bb.3034:
	v_cmp_ne_u16_e64 s0, 11, v3
	s_mov_b32 s1, -1
.LBB142_3035:
	s_delay_alu instid0(VALU_DEP_1)
	s_and_b32 vcc_lo, exec_lo, s0
	s_cbranch_vccnz .LBB142_3113
.LBB142_3036:
	s_mov_b32 s0, 0
	s_branch .LBB142_3038
.LBB142_3037:
	s_mov_b32 s0, 0
	s_mov_b32 s1, 0
                                        ; implicit-def: $vgpr3
                                        ; implicit-def: $vgpr0_vgpr1
                                        ; implicit-def: $vgpr4
.LBB142_3038:
	s_and_not1_b32 s2, s16, exec_lo
	s_and_b32 s3, s13, exec_lo
	s_and_b32 s0, s0, exec_lo
	;; [unrolled: 1-line block ×3, first 2 shown]
	s_or_b32 s16, s2, s3
.LBB142_3039:
	s_or_b32 exec_lo, exec_lo, s15
	s_and_saveexec_b32 s1, s16
	s_cbranch_execz .LBB142_3042
; %bb.3040:
	; divergent unreachable
	s_or_b32 exec_lo, exec_lo, s1
	s_and_saveexec_b32 s1, s13
	s_delay_alu instid0(SALU_CYCLE_1)
	s_xor_b32 s1, exec_lo, s1
	s_cbranch_execnz .LBB142_3043
.LBB142_3041:
	s_or_b32 exec_lo, exec_lo, s1
	s_and_saveexec_b32 s1, s0
	s_cbranch_execnz .LBB142_3044
	s_branch .LBB142_3081
.LBB142_3042:
	s_or_b32 exec_lo, exec_lo, s1
	s_and_saveexec_b32 s1, s13
	s_delay_alu instid0(SALU_CYCLE_1)
	s_xor_b32 s1, exec_lo, s1
	s_cbranch_execz .LBB142_3041
.LBB142_3043:
	v_and_b32_e32 v2, 0x7fff, v4
	s_delay_alu instid0(VALU_DEP_1)
	v_cmp_ne_u16_e32 vcc_lo, 0, v2
	v_cndmask_b32_e64 v2, 0, 1, vcc_lo
	global_store_b8 v[0:1], v2, off
	s_or_b32 exec_lo, exec_lo, s1
	s_and_saveexec_b32 s1, s0
	s_cbranch_execz .LBB142_3081
.LBB142_3044:
	s_waitcnt vmcnt(0)
	v_cmp_gt_i16_e32 vcc_lo, 5, v3
	s_mov_b32 s0, -1
	s_cbranch_vccnz .LBB142_3065
; %bb.3045:
	v_cmp_gt_i16_e32 vcc_lo, 8, v3
	s_cbranch_vccnz .LBB142_3055
; %bb.3046:
	v_cmp_gt_i16_e32 vcc_lo, 9, v3
	s_cbranch_vccnz .LBB142_3052
; %bb.3047:
	v_cmp_lt_i16_e32 vcc_lo, 9, v3
	s_cbranch_vccz .LBB142_3049
; %bb.3048:
	v_dual_mov_b32 v7, 0 :: v_dual_lshlrev_b32 v2, 16, v4
	s_mov_b32 s0, 0
	s_delay_alu instid0(VALU_DEP_1) | instskip(NEXT) | instid1(VALU_DEP_2)
	v_cvt_f64_f32_e32 v[5:6], v2
	v_mov_b32_e32 v8, v7
	global_store_b128 v[0:1], v[5:8], off
.LBB142_3049:
	s_and_not1_b32 vcc_lo, exec_lo, s0
	s_cbranch_vccnz .LBB142_3051
; %bb.3050:
	v_dual_mov_b32 v6, 0 :: v_dual_lshlrev_b32 v5, 16, v4
	global_store_b64 v[0:1], v[5:6], off
.LBB142_3051:
	s_mov_b32 s0, 0
.LBB142_3052:
	s_delay_alu instid0(SALU_CYCLE_1)
	s_and_not1_b32 vcc_lo, exec_lo, s0
	s_cbranch_vccnz .LBB142_3054
; %bb.3053:
	v_lshlrev_b32_e32 v2, 16, v4
	s_delay_alu instid0(VALU_DEP_1) | instskip(NEXT) | instid1(VALU_DEP_1)
	v_cvt_f16_f32_e32 v2, v2
	v_and_b32_e32 v2, 0xffff, v2
	global_store_b32 v[0:1], v2, off
.LBB142_3054:
	s_mov_b32 s0, 0
.LBB142_3055:
	s_delay_alu instid0(SALU_CYCLE_1)
	s_and_not1_b32 vcc_lo, exec_lo, s0
	s_cbranch_vccnz .LBB142_3064
; %bb.3056:
	v_cmp_gt_i16_e32 vcc_lo, 6, v3
	s_mov_b32 s0, -1
	s_cbranch_vccnz .LBB142_3062
; %bb.3057:
	v_cmp_lt_i16_e32 vcc_lo, 6, v3
	s_cbranch_vccz .LBB142_3059
; %bb.3058:
	v_lshlrev_b32_e32 v2, 16, v4
	s_mov_b32 s0, 0
	s_delay_alu instid0(VALU_DEP_1)
	v_cvt_f64_f32_e32 v[5:6], v2
	global_store_b64 v[0:1], v[5:6], off
.LBB142_3059:
	s_and_not1_b32 vcc_lo, exec_lo, s0
	s_cbranch_vccnz .LBB142_3061
; %bb.3060:
	v_lshlrev_b32_e32 v2, 16, v4
	global_store_b32 v[0:1], v2, off
.LBB142_3061:
	s_mov_b32 s0, 0
.LBB142_3062:
	s_delay_alu instid0(SALU_CYCLE_1)
	s_and_not1_b32 vcc_lo, exec_lo, s0
	s_cbranch_vccnz .LBB142_3064
; %bb.3063:
	v_lshlrev_b32_e32 v2, 16, v4
	s_delay_alu instid0(VALU_DEP_1)
	v_cvt_f16_f32_e32 v2, v2
	global_store_b16 v[0:1], v2, off
.LBB142_3064:
	s_mov_b32 s0, 0
.LBB142_3065:
	s_delay_alu instid0(SALU_CYCLE_1)
	s_and_not1_b32 vcc_lo, exec_lo, s0
	s_cbranch_vccnz .LBB142_3081
; %bb.3066:
	v_cmp_gt_i16_e32 vcc_lo, 2, v3
	s_mov_b32 s0, -1
	s_cbranch_vccnz .LBB142_3076
; %bb.3067:
	v_cmp_gt_i16_e32 vcc_lo, 3, v3
	s_cbranch_vccnz .LBB142_3073
; %bb.3068:
	v_cmp_lt_i16_e32 vcc_lo, 3, v3
	s_cbranch_vccz .LBB142_3070
; %bb.3069:
	v_lshlrev_b32_e32 v2, 16, v4
	s_mov_b32 s0, 0
	s_delay_alu instid0(VALU_DEP_1) | instskip(NEXT) | instid1(VALU_DEP_1)
	v_trunc_f32_e32 v2, v2
	v_mul_f32_e64 v5, 0x2f800000, |v2|
	s_delay_alu instid0(VALU_DEP_1) | instskip(NEXT) | instid1(VALU_DEP_1)
	v_floor_f32_e32 v5, v5
	v_fma_f32 v6, 0xcf800000, v5, |v2|
	v_ashrrev_i32_e32 v2, 31, v2
	v_cvt_u32_f32_e32 v5, v5
	s_delay_alu instid0(VALU_DEP_3) | instskip(NEXT) | instid1(VALU_DEP_2)
	v_cvt_u32_f32_e32 v6, v6
	v_xor_b32_e32 v7, v5, v2
	s_delay_alu instid0(VALU_DEP_2) | instskip(NEXT) | instid1(VALU_DEP_1)
	v_xor_b32_e32 v6, v6, v2
	v_sub_co_u32 v5, vcc_lo, v6, v2
	s_delay_alu instid0(VALU_DEP_3)
	v_sub_co_ci_u32_e32 v6, vcc_lo, v7, v2, vcc_lo
	global_store_b64 v[0:1], v[5:6], off
.LBB142_3070:
	s_and_not1_b32 vcc_lo, exec_lo, s0
	s_cbranch_vccnz .LBB142_3072
; %bb.3071:
	v_lshlrev_b32_e32 v2, 16, v4
	s_delay_alu instid0(VALU_DEP_1)
	v_cvt_i32_f32_e32 v2, v2
	global_store_b32 v[0:1], v2, off
.LBB142_3072:
	s_mov_b32 s0, 0
.LBB142_3073:
	s_delay_alu instid0(SALU_CYCLE_1)
	s_and_not1_b32 vcc_lo, exec_lo, s0
	s_cbranch_vccnz .LBB142_3075
; %bb.3074:
	v_lshlrev_b32_e32 v2, 16, v4
	s_delay_alu instid0(VALU_DEP_1)
	v_cvt_i32_f32_e32 v2, v2
	global_store_b16 v[0:1], v2, off
.LBB142_3075:
	s_mov_b32 s0, 0
.LBB142_3076:
	s_delay_alu instid0(SALU_CYCLE_1)
	s_and_not1_b32 vcc_lo, exec_lo, s0
	s_cbranch_vccnz .LBB142_3081
; %bb.3077:
	v_cmp_lt_i16_e32 vcc_lo, 0, v3
	v_lshlrev_b32_e32 v2, 16, v4
	s_mov_b32 s0, -1
	s_cbranch_vccz .LBB142_3079
; %bb.3078:
	s_delay_alu instid0(VALU_DEP_1)
	v_cvt_i32_f32_e32 v3, v2
	s_mov_b32 s0, 0
	global_store_b8 v[0:1], v3, off
.LBB142_3079:
	s_and_not1_b32 vcc_lo, exec_lo, s0
	s_cbranch_vccnz .LBB142_3081
; %bb.3080:
	v_trunc_f32_e32 v2, v2
	s_delay_alu instid0(VALU_DEP_1) | instskip(NEXT) | instid1(VALU_DEP_1)
	v_mul_f32_e64 v3, 0x2f800000, |v2|
	v_floor_f32_e32 v3, v3
	s_delay_alu instid0(VALU_DEP_1) | instskip(SKIP_1) | instid1(VALU_DEP_2)
	v_fma_f32 v3, 0xcf800000, v3, |v2|
	v_ashrrev_i32_e32 v2, 31, v2
	v_cvt_u32_f32_e32 v3, v3
	s_delay_alu instid0(VALU_DEP_1) | instskip(NEXT) | instid1(VALU_DEP_1)
	v_xor_b32_e32 v3, v3, v2
	v_sub_nc_u32_e32 v2, v3, v2
	global_store_b8 v[0:1], v2, off
	s_nop 0
	s_sendmsg sendmsg(MSG_DEALLOC_VGPRS)
	s_endpgm
.LBB142_3081:
	s_nop 0
	s_sendmsg sendmsg(MSG_DEALLOC_VGPRS)
	s_endpgm
.LBB142_3082:
	s_mov_b32 s1, 0
	s_mov_b32 s0, -1
	s_branch .LBB142_3038
.LBB142_3083:
	s_cbranch_execnz .LBB142_3087
; %bb.3084:
	s_mov_b32 s6, 0
	s_and_not1_b32 s2, s2, exec_lo
	s_or_b32 s13, s13, exec_lo
	s_cbranch_execz .LBB142_2552
	s_branch .LBB142_2553
.LBB142_3085:
	s_or_saveexec_b32 s7, s7
                                        ; implicit-def: $sgpr12
	s_delay_alu instid0(SALU_CYCLE_1)
	s_xor_b32 exec_lo, exec_lo, s7
	s_cbranch_execz .LBB142_2632
.LBB142_3086:
	v_add_f32_e64 v9, 0x46000000, |v10|
	s_and_not1_b32 s6, s6, exec_lo
	s_mov_b32 s12, 0
	s_delay_alu instid0(VALU_DEP_1) | instskip(NEXT) | instid1(VALU_DEP_1)
	v_and_b32_e32 v9, 0xff, v9
	v_cmp_ne_u32_e32 vcc_lo, 0, v9
	s_and_b32 s14, vcc_lo, exec_lo
	s_delay_alu instid0(SALU_CYCLE_1)
	s_or_b32 s6, s6, s14
	s_or_b32 exec_lo, exec_lo, s7
	v_mov_b32_e32 v11, s12
	s_and_saveexec_b32 s7, s6
	s_cbranch_execnz .LBB142_2633
	s_branch .LBB142_2634
.LBB142_3087:
	s_trap 2
	s_sendmsg_rtn_b32 s0, sendmsg(MSG_RTN_GET_DOORBELL)
	s_mov_b32 ttmp2, m0
	s_waitcnt lgkmcnt(0)
	s_and_b32 s0, s0, 0x3ff
	s_delay_alu instid0(SALU_CYCLE_1) | instskip(NEXT) | instid1(SALU_CYCLE_1)
	s_bitset1_b32 s0, 10
	s_mov_b32 m0, s0
	s_sendmsg sendmsg(MSG_INTERRUPT)
	s_mov_b32 m0, ttmp2
.LBB142_3088:                           ; =>This Inner Loop Header: Depth=1
	s_sethalt 5
	s_branch .LBB142_3088
.LBB142_3089:
	s_cbranch_execnz .LBB142_3095
; %bb.3090:
	s_or_b32 s13, s13, exec_lo
	s_cbranch_execz .LBB142_2680
	s_branch .LBB142_2681
.LBB142_3091:
	s_or_saveexec_b32 s6, s6
                                        ; implicit-def: $sgpr7
	s_delay_alu instid0(SALU_CYCLE_1)
	s_xor_b32 exec_lo, exec_lo, s6
	s_cbranch_execz .LBB142_2645
.LBB142_3092:
	v_add_f32_e64 v9, 0x42800000, |v10|
	s_and_not1_b32 s3, s3, exec_lo
	s_mov_b32 s7, 0
	s_delay_alu instid0(VALU_DEP_1) | instskip(NEXT) | instid1(VALU_DEP_1)
	v_and_b32_e32 v9, 0xff, v9
	v_cmp_ne_u32_e32 vcc_lo, 0, v9
	s_and_b32 s12, vcc_lo, exec_lo
	s_delay_alu instid0(SALU_CYCLE_1)
	s_or_b32 s3, s3, s12
	s_or_b32 exec_lo, exec_lo, s6
	v_mov_b32_e32 v11, s7
	s_and_saveexec_b32 s6, s3
	s_cbranch_execnz .LBB142_2646
	s_branch .LBB142_2647
.LBB142_3093:
	s_or_saveexec_b32 s8, s8
                                        ; implicit-def: $sgpr9
	s_delay_alu instid0(SALU_CYCLE_1)
	s_xor_b32 exec_lo, exec_lo, s8
	s_cbranch_execz .LBB142_2751
.LBB142_3094:
	v_add_f32_e64 v6, 0x46000000, |v9|
	s_and_not1_b32 s7, s7, exec_lo
	s_mov_b32 s9, 0
	s_delay_alu instid0(VALU_DEP_1) | instskip(NEXT) | instid1(VALU_DEP_1)
	v_and_b32_e32 v6, 0xff, v6
	v_cmp_ne_u32_e32 vcc_lo, 0, v6
	s_and_b32 s12, vcc_lo, exec_lo
	s_delay_alu instid0(SALU_CYCLE_1)
	s_or_b32 s7, s7, s12
	s_or_b32 exec_lo, exec_lo, s8
	v_mov_b32_e32 v10, s9
	s_and_saveexec_b32 s8, s7
	s_cbranch_execnz .LBB142_2752
	s_branch .LBB142_2753
.LBB142_3095:
	s_trap 2
	s_sendmsg_rtn_b32 s0, sendmsg(MSG_RTN_GET_DOORBELL)
	s_mov_b32 ttmp2, m0
	s_waitcnt lgkmcnt(0)
	s_and_b32 s0, s0, 0x3ff
	s_delay_alu instid0(SALU_CYCLE_1) | instskip(NEXT) | instid1(SALU_CYCLE_1)
	s_bitset1_b32 s0, 10
	s_mov_b32 m0, s0
	s_sendmsg sendmsg(MSG_INTERRUPT)
	s_mov_b32 m0, ttmp2
.LBB142_3096:                           ; =>This Inner Loop Header: Depth=1
	s_sethalt 5
	s_branch .LBB142_3096
.LBB142_3097:
	s_cbranch_execnz .LBB142_3103
; %bb.3098:
	s_or_b32 s13, s13, exec_lo
	s_cbranch_execz .LBB142_2799
	s_branch .LBB142_2800
.LBB142_3099:
	s_or_saveexec_b32 s7, s7
                                        ; implicit-def: $sgpr8
	s_delay_alu instid0(SALU_CYCLE_1)
	s_xor_b32 exec_lo, exec_lo, s7
	s_cbranch_execz .LBB142_2764
.LBB142_3100:
	v_add_f32_e64 v6, 0x42800000, |v9|
	s_and_not1_b32 s6, s6, exec_lo
	s_mov_b32 s8, 0
	s_delay_alu instid0(VALU_DEP_1) | instskip(NEXT) | instid1(VALU_DEP_1)
	v_and_b32_e32 v6, 0xff, v6
	v_cmp_ne_u32_e32 vcc_lo, 0, v6
	s_and_b32 s9, vcc_lo, exec_lo
	s_delay_alu instid0(SALU_CYCLE_1)
	s_or_b32 s6, s6, s9
	s_or_b32 exec_lo, exec_lo, s7
	v_mov_b32_e32 v10, s8
	s_and_saveexec_b32 s7, s6
	s_cbranch_execnz .LBB142_2765
	s_branch .LBB142_2766
.LBB142_3101:
	s_or_saveexec_b32 s8, s8
                                        ; implicit-def: $sgpr9
	s_delay_alu instid0(SALU_CYCLE_1)
	s_xor_b32 exec_lo, exec_lo, s8
	s_cbranch_execz .LBB142_2870
.LBB142_3102:
	v_add_f32_e64 v6, 0x46000000, |v7|
	s_and_not1_b32 s7, s7, exec_lo
	s_mov_b32 s9, 0
	s_delay_alu instid0(VALU_DEP_1) | instskip(NEXT) | instid1(VALU_DEP_1)
	v_and_b32_e32 v6, 0xff, v6
	v_cmp_ne_u32_e32 vcc_lo, 0, v6
	s_and_b32 s10, vcc_lo, exec_lo
	s_delay_alu instid0(SALU_CYCLE_1)
	s_or_b32 s7, s7, s10
	s_or_b32 exec_lo, exec_lo, s8
	v_mov_b32_e32 v9, s9
	s_and_saveexec_b32 s8, s7
	s_cbranch_execnz .LBB142_2871
	s_branch .LBB142_2872
.LBB142_3103:
	s_trap 2
	s_sendmsg_rtn_b32 s0, sendmsg(MSG_RTN_GET_DOORBELL)
	s_mov_b32 ttmp2, m0
	s_waitcnt lgkmcnt(0)
	s_and_b32 s0, s0, 0x3ff
	s_delay_alu instid0(SALU_CYCLE_1) | instskip(NEXT) | instid1(SALU_CYCLE_1)
	s_bitset1_b32 s0, 10
	s_mov_b32 m0, s0
	s_sendmsg sendmsg(MSG_INTERRUPT)
	s_mov_b32 m0, ttmp2
.LBB142_3104:                           ; =>This Inner Loop Header: Depth=1
	s_sethalt 5
	s_branch .LBB142_3104
.LBB142_3105:
	s_cbranch_execnz .LBB142_3111
; %bb.3106:
	s_or_b32 s13, s13, exec_lo
	s_cbranch_execz .LBB142_2918
	s_branch .LBB142_2919
.LBB142_3107:
	s_or_saveexec_b32 s7, s7
                                        ; implicit-def: $sgpr8
	s_delay_alu instid0(SALU_CYCLE_1)
	s_xor_b32 exec_lo, exec_lo, s7
	s_cbranch_execz .LBB142_2883
.LBB142_3108:
	v_add_f32_e64 v6, 0x42800000, |v7|
	s_and_not1_b32 s6, s6, exec_lo
	s_mov_b32 s8, 0
	s_delay_alu instid0(VALU_DEP_1) | instskip(NEXT) | instid1(VALU_DEP_1)
	v_and_b32_e32 v6, 0xff, v6
	v_cmp_ne_u32_e32 vcc_lo, 0, v6
	s_and_b32 s9, vcc_lo, exec_lo
	s_delay_alu instid0(SALU_CYCLE_1)
	s_or_b32 s6, s6, s9
	s_or_b32 exec_lo, exec_lo, s7
	v_mov_b32_e32 v9, s8
	s_and_saveexec_b32 s7, s6
	s_cbranch_execnz .LBB142_2884
	s_branch .LBB142_2885
.LBB142_3109:
	s_or_saveexec_b32 s4, s4
                                        ; implicit-def: $sgpr5
	s_delay_alu instid0(SALU_CYCLE_1)
	s_xor_b32 exec_lo, exec_lo, s4
	s_cbranch_execz .LBB142_2990
.LBB142_3110:
	v_add_f32_e64 v5, 0x46000000, |v6|
	s_and_not1_b32 s3, s3, exec_lo
	s_mov_b32 s5, 0
	s_delay_alu instid0(VALU_DEP_1) | instskip(NEXT) | instid1(VALU_DEP_1)
	v_and_b32_e32 v5, 0xff, v5
	v_cmp_ne_u32_e32 vcc_lo, 0, v5
	s_and_b32 s6, vcc_lo, exec_lo
	s_delay_alu instid0(SALU_CYCLE_1)
	s_or_b32 s3, s3, s6
	s_or_b32 exec_lo, exec_lo, s4
	v_mov_b32_e32 v7, s5
	s_and_saveexec_b32 s4, s3
	s_cbranch_execnz .LBB142_2991
	s_branch .LBB142_2992
.LBB142_3111:
	s_trap 2
	s_sendmsg_rtn_b32 s0, sendmsg(MSG_RTN_GET_DOORBELL)
	s_mov_b32 ttmp2, m0
	s_waitcnt lgkmcnt(0)
	s_and_b32 s0, s0, 0x3ff
	s_delay_alu instid0(SALU_CYCLE_1) | instskip(NEXT) | instid1(SALU_CYCLE_1)
	s_bitset1_b32 s0, 10
	s_mov_b32 m0, s0
	s_sendmsg sendmsg(MSG_INTERRUPT)
	s_mov_b32 m0, ttmp2
.LBB142_3112:                           ; =>This Inner Loop Header: Depth=1
	s_sethalt 5
	s_branch .LBB142_3112
.LBB142_3113:
	s_cbranch_execnz .LBB142_3117
; %bb.3114:
	s_mov_b32 s1, 0
	s_or_b32 s13, s13, exec_lo
	s_branch .LBB142_3036
.LBB142_3115:
	s_or_saveexec_b32 s3, s3
                                        ; implicit-def: $sgpr4
	s_delay_alu instid0(SALU_CYCLE_1)
	s_xor_b32 exec_lo, exec_lo, s3
	s_cbranch_execz .LBB142_3002
.LBB142_3116:
	v_add_f32_e64 v5, 0x42800000, |v6|
	s_and_not1_b32 s2, s2, exec_lo
	s_mov_b32 s4, 0
	s_delay_alu instid0(VALU_DEP_1) | instskip(NEXT) | instid1(VALU_DEP_1)
	v_and_b32_e32 v5, 0xff, v5
	v_cmp_ne_u32_e32 vcc_lo, 0, v5
	s_and_b32 s5, vcc_lo, exec_lo
	s_delay_alu instid0(SALU_CYCLE_1)
	s_or_b32 s2, s2, s5
	s_or_b32 exec_lo, exec_lo, s3
	v_mov_b32_e32 v7, s4
	s_and_saveexec_b32 s3, s2
	s_cbranch_execnz .LBB142_3003
	s_branch .LBB142_3004
.LBB142_3117:
	s_trap 2
	s_sendmsg_rtn_b32 s0, sendmsg(MSG_RTN_GET_DOORBELL)
	s_mov_b32 ttmp2, m0
	s_waitcnt lgkmcnt(0)
	s_and_b32 s0, s0, 0x3ff
	s_delay_alu instid0(SALU_CYCLE_1) | instskip(NEXT) | instid1(SALU_CYCLE_1)
	s_bitset1_b32 s0, 10
	s_mov_b32 m0, s0
	s_sendmsg sendmsg(MSG_INTERRUPT)
	s_mov_b32 m0, ttmp2
.LBB142_3118:                           ; =>This Inner Loop Header: Depth=1
	s_sethalt 5
	s_branch .LBB142_3118
	.section	.rodata,"a",@progbits
	.p2align	6, 0x0
	.amdhsa_kernel _ZN2at6native32elementwise_kernel_manual_unrollILi128ELi4EZNS0_15gpu_kernel_implIZNS0_12_GLOBAL__N_119masked_scale_kernelIbN3c108BFloat16EfEEvRNS_6TensorERKS7_SA_T1_EUlS6_bE_EEvRNS_18TensorIteratorBaseERKT_EUlibE_EEviSB_
		.amdhsa_group_segment_fixed_size 0
		.amdhsa_private_segment_fixed_size 0
		.amdhsa_kernarg_size 56
		.amdhsa_user_sgpr_count 15
		.amdhsa_user_sgpr_dispatch_ptr 0
		.amdhsa_user_sgpr_queue_ptr 0
		.amdhsa_user_sgpr_kernarg_segment_ptr 1
		.amdhsa_user_sgpr_dispatch_id 0
		.amdhsa_user_sgpr_private_segment_size 0
		.amdhsa_wavefront_size32 1
		.amdhsa_uses_dynamic_stack 0
		.amdhsa_enable_private_segment 0
		.amdhsa_system_sgpr_workgroup_id_x 1
		.amdhsa_system_sgpr_workgroup_id_y 0
		.amdhsa_system_sgpr_workgroup_id_z 0
		.amdhsa_system_sgpr_workgroup_info 0
		.amdhsa_system_vgpr_workitem_id 0
		.amdhsa_next_free_vgpr 14
		.amdhsa_next_free_sgpr 35
		.amdhsa_reserve_vcc 1
		.amdhsa_float_round_mode_32 0
		.amdhsa_float_round_mode_16_64 0
		.amdhsa_float_denorm_mode_32 3
		.amdhsa_float_denorm_mode_16_64 3
		.amdhsa_dx10_clamp 1
		.amdhsa_ieee_mode 1
		.amdhsa_fp16_overflow 0
		.amdhsa_workgroup_processor_mode 1
		.amdhsa_memory_ordered 1
		.amdhsa_forward_progress 0
		.amdhsa_shared_vgpr_count 0
		.amdhsa_exception_fp_ieee_invalid_op 0
		.amdhsa_exception_fp_denorm_src 0
		.amdhsa_exception_fp_ieee_div_zero 0
		.amdhsa_exception_fp_ieee_overflow 0
		.amdhsa_exception_fp_ieee_underflow 0
		.amdhsa_exception_fp_ieee_inexact 0
		.amdhsa_exception_int_div_zero 0
	.end_amdhsa_kernel
	.section	.text._ZN2at6native32elementwise_kernel_manual_unrollILi128ELi4EZNS0_15gpu_kernel_implIZNS0_12_GLOBAL__N_119masked_scale_kernelIbN3c108BFloat16EfEEvRNS_6TensorERKS7_SA_T1_EUlS6_bE_EEvRNS_18TensorIteratorBaseERKT_EUlibE_EEviSB_,"axG",@progbits,_ZN2at6native32elementwise_kernel_manual_unrollILi128ELi4EZNS0_15gpu_kernel_implIZNS0_12_GLOBAL__N_119masked_scale_kernelIbN3c108BFloat16EfEEvRNS_6TensorERKS7_SA_T1_EUlS6_bE_EEvRNS_18TensorIteratorBaseERKT_EUlibE_EEviSB_,comdat
.Lfunc_end142:
	.size	_ZN2at6native32elementwise_kernel_manual_unrollILi128ELi4EZNS0_15gpu_kernel_implIZNS0_12_GLOBAL__N_119masked_scale_kernelIbN3c108BFloat16EfEEvRNS_6TensorERKS7_SA_T1_EUlS6_bE_EEvRNS_18TensorIteratorBaseERKT_EUlibE_EEviSB_, .Lfunc_end142-_ZN2at6native32elementwise_kernel_manual_unrollILi128ELi4EZNS0_15gpu_kernel_implIZNS0_12_GLOBAL__N_119masked_scale_kernelIbN3c108BFloat16EfEEvRNS_6TensorERKS7_SA_T1_EUlS6_bE_EEvRNS_18TensorIteratorBaseERKT_EUlibE_EEviSB_
                                        ; -- End function
	.section	.AMDGPU.csdata,"",@progbits
; Kernel info:
; codeLenInByte = 60796
; NumSgprs: 37
; NumVgprs: 14
; ScratchSize: 0
; MemoryBound: 1
; FloatMode: 240
; IeeeMode: 1
; LDSByteSize: 0 bytes/workgroup (compile time only)
; SGPRBlocks: 4
; VGPRBlocks: 1
; NumSGPRsForWavesPerEU: 37
; NumVGPRsForWavesPerEU: 14
; Occupancy: 16
; WaveLimiterHint : 0
; COMPUTE_PGM_RSRC2:SCRATCH_EN: 0
; COMPUTE_PGM_RSRC2:USER_SGPR: 15
; COMPUTE_PGM_RSRC2:TRAP_HANDLER: 0
; COMPUTE_PGM_RSRC2:TGID_X_EN: 1
; COMPUTE_PGM_RSRC2:TGID_Y_EN: 0
; COMPUTE_PGM_RSRC2:TGID_Z_EN: 0
; COMPUTE_PGM_RSRC2:TIDIG_COMP_CNT: 0
	.section	.text._ZN2at6native32elementwise_kernel_manual_unrollILi128ELi4EZNS0_15gpu_kernel_implIZNS0_12_GLOBAL__N_119masked_scale_kernelIbN3c108BFloat16EfEEvRNS_6TensorERKS7_SA_T1_EUlS6_bE_EEvRNS_18TensorIteratorBaseERKT_EUlibE0_EEviSB_,"axG",@progbits,_ZN2at6native32elementwise_kernel_manual_unrollILi128ELi4EZNS0_15gpu_kernel_implIZNS0_12_GLOBAL__N_119masked_scale_kernelIbN3c108BFloat16EfEEvRNS_6TensorERKS7_SA_T1_EUlS6_bE_EEvRNS_18TensorIteratorBaseERKT_EUlibE0_EEviSB_,comdat
	.globl	_ZN2at6native32elementwise_kernel_manual_unrollILi128ELi4EZNS0_15gpu_kernel_implIZNS0_12_GLOBAL__N_119masked_scale_kernelIbN3c108BFloat16EfEEvRNS_6TensorERKS7_SA_T1_EUlS6_bE_EEvRNS_18TensorIteratorBaseERKT_EUlibE0_EEviSB_ ; -- Begin function _ZN2at6native32elementwise_kernel_manual_unrollILi128ELi4EZNS0_15gpu_kernel_implIZNS0_12_GLOBAL__N_119masked_scale_kernelIbN3c108BFloat16EfEEvRNS_6TensorERKS7_SA_T1_EUlS6_bE_EEvRNS_18TensorIteratorBaseERKT_EUlibE0_EEviSB_
	.p2align	8
	.type	_ZN2at6native32elementwise_kernel_manual_unrollILi128ELi4EZNS0_15gpu_kernel_implIZNS0_12_GLOBAL__N_119masked_scale_kernelIbN3c108BFloat16EfEEvRNS_6TensorERKS7_SA_T1_EUlS6_bE_EEvRNS_18TensorIteratorBaseERKT_EUlibE0_EEviSB_,@function
_ZN2at6native32elementwise_kernel_manual_unrollILi128ELi4EZNS0_15gpu_kernel_implIZNS0_12_GLOBAL__N_119masked_scale_kernelIbN3c108BFloat16EfEEvRNS_6TensorERKS7_SA_T1_EUlS6_bE_EEvRNS_18TensorIteratorBaseERKT_EUlibE0_EEviSB_: ; @_ZN2at6native32elementwise_kernel_manual_unrollILi128ELi4EZNS0_15gpu_kernel_implIZNS0_12_GLOBAL__N_119masked_scale_kernelIbN3c108BFloat16EfEEvRNS_6TensorERKS7_SA_T1_EUlS6_bE_EEvRNS_18TensorIteratorBaseERKT_EUlibE0_EEviSB_
; %bb.0:
	s_clause 0x1
	s_load_b32 s26, s[0:1], 0x8
	s_load_b32 s36, s[0:1], 0x0
	v_lshl_or_b32 v4, s15, 9, v0
	s_or_b32 s20, s0, 8
	s_mov_b32 s3, -1
	s_mov_b32 s28, 0
	s_mov_b32 s21, s1
	v_or_b32_e32 v12, 0x180, v4
	s_mov_b32 s8, 0
	s_mov_b32 s2, exec_lo
	s_waitcnt lgkmcnt(0)
	s_add_i32 s27, s26, -1
	s_delay_alu instid0(SALU_CYCLE_1)
	s_cmp_gt_u32 s27, 1
	s_cselect_b32 s29, -1, 0
	v_cmpx_le_i32_e64 s36, v12
	s_xor_b32 s30, exec_lo, s2
	s_cbranch_execz .LBB143_1509
; %bb.1:
	s_clause 0x4
	s_load_b256 s[4:11], s[20:21], 0x188
	s_load_b128 s[16:19], s[20:21], 0x4
	s_load_b64 s[24:25], s[20:21], 0x14
	s_load_b128 s[12:15], s[20:21], 0xc4
	s_load_b64 s[22:23], s[20:21], 0xd4
	s_cmp_lg_u32 s26, 0
	s_mov_b32 s42, 0
	s_cselect_b32 s37, -1, 0
	s_min_u32 s35, s27, 15
	s_cmp_gt_u32 s26, 1
	s_mov_b32 s40, 0
	s_mov_b32 s39, 0
	s_cselect_b32 s34, -1, 0
	s_mov_b32 s38, 0
	s_mov_b32 s41, exec_lo
	s_waitcnt lgkmcnt(0)
	s_lshr_b32 s33, s11, 8
	s_lshr_b32 s31, s11, 16
	v_cmpx_gt_i32_e64 s36, v4
	s_cbranch_execz .LBB143_385
; %bb.2:
	s_and_not1_b32 vcc_lo, exec_lo, s29
	s_cbranch_vccnz .LBB143_8
; %bb.3:
	v_dual_mov_b32 v0, 0 :: v_dual_mov_b32 v1, 0
	v_mov_b32_e32 v2, 0
	s_and_not1_b32 vcc_lo, exec_lo, s37
	s_cbranch_vccnz .LBB143_9
; %bb.4:
	s_add_i32 s2, s35, 1
	v_dual_mov_b32 v1, 0 :: v_dual_mov_b32 v2, 0
	v_dual_mov_b32 v0, 0 :: v_dual_mov_b32 v3, v4
	s_and_b32 s39, s2, 30
	s_add_u32 s2, s20, 0xffffffec
	s_addc_u32 s3, s21, -1
	s_set_inst_prefetch_distance 0x1
	.p2align	6
.LBB143_5:                              ; =>This Inner Loop Header: Depth=1
	s_clause 0x2
	s_load_b128 s[44:47], s[2:3], 0x18
	s_load_b64 s[52:53], s[2:3], 0x28
	s_load_b128 s[48:51], s[2:3], 0xd8
	s_waitcnt lgkmcnt(0)
	v_mul_hi_u32 v5, s45, v3
	s_delay_alu instid0(VALU_DEP_1) | instskip(NEXT) | instid1(VALU_DEP_1)
	v_add_nc_u32_e32 v5, v3, v5
	v_lshrrev_b32_e32 v5, s46, v5
	s_delay_alu instid0(VALU_DEP_1)
	v_mul_hi_u32 v6, s52, v5
	v_mul_lo_u32 v7, v5, s44
	s_load_b64 s[44:45], s[2:3], 0xe8
	s_add_u32 s2, s2, 24
	s_addc_u32 s3, s3, 0
	s_add_i32 s39, s39, -2
	s_delay_alu instid0(SALU_CYCLE_1) | instskip(NEXT) | instid1(VALU_DEP_2)
	s_cmp_lg_u32 s39, 0
	v_add_nc_u32_e32 v6, v5, v6
	s_delay_alu instid0(VALU_DEP_2) | instskip(NEXT) | instid1(VALU_DEP_2)
	v_sub_nc_u32_e32 v7, v3, v7
	v_lshrrev_b32_e32 v3, s53, v6
	s_delay_alu instid0(VALU_DEP_2) | instskip(NEXT) | instid1(VALU_DEP_2)
	v_mul_lo_u32 v8, v7, s48
	v_mul_lo_u32 v6, v3, s47
	s_delay_alu instid0(VALU_DEP_1) | instskip(SKIP_2) | instid1(VALU_DEP_3)
	v_sub_nc_u32_e32 v5, v5, v6
	v_mul_lo_u32 v6, v7, s49
	v_mul_lo_u32 v7, v7, s50
	;; [unrolled: 1-line block ×3, first 2 shown]
	s_waitcnt lgkmcnt(0)
	v_mul_lo_u32 v10, v5, s44
	v_mul_lo_u32 v5, v5, s45
	s_delay_alu instid0(VALU_DEP_3) | instskip(NEXT) | instid1(VALU_DEP_3)
	v_add3_u32 v0, v8, v0, v9
	v_add3_u32 v2, v6, v2, v10
	s_delay_alu instid0(VALU_DEP_3)
	v_add3_u32 v1, v7, v1, v5
	s_cbranch_scc1 .LBB143_5
; %bb.6:
	s_set_inst_prefetch_distance 0x2
	s_bitcmp1_b32 s35, 0
	s_cselect_b32 s39, -1, 0
	s_delay_alu instid0(SALU_CYCLE_1)
	s_and_b32 vcc_lo, exec_lo, s39
	s_cbranch_vccnz .LBB143_9
; %bb.7:
	s_clause 0x3
	s_load_b64 s[44:45], s[2:3], 0x18
	s_load_b32 s39, s[2:3], 0x20
	s_load_b64 s[46:47], s[2:3], 0xd8
	s_load_b32 s2, s[2:3], 0xe0
	s_waitcnt lgkmcnt(0)
	v_mul_hi_u32 v5, s45, v3
	s_delay_alu instid0(VALU_DEP_1) | instskip(NEXT) | instid1(VALU_DEP_1)
	v_add_nc_u32_e32 v5, v3, v5
	v_lshrrev_b32_e32 v5, s39, v5
	s_delay_alu instid0(VALU_DEP_1) | instskip(NEXT) | instid1(VALU_DEP_1)
	v_mul_lo_u32 v5, v5, s44
	v_sub_nc_u32_e32 v3, v3, v5
	s_delay_alu instid0(VALU_DEP_1) | instskip(SKIP_2) | instid1(VALU_DEP_3)
	v_mad_u64_u32 v[5:6], null, v3, s46, v[0:1]
	v_mad_u64_u32 v[6:7], null, v3, s47, v[2:3]
	v_mad_u64_u32 v[7:8], null, v3, s2, v[1:2]
	v_mov_b32_e32 v0, v5
	s_delay_alu instid0(VALU_DEP_2)
	v_dual_mov_b32 v2, v6 :: v_dual_mov_b32 v1, v7
	s_branch .LBB143_9
.LBB143_8:
	s_mov_b32 s38, -1
                                        ; implicit-def: $vgpr0
                                        ; implicit-def: $vgpr2
                                        ; implicit-def: $vgpr1
.LBB143_9:
	s_delay_alu instid0(SALU_CYCLE_1)
	s_and_not1_b32 vcc_lo, exec_lo, s38
	s_cbranch_vccnz .LBB143_12
; %bb.10:
	v_mul_hi_u32 v0, s17, v4
	s_and_not1_b32 vcc_lo, exec_lo, s34
	s_delay_alu instid0(VALU_DEP_1) | instskip(NEXT) | instid1(VALU_DEP_1)
	v_add_nc_u32_e32 v0, v4, v0
	v_lshrrev_b32_e32 v3, s18, v0
	s_delay_alu instid0(VALU_DEP_1) | instskip(NEXT) | instid1(VALU_DEP_1)
	v_mul_lo_u32 v0, v3, s16
	v_sub_nc_u32_e32 v1, v4, v0
	s_delay_alu instid0(VALU_DEP_1)
	v_mul_lo_u32 v0, v1, s12
	v_mul_lo_u32 v2, v1, s13
	;; [unrolled: 1-line block ×3, first 2 shown]
	s_cbranch_vccnz .LBB143_12
; %bb.11:
	v_mul_hi_u32 v5, s24, v3
	s_delay_alu instid0(VALU_DEP_1) | instskip(NEXT) | instid1(VALU_DEP_1)
	v_add_nc_u32_e32 v5, v3, v5
	v_lshrrev_b32_e32 v5, s25, v5
	s_delay_alu instid0(VALU_DEP_1) | instskip(NEXT) | instid1(VALU_DEP_1)
	v_mul_lo_u32 v5, v5, s19
	v_sub_nc_u32_e32 v3, v3, v5
	s_delay_alu instid0(VALU_DEP_1) | instskip(SKIP_2) | instid1(VALU_DEP_3)
	v_mad_u64_u32 v[5:6], null, v3, s15, v[0:1]
	v_mad_u64_u32 v[6:7], null, v3, s22, v[2:3]
	;; [unrolled: 1-line block ×3, first 2 shown]
	v_mov_b32_e32 v0, v5
	s_delay_alu instid0(VALU_DEP_2)
	v_dual_mov_b32 v2, v6 :: v_dual_mov_b32 v1, v7
.LBB143_12:
	v_and_b32_e64 v6, 0xff, s33
	s_delay_alu instid0(VALU_DEP_2) | instskip(NEXT) | instid1(VALU_DEP_1)
	v_add_co_u32 v2, s2, s6, v2
	v_add_co_ci_u32_e64 v3, null, s7, 0, s2
	s_delay_alu instid0(VALU_DEP_3)
	v_cmp_gt_i16_e32 vcc_lo, 11, v6
	s_mov_b32 s3, 0
	s_cbranch_vccnz .LBB143_19
; %bb.13:
	v_cmp_lt_i16_e32 vcc_lo, 25, v6
	s_cbranch_vccz .LBB143_28
; %bb.14:
	v_cmp_lt_i16_e32 vcc_lo, 28, v6
	s_cbranch_vccz .LBB143_148
	;; [unrolled: 3-line block ×4, first 2 shown]
; %bb.17:
	v_cmp_eq_u16_e32 vcc_lo, 46, v6
	s_mov_b32 s38, 0
	s_cbranch_vccz .LBB143_154
; %bb.18:
	global_load_b32 v5, v[2:3], off
	s_mov_b32 s2, -1
	s_branch .LBB143_156
.LBB143_19:
	s_mov_b32 s2, 0
                                        ; implicit-def: $vgpr5
	s_cbranch_execnz .LBB143_221
.LBB143_20:
	s_and_not1_b32 vcc_lo, exec_lo, s2
	s_cbranch_vccnz .LBB143_268
.LBB143_21:
	v_and_b32_e64 v3, 0xff, s31
	v_add_co_u32 v1, s2, s8, v1
	s_delay_alu instid0(VALU_DEP_1) | instskip(NEXT) | instid1(VALU_DEP_3)
	v_add_co_ci_u32_e64 v2, null, s9, 0, s2
	v_cmp_gt_i16_e32 vcc_lo, 11, v3
	s_mov_b32 s39, 0
	s_cbranch_vccnz .LBB143_29
; %bb.22:
	v_cmp_lt_i16_e32 vcc_lo, 25, v3
	s_cbranch_vccz .LBB143_149
; %bb.23:
	v_cmp_lt_i16_e32 vcc_lo, 28, v3
	s_cbranch_vccz .LBB143_151
; %bb.24:
	v_cmp_lt_i16_e32 vcc_lo, 43, v3
	s_cbranch_vccz .LBB143_153
; %bb.25:
	v_cmp_lt_i16_e32 vcc_lo, 45, v3
	s_cbranch_vccz .LBB143_159
; %bb.26:
	v_cmp_eq_u16_e32 vcc_lo, 46, v3
	s_mov_b32 s40, 0
	s_cbranch_vccz .LBB143_269
; %bb.27:
	global_load_b32 v6, v[1:2], off
	s_mov_b32 s2, -1
	s_waitcnt vmcnt(0)
	v_and_b32_e32 v6, 0x7fff7fff, v6
	s_delay_alu instid0(VALU_DEP_1)
	v_cmp_ne_u32_e32 vcc_lo, 0, v6
	s_and_b32 s38, vcc_lo, exec_lo
	s_branch .LBB143_271
.LBB143_28:
	s_mov_b32 s2, 0
                                        ; implicit-def: $vgpr5
	s_cbranch_execnz .LBB143_186
	s_branch .LBB143_220
.LBB143_29:
	s_mov_b32 s2, 0
                                        ; implicit-def: $sgpr38
	s_cbranch_execnz .LBB143_334
.LBB143_30:
	s_and_not1_b32 vcc_lo, exec_lo, s2
	s_cbranch_vccnz .LBB143_382
.LBB143_31:
	v_cndmask_b32_e64 v1, 0, 1.0, s38
	s_waitcnt vmcnt(0)
	v_lshlrev_b32_e32 v2, 16, v5
	v_and_b32_e64 v3, 0xff, s11
	v_add_co_u32 v0, s2, s4, v0
	s_mov_b32 s38, 0
	s_delay_alu instid0(VALU_DEP_3) | instskip(NEXT) | instid1(VALU_DEP_3)
	v_mul_f32_e32 v1, v2, v1
	v_cmp_gt_i16_e32 vcc_lo, 11, v3
	s_mov_b32 s39, -1
	s_delay_alu instid0(VALU_DEP_2) | instskip(SKIP_1) | instid1(VALU_DEP_1)
	v_mul_f32_e32 v2, s10, v1
	s_and_b32 vcc_lo, exec_lo, vcc_lo
	v_bfe_u32 v1, v2, 16, 1
	s_delay_alu instid0(VALU_DEP_1) | instskip(NEXT) | instid1(VALU_DEP_1)
	v_add3_u32 v1, v2, v1, 0x7fff
	v_lshrrev_b32_e32 v5, 16, v1
	v_add_co_ci_u32_e64 v1, null, s5, 0, s2
	v_cmp_o_f32_e64 s2, v2, v2
	s_delay_alu instid0(VALU_DEP_1)
	v_cndmask_b32_e64 v2, 0x7fc0, v5, s2
	s_mov_b32 s2, 0
	s_cbranch_vccnz .LBB143_108
; %bb.32:
	v_cmp_lt_i16_e32 vcc_lo, 25, v3
	s_cbranch_vccz .LBB143_65
; %bb.33:
	v_cmp_lt_i16_e32 vcc_lo, 28, v3
	s_cbranch_vccz .LBB143_48
	;; [unrolled: 3-line block ×4, first 2 shown]
; %bb.36:
	v_cmp_eq_u16_e32 vcc_lo, 46, v3
	s_mov_b32 s39, 0
	s_mov_b32 s38, -1
	s_cbranch_vccz .LBB143_38
; %bb.37:
	v_and_b32_e32 v5, 0xffff, v2
	s_mov_b32 s2, -1
	s_mov_b32 s38, 0
	global_store_b32 v[0:1], v5, off
.LBB143_38:
	s_and_b32 vcc_lo, exec_lo, s39
	s_cbranch_vccz .LBB143_43
; %bb.39:
	v_cmp_eq_u16_e32 vcc_lo, 44, v3
	s_mov_b32 s38, -1
	s_cbranch_vccz .LBB143_43
; %bb.40:
	v_and_b32_e32 v5, 0xffff, v2
	v_mov_b32_e32 v6, 0xff
	s_mov_b32 s38, exec_lo
	s_delay_alu instid0(VALU_DEP_2) | instskip(NEXT) | instid1(VALU_DEP_1)
	v_bfe_u32 v7, v5, 7, 8
	v_cmpx_ne_u32_e32 0xff, v7
; %bb.41:
	v_lshlrev_b32_e32 v6, 16, v5
	v_and_b32_e32 v8, 64, v5
	v_lshrrev_b32_e32 v5, 7, v5
	s_delay_alu instid0(VALU_DEP_3) | instskip(NEXT) | instid1(VALU_DEP_3)
	v_and_or_b32 v6, 0x3f0000, v6, v7
	v_cmp_ne_u32_e32 vcc_lo, 0, v8
	s_delay_alu instid0(VALU_DEP_2) | instskip(NEXT) | instid1(VALU_DEP_1)
	v_cmp_ne_u32_e64 s2, 0, v6
	s_and_b32 s2, vcc_lo, s2
	s_delay_alu instid0(SALU_CYCLE_1) | instskip(NEXT) | instid1(VALU_DEP_1)
	v_cndmask_b32_e64 v6, 0, 1, s2
	v_add_nc_u32_e32 v6, v5, v6
; %bb.42:
	s_or_b32 exec_lo, exec_lo, s38
	s_mov_b32 s2, -1
	s_mov_b32 s38, 0
	global_store_b8 v[0:1], v6, off
.LBB143_43:
	s_mov_b32 s39, 0
.LBB143_44:
	s_delay_alu instid0(SALU_CYCLE_1)
	s_and_b32 vcc_lo, exec_lo, s39
	s_cbranch_vccz .LBB143_47
; %bb.45:
	v_cmp_eq_u16_e32 vcc_lo, 29, v3
	s_mov_b32 s38, -1
	s_cbranch_vccz .LBB143_47
; %bb.46:
	v_lshlrev_b32_e32 v5, 16, v2
	s_mov_b32 s2, -1
	s_mov_b32 s38, 0
	s_delay_alu instid0(VALU_DEP_1) | instskip(NEXT) | instid1(VALU_DEP_1)
	v_trunc_f32_e32 v5, v5
	v_mul_f32_e32 v6, 0x2f800000, v5
	s_delay_alu instid0(VALU_DEP_1) | instskip(NEXT) | instid1(VALU_DEP_1)
	v_floor_f32_e32 v6, v6
	v_fmamk_f32 v5, v6, 0xcf800000, v5
	v_cvt_u32_f32_e32 v6, v6
	s_delay_alu instid0(VALU_DEP_2)
	v_cvt_u32_f32_e32 v5, v5
	global_store_b64 v[0:1], v[5:6], off
.LBB143_47:
	s_mov_b32 s39, 0
.LBB143_48:
	s_delay_alu instid0(SALU_CYCLE_1)
	s_and_b32 vcc_lo, exec_lo, s39
	s_cbranch_vccz .LBB143_64
; %bb.49:
	v_cmp_gt_i16_e32 vcc_lo, 27, v3
	s_mov_b32 s2, -1
	s_cbranch_vccnz .LBB143_55
; %bb.50:
	v_cmp_lt_i16_e32 vcc_lo, 27, v3
	s_cbranch_vccz .LBB143_52
; %bb.51:
	v_lshlrev_b32_e32 v5, 16, v2
	s_mov_b32 s2, 0
	s_delay_alu instid0(VALU_DEP_1)
	v_cvt_u32_f32_e32 v5, v5
	global_store_b32 v[0:1], v5, off
.LBB143_52:
	s_and_not1_b32 vcc_lo, exec_lo, s2
	s_cbranch_vccnz .LBB143_54
; %bb.53:
	v_lshlrev_b32_e32 v5, 16, v2
	s_delay_alu instid0(VALU_DEP_1)
	v_cvt_u32_f32_e32 v5, v5
	global_store_b16 v[0:1], v5, off
.LBB143_54:
	s_mov_b32 s2, 0
.LBB143_55:
	s_delay_alu instid0(SALU_CYCLE_1)
	s_and_not1_b32 vcc_lo, exec_lo, s2
	s_cbranch_vccnz .LBB143_63
; %bb.56:
	v_dual_mov_b32 v8, 0x80 :: v_dual_lshlrev_b32 v7, 16, v2
	s_mov_b32 s2, exec_lo
	s_delay_alu instid0(VALU_DEP_1) | instskip(NEXT) | instid1(VALU_DEP_1)
	v_and_b32_e32 v6, 0x7fffffff, v7
	v_cmpx_gt_u32_e32 0x43800000, v6
	s_cbranch_execz .LBB143_62
; %bb.57:
	v_and_b32_e32 v5, 0xffff, v2
	v_cmp_lt_u32_e32 vcc_lo, 0x3bffffff, v6
	s_mov_b32 s39, 0
                                        ; implicit-def: $vgpr6
	s_and_saveexec_b32 s40, vcc_lo
	s_delay_alu instid0(SALU_CYCLE_1)
	s_xor_b32 s40, exec_lo, s40
	s_cbranch_execz .LBB143_421
; %bb.58:
	v_bfe_u32 v6, v5, 4, 1
	s_mov_b32 s39, exec_lo
	s_delay_alu instid0(VALU_DEP_1) | instskip(NEXT) | instid1(VALU_DEP_1)
	v_add3_u32 v6, v7, v6, 0x487ffff
                                        ; implicit-def: $vgpr7
	v_lshrrev_b32_e32 v6, 20, v6
	s_or_saveexec_b32 s40, s40
                                        ; implicit-def: $sgpr43
	s_delay_alu instid0(SALU_CYCLE_1)
	s_xor_b32 exec_lo, exec_lo, s40
	s_cbranch_execnz .LBB143_422
.LBB143_59:
	s_or_b32 exec_lo, exec_lo, s40
	v_mov_b32_e32 v8, s43
	s_and_saveexec_b32 s40, s39
.LBB143_60:
	v_lshrrev_b32_e32 v5, 8, v5
	s_delay_alu instid0(VALU_DEP_1)
	v_and_or_b32 v8, 0x80, v5, v6
.LBB143_61:
	s_or_b32 exec_lo, exec_lo, s40
.LBB143_62:
	s_delay_alu instid0(SALU_CYCLE_1)
	s_or_b32 exec_lo, exec_lo, s2
	global_store_b8 v[0:1], v8, off
.LBB143_63:
	s_mov_b32 s2, -1
.LBB143_64:
	s_mov_b32 s39, 0
.LBB143_65:
	s_delay_alu instid0(SALU_CYCLE_1)
	s_and_b32 vcc_lo, exec_lo, s39
	s_cbranch_vccz .LBB143_106
; %bb.66:
	v_cmp_lt_i16_e32 vcc_lo, 22, v3
	s_mov_b32 s39, -1
	s_cbranch_vccz .LBB143_98
; %bb.67:
	v_cmp_gt_i16_e32 vcc_lo, 24, v3
	s_mov_b32 s2, -1
	s_cbranch_vccnz .LBB143_87
; %bb.68:
	v_cmp_lt_i16_e32 vcc_lo, 24, v3
	s_cbranch_vccz .LBB143_76
; %bb.69:
	v_dual_mov_b32 v8, 0x80 :: v_dual_lshlrev_b32 v7, 16, v2
	s_mov_b32 s2, exec_lo
	s_delay_alu instid0(VALU_DEP_1) | instskip(NEXT) | instid1(VALU_DEP_1)
	v_and_b32_e32 v6, 0x7fffffff, v7
	v_cmpx_gt_u32_e32 0x47800000, v6
	s_cbranch_execz .LBB143_75
; %bb.70:
	v_and_b32_e32 v5, 0xffff, v2
	v_cmp_lt_u32_e32 vcc_lo, 0x37ffffff, v6
	s_mov_b32 s39, 0
                                        ; implicit-def: $vgpr6
	s_and_saveexec_b32 s40, vcc_lo
	s_delay_alu instid0(SALU_CYCLE_1)
	s_xor_b32 s40, exec_lo, s40
	s_cbranch_execz .LBB143_540
; %bb.71:
	v_bfe_u32 v6, v5, 5, 1
	s_mov_b32 s39, exec_lo
	s_delay_alu instid0(VALU_DEP_1) | instskip(NEXT) | instid1(VALU_DEP_1)
	v_add3_u32 v6, v7, v6, 0x88fffff
                                        ; implicit-def: $vgpr7
	v_lshrrev_b32_e32 v6, 21, v6
	s_or_saveexec_b32 s40, s40
                                        ; implicit-def: $sgpr43
	s_delay_alu instid0(SALU_CYCLE_1)
	s_xor_b32 exec_lo, exec_lo, s40
	s_cbranch_execnz .LBB143_541
.LBB143_72:
	s_or_b32 exec_lo, exec_lo, s40
	v_mov_b32_e32 v8, s43
	s_and_saveexec_b32 s40, s39
.LBB143_73:
	v_lshrrev_b32_e32 v5, 8, v5
	s_delay_alu instid0(VALU_DEP_1)
	v_and_or_b32 v8, 0x80, v5, v6
.LBB143_74:
	s_or_b32 exec_lo, exec_lo, s40
.LBB143_75:
	s_delay_alu instid0(SALU_CYCLE_1)
	s_or_b32 exec_lo, exec_lo, s2
	s_mov_b32 s2, 0
	global_store_b8 v[0:1], v8, off
.LBB143_76:
	s_and_b32 vcc_lo, exec_lo, s2
	s_cbranch_vccz .LBB143_86
; %bb.77:
	v_lshlrev_b32_e32 v7, 16, v2
	v_and_b32_e32 v5, 0xffff, v2
	s_mov_b32 s2, exec_lo
                                        ; implicit-def: $vgpr6
	s_delay_alu instid0(VALU_DEP_2) | instskip(NEXT) | instid1(VALU_DEP_1)
	v_and_b32_e32 v8, 0x7fffffff, v7
	v_cmpx_gt_u32_e32 0x43f00000, v8
	s_xor_b32 s2, exec_lo, s2
	s_cbranch_execz .LBB143_83
; %bb.78:
	s_mov_b32 s39, exec_lo
                                        ; implicit-def: $vgpr6
	v_cmpx_lt_u32_e32 0x3c7fffff, v8
	s_xor_b32 s39, exec_lo, s39
; %bb.79:
	v_bfe_u32 v6, v5, 4, 1
	s_delay_alu instid0(VALU_DEP_1) | instskip(NEXT) | instid1(VALU_DEP_1)
	v_add3_u32 v6, v7, v6, 0x407ffff
	v_and_b32_e32 v7, 0xff00000, v6
	v_lshrrev_b32_e32 v6, 20, v6
	s_delay_alu instid0(VALU_DEP_2) | instskip(NEXT) | instid1(VALU_DEP_2)
	v_cmp_ne_u32_e32 vcc_lo, 0x7f00000, v7
                                        ; implicit-def: $vgpr7
	v_cndmask_b32_e32 v6, 0x7e, v6, vcc_lo
; %bb.80:
	s_and_not1_saveexec_b32 s39, s39
; %bb.81:
	v_add_f32_e64 v6, 0x46800000, |v7|
; %bb.82:
	s_or_b32 exec_lo, exec_lo, s39
                                        ; implicit-def: $vgpr8
.LBB143_83:
	s_and_not1_saveexec_b32 s2, s2
; %bb.84:
	v_mov_b32_e32 v6, 0x7f
	v_cmp_lt_u32_e32 vcc_lo, 0x7f800000, v8
	s_delay_alu instid0(VALU_DEP_2)
	v_cndmask_b32_e32 v6, 0x7e, v6, vcc_lo
; %bb.85:
	s_or_b32 exec_lo, exec_lo, s2
	v_lshrrev_b32_e32 v5, 8, v5
	s_delay_alu instid0(VALU_DEP_1)
	v_and_or_b32 v5, 0x80, v5, v6
	global_store_b8 v[0:1], v5, off
.LBB143_86:
	s_mov_b32 s2, 0
.LBB143_87:
	s_delay_alu instid0(SALU_CYCLE_1)
	s_and_not1_b32 vcc_lo, exec_lo, s2
	s_cbranch_vccnz .LBB143_97
; %bb.88:
	v_lshlrev_b32_e32 v7, 16, v2
	v_and_b32_e32 v5, 0xffff, v2
	s_mov_b32 s2, exec_lo
                                        ; implicit-def: $vgpr6
	s_delay_alu instid0(VALU_DEP_2) | instskip(NEXT) | instid1(VALU_DEP_1)
	v_and_b32_e32 v8, 0x7fffffff, v7
	v_cmpx_gt_u32_e32 0x47800000, v8
	s_xor_b32 s2, exec_lo, s2
	s_cbranch_execz .LBB143_94
; %bb.89:
	s_mov_b32 s39, exec_lo
                                        ; implicit-def: $vgpr6
	v_cmpx_lt_u32_e32 0x387fffff, v8
	s_xor_b32 s39, exec_lo, s39
; %bb.90:
	v_bfe_u32 v6, v5, 5, 1
	s_delay_alu instid0(VALU_DEP_1) | instskip(NEXT) | instid1(VALU_DEP_1)
	v_add3_u32 v6, v7, v6, 0x80fffff
                                        ; implicit-def: $vgpr7
	v_lshrrev_b32_e32 v6, 21, v6
; %bb.91:
	s_and_not1_saveexec_b32 s39, s39
; %bb.92:
	v_add_f32_e64 v6, 0x43000000, |v7|
; %bb.93:
	s_or_b32 exec_lo, exec_lo, s39
                                        ; implicit-def: $vgpr8
.LBB143_94:
	s_and_not1_saveexec_b32 s2, s2
; %bb.95:
	v_mov_b32_e32 v6, 0x7f
	v_cmp_lt_u32_e32 vcc_lo, 0x7f800000, v8
	s_delay_alu instid0(VALU_DEP_2)
	v_cndmask_b32_e32 v6, 0x7c, v6, vcc_lo
; %bb.96:
	s_or_b32 exec_lo, exec_lo, s2
	v_lshrrev_b32_e32 v5, 8, v5
	s_delay_alu instid0(VALU_DEP_1)
	v_and_or_b32 v5, 0x80, v5, v6
	global_store_b8 v[0:1], v5, off
.LBB143_97:
	s_mov_b32 s39, 0
	s_mov_b32 s2, -1
.LBB143_98:
	s_and_not1_b32 vcc_lo, exec_lo, s39
	s_cbranch_vccnz .LBB143_106
; %bb.99:
	v_cmp_lt_i16_e32 vcc_lo, 14, v3
	s_mov_b32 s39, -1
	s_cbranch_vccz .LBB143_103
; %bb.100:
	v_cmp_eq_u16_e32 vcc_lo, 15, v3
	s_mov_b32 s38, -1
	s_cbranch_vccz .LBB143_102
; %bb.101:
	s_mov_b32 s2, -1
	s_mov_b32 s38, 0
	global_store_b16 v[0:1], v2, off
.LBB143_102:
	s_mov_b32 s39, 0
.LBB143_103:
	s_delay_alu instid0(SALU_CYCLE_1)
	s_and_b32 vcc_lo, exec_lo, s39
	s_cbranch_vccz .LBB143_106
; %bb.104:
	v_cmp_eq_u16_e32 vcc_lo, 11, v3
	s_mov_b32 s38, -1
	s_cbranch_vccz .LBB143_106
; %bb.105:
	v_and_b32_e32 v5, 0x7fff, v2
	s_mov_b32 s38, 0
	s_mov_b32 s2, -1
	s_delay_alu instid0(VALU_DEP_1)
	v_cmp_ne_u16_e32 vcc_lo, 0, v5
	v_cndmask_b32_e64 v5, 0, 1, vcc_lo
	global_store_b8 v[0:1], v5, off
.LBB143_106:
.LBB143_107:
	s_and_not1_b32 vcc_lo, exec_lo, s2
	s_mov_b32 s39, 0
	s_cbranch_vccz .LBB143_147
	s_branch .LBB143_383
.LBB143_108:
	s_and_b32 vcc_lo, exec_lo, s39
	s_cbranch_vccz .LBB143_107
; %bb.109:
	v_cmp_gt_i16_e32 vcc_lo, 5, v3
	s_mov_b32 s2, -1
	s_cbranch_vccnz .LBB143_130
; %bb.110:
	v_cmp_gt_i16_e32 vcc_lo, 8, v3
	s_cbranch_vccnz .LBB143_120
; %bb.111:
	v_cmp_gt_i16_e32 vcc_lo, 9, v3
	s_cbranch_vccnz .LBB143_117
; %bb.112:
	v_cmp_lt_i16_e32 vcc_lo, 9, v3
	s_cbranch_vccz .LBB143_114
; %bb.113:
	v_mov_b32_e32 v7, 0
	v_lshlrev_b32_e32 v5, 16, v2
	s_mov_b32 s2, 0
	s_delay_alu instid0(VALU_DEP_2) | instskip(NEXT) | instid1(VALU_DEP_2)
	v_mov_b32_e32 v8, v7
	v_cvt_f64_f32_e32 v[5:6], v5
	global_store_b128 v[0:1], v[5:8], off
.LBB143_114:
	s_and_not1_b32 vcc_lo, exec_lo, s2
	s_cbranch_vccnz .LBB143_116
; %bb.115:
	v_dual_mov_b32 v6, 0 :: v_dual_lshlrev_b32 v5, 16, v2
	global_store_b64 v[0:1], v[5:6], off
.LBB143_116:
	s_mov_b32 s2, 0
.LBB143_117:
	s_delay_alu instid0(SALU_CYCLE_1)
	s_and_not1_b32 vcc_lo, exec_lo, s2
	s_cbranch_vccnz .LBB143_119
; %bb.118:
	v_lshlrev_b32_e32 v5, 16, v2
	s_delay_alu instid0(VALU_DEP_1) | instskip(NEXT) | instid1(VALU_DEP_1)
	v_cvt_f16_f32_e32 v5, v5
	v_and_b32_e32 v5, 0xffff, v5
	global_store_b32 v[0:1], v5, off
.LBB143_119:
	s_mov_b32 s2, 0
.LBB143_120:
	s_delay_alu instid0(SALU_CYCLE_1)
	s_and_not1_b32 vcc_lo, exec_lo, s2
	s_cbranch_vccnz .LBB143_129
; %bb.121:
	v_cmp_gt_i16_e32 vcc_lo, 6, v3
	s_mov_b32 s2, -1
	s_cbranch_vccnz .LBB143_127
; %bb.122:
	v_cmp_lt_i16_e32 vcc_lo, 6, v3
	s_cbranch_vccz .LBB143_124
; %bb.123:
	v_lshlrev_b32_e32 v5, 16, v2
	s_mov_b32 s2, 0
	s_delay_alu instid0(VALU_DEP_1)
	v_cvt_f64_f32_e32 v[5:6], v5
	global_store_b64 v[0:1], v[5:6], off
.LBB143_124:
	s_and_not1_b32 vcc_lo, exec_lo, s2
	s_cbranch_vccnz .LBB143_126
; %bb.125:
	v_lshlrev_b32_e32 v5, 16, v2
	global_store_b32 v[0:1], v5, off
.LBB143_126:
	s_mov_b32 s2, 0
.LBB143_127:
	s_delay_alu instid0(SALU_CYCLE_1)
	s_and_not1_b32 vcc_lo, exec_lo, s2
	s_cbranch_vccnz .LBB143_129
; %bb.128:
	v_lshlrev_b32_e32 v5, 16, v2
	s_delay_alu instid0(VALU_DEP_1)
	v_cvt_f16_f32_e32 v5, v5
	global_store_b16 v[0:1], v5, off
.LBB143_129:
	s_mov_b32 s2, 0
.LBB143_130:
	s_delay_alu instid0(SALU_CYCLE_1)
	s_and_not1_b32 vcc_lo, exec_lo, s2
	s_cbranch_vccnz .LBB143_146
; %bb.131:
	v_cmp_gt_i16_e32 vcc_lo, 2, v3
	s_mov_b32 s2, -1
	s_cbranch_vccnz .LBB143_141
; %bb.132:
	v_cmp_gt_i16_e32 vcc_lo, 3, v3
	s_cbranch_vccnz .LBB143_138
; %bb.133:
	v_cmp_lt_i16_e32 vcc_lo, 3, v3
	s_cbranch_vccz .LBB143_135
; %bb.134:
	v_lshlrev_b32_e32 v5, 16, v2
	s_mov_b32 s2, 0
	s_delay_alu instid0(VALU_DEP_1) | instskip(NEXT) | instid1(VALU_DEP_1)
	v_trunc_f32_e32 v5, v5
	v_mul_f32_e64 v6, 0x2f800000, |v5|
	v_ashrrev_i32_e32 v8, 31, v5
	s_delay_alu instid0(VALU_DEP_2) | instskip(NEXT) | instid1(VALU_DEP_1)
	v_floor_f32_e32 v6, v6
	v_fma_f32 v7, 0xcf800000, v6, |v5|
	v_cvt_u32_f32_e32 v6, v6
	s_delay_alu instid0(VALU_DEP_2) | instskip(NEXT) | instid1(VALU_DEP_2)
	v_cvt_u32_f32_e32 v5, v7
	v_xor_b32_e32 v6, v6, v8
	s_delay_alu instid0(VALU_DEP_2) | instskip(NEXT) | instid1(VALU_DEP_1)
	v_xor_b32_e32 v5, v5, v8
	v_sub_co_u32 v5, vcc_lo, v5, v8
	s_delay_alu instid0(VALU_DEP_3)
	v_sub_co_ci_u32_e32 v6, vcc_lo, v6, v8, vcc_lo
	global_store_b64 v[0:1], v[5:6], off
.LBB143_135:
	s_and_not1_b32 vcc_lo, exec_lo, s2
	s_cbranch_vccnz .LBB143_137
; %bb.136:
	v_lshlrev_b32_e32 v5, 16, v2
	s_delay_alu instid0(VALU_DEP_1)
	v_cvt_i32_f32_e32 v5, v5
	global_store_b32 v[0:1], v5, off
.LBB143_137:
	s_mov_b32 s2, 0
.LBB143_138:
	s_delay_alu instid0(SALU_CYCLE_1)
	s_and_not1_b32 vcc_lo, exec_lo, s2
	s_cbranch_vccnz .LBB143_140
; %bb.139:
	v_lshlrev_b32_e32 v5, 16, v2
	s_delay_alu instid0(VALU_DEP_1)
	v_cvt_i32_f32_e32 v5, v5
	global_store_b16 v[0:1], v5, off
.LBB143_140:
	s_mov_b32 s2, 0
.LBB143_141:
	s_delay_alu instid0(SALU_CYCLE_1)
	s_and_not1_b32 vcc_lo, exec_lo, s2
	s_cbranch_vccnz .LBB143_146
; %bb.142:
	v_cmp_lt_i16_e32 vcc_lo, 0, v3
	s_mov_b32 s2, -1
	s_cbranch_vccz .LBB143_144
; %bb.143:
	v_lshlrev_b32_e32 v3, 16, v2
	s_mov_b32 s2, 0
	s_delay_alu instid0(VALU_DEP_1)
	v_cvt_i32_f32_e32 v3, v3
	global_store_b8 v[0:1], v3, off
.LBB143_144:
	s_and_not1_b32 vcc_lo, exec_lo, s2
	s_cbranch_vccnz .LBB143_146
; %bb.145:
	v_lshlrev_b32_e32 v2, 16, v2
	s_delay_alu instid0(VALU_DEP_1) | instskip(NEXT) | instid1(VALU_DEP_1)
	v_trunc_f32_e32 v2, v2
	v_mul_f32_e64 v3, 0x2f800000, |v2|
	s_delay_alu instid0(VALU_DEP_1) | instskip(NEXT) | instid1(VALU_DEP_1)
	v_floor_f32_e32 v3, v3
	v_fma_f32 v3, 0xcf800000, v3, |v2|
	v_ashrrev_i32_e32 v2, 31, v2
	s_delay_alu instid0(VALU_DEP_2) | instskip(NEXT) | instid1(VALU_DEP_1)
	v_cvt_u32_f32_e32 v3, v3
	v_xor_b32_e32 v3, v3, v2
	s_delay_alu instid0(VALU_DEP_1)
	v_sub_nc_u32_e32 v2, v3, v2
	global_store_b8 v[0:1], v2, off
.LBB143_146:
	s_mov_b32 s39, 0
.LBB143_147:
	v_add_nc_u32_e32 v4, 0x80, v4
	s_mov_b32 s2, -1
	s_branch .LBB143_384
.LBB143_148:
	s_mov_b32 s38, -1
	s_mov_b32 s2, 0
                                        ; implicit-def: $vgpr5
	s_branch .LBB143_167
.LBB143_149:
	s_mov_b32 s40, -1
	s_mov_b32 s2, 0
                                        ; implicit-def: $sgpr38
	s_branch .LBB143_298
.LBB143_150:
	s_mov_b32 s38, -1
	s_mov_b32 s2, 0
                                        ; implicit-def: $vgpr5
	s_branch .LBB143_162
.LBB143_151:
	s_mov_b32 s40, -1
	s_mov_b32 s2, 0
                                        ; implicit-def: $sgpr38
	s_branch .LBB143_279
.LBB143_152:
	s_mov_b32 s38, -1
	s_branch .LBB143_155
.LBB143_153:
	s_mov_b32 s40, -1
	s_mov_b32 s2, 0
                                        ; implicit-def: $sgpr38
	s_branch .LBB143_274
.LBB143_154:
	s_mov_b32 s3, -1
.LBB143_155:
	s_mov_b32 s2, 0
                                        ; implicit-def: $vgpr5
.LBB143_156:
	s_and_b32 vcc_lo, exec_lo, s38
	s_cbranch_vccz .LBB143_161
; %bb.157:
	v_cmp_eq_u16_e32 vcc_lo, 44, v6
	s_cbranch_vccz .LBB143_160
; %bb.158:
	global_load_u8 v5, v[2:3], off
	s_mov_b32 s3, 0
	s_mov_b32 s2, -1
	s_waitcnt vmcnt(0)
	v_lshlrev_b32_e32 v7, 23, v5
	v_cmp_ne_u32_e32 vcc_lo, 0xff, v5
	s_delay_alu instid0(VALU_DEP_2) | instskip(SKIP_1) | instid1(VALU_DEP_2)
	v_cndmask_b32_e32 v7, 0x7f800001, v7, vcc_lo
	v_cmp_ne_u32_e32 vcc_lo, 0, v5
	v_cndmask_b32_e32 v5, 0x400000, v7, vcc_lo
	s_delay_alu instid0(VALU_DEP_1) | instskip(SKIP_1) | instid1(VALU_DEP_2)
	v_add_nc_u32_e32 v7, 0x7fff, v5
	v_cmp_o_f32_e32 vcc_lo, v5, v5
	v_lshrrev_b32_e32 v7, 16, v7
	s_delay_alu instid0(VALU_DEP_1)
	v_cndmask_b32_e32 v5, 0x7fc0, v7, vcc_lo
	s_branch .LBB143_161
.LBB143_159:
	s_mov_b32 s40, -1
	s_branch .LBB143_270
.LBB143_160:
	s_mov_b32 s3, -1
                                        ; implicit-def: $vgpr5
.LBB143_161:
	s_mov_b32 s38, 0
.LBB143_162:
	s_delay_alu instid0(SALU_CYCLE_1)
	s_and_b32 vcc_lo, exec_lo, s38
	s_cbranch_vccz .LBB143_166
; %bb.163:
	v_cmp_eq_u16_e32 vcc_lo, 29, v6
	s_cbranch_vccz .LBB143_165
; %bb.164:
	global_load_b64 v[7:8], v[2:3], off
	s_mov_b32 s2, -1
	s_mov_b32 s3, 0
	s_mov_b32 s38, 0
	s_waitcnt vmcnt(0)
	v_clz_i32_u32_e32 v5, v8
	s_delay_alu instid0(VALU_DEP_1) | instskip(NEXT) | instid1(VALU_DEP_1)
	v_min_u32_e32 v5, 32, v5
	v_lshlrev_b64 v[7:8], v5, v[7:8]
	v_sub_nc_u32_e32 v5, 32, v5
	s_delay_alu instid0(VALU_DEP_2) | instskip(NEXT) | instid1(VALU_DEP_1)
	v_min_u32_e32 v7, 1, v7
	v_or_b32_e32 v7, v8, v7
	s_delay_alu instid0(VALU_DEP_1) | instskip(NEXT) | instid1(VALU_DEP_1)
	v_cvt_f32_u32_e32 v7, v7
	v_ldexp_f32 v5, v7, v5
	s_delay_alu instid0(VALU_DEP_1) | instskip(NEXT) | instid1(VALU_DEP_1)
	v_bfe_u32 v7, v5, 16, 1
	v_add3_u32 v5, v5, v7, 0x7fff
	s_delay_alu instid0(VALU_DEP_1)
	v_lshrrev_b32_e32 v5, 16, v5
	s_branch .LBB143_167
.LBB143_165:
	s_mov_b32 s3, -1
                                        ; implicit-def: $vgpr5
.LBB143_166:
	s_mov_b32 s38, 0
.LBB143_167:
	s_delay_alu instid0(SALU_CYCLE_1)
	s_and_b32 vcc_lo, exec_lo, s38
	s_cbranch_vccz .LBB143_185
; %bb.168:
	v_cmp_gt_i16_e32 vcc_lo, 27, v6
	s_cbranch_vccnz .LBB143_171
; %bb.169:
	v_cmp_lt_i16_e32 vcc_lo, 27, v6
	s_cbranch_vccz .LBB143_172
; %bb.170:
	global_load_b32 v5, v[2:3], off
	s_mov_b32 s2, 0
	s_waitcnt vmcnt(0)
	v_cvt_f32_u32_e32 v5, v5
	s_delay_alu instid0(VALU_DEP_1) | instskip(NEXT) | instid1(VALU_DEP_1)
	v_bfe_u32 v7, v5, 16, 1
	v_add3_u32 v5, v5, v7, 0x7fff
	s_delay_alu instid0(VALU_DEP_1)
	v_lshrrev_b32_e32 v5, 16, v5
	s_branch .LBB143_173
.LBB143_171:
	s_mov_b32 s2, -1
                                        ; implicit-def: $vgpr5
	s_branch .LBB143_176
.LBB143_172:
	s_mov_b32 s2, -1
                                        ; implicit-def: $vgpr5
.LBB143_173:
	s_delay_alu instid0(SALU_CYCLE_1)
	s_and_not1_b32 vcc_lo, exec_lo, s2
	s_cbranch_vccnz .LBB143_175
; %bb.174:
	global_load_u16 v5, v[2:3], off
	s_waitcnt vmcnt(0)
	v_cvt_f32_u32_e32 v5, v5
	s_delay_alu instid0(VALU_DEP_1) | instskip(NEXT) | instid1(VALU_DEP_1)
	v_bfe_u32 v7, v5, 16, 1
	v_add3_u32 v5, v5, v7, 0x7fff
	s_delay_alu instid0(VALU_DEP_1)
	v_lshrrev_b32_e32 v5, 16, v5
.LBB143_175:
	s_mov_b32 s2, 0
.LBB143_176:
	s_delay_alu instid0(SALU_CYCLE_1)
	s_and_not1_b32 vcc_lo, exec_lo, s2
	s_cbranch_vccnz .LBB143_184
; %bb.177:
	global_load_u8 v5, v[2:3], off
	s_mov_b32 s2, 0
	s_mov_b32 s39, exec_lo
                                        ; implicit-def: $sgpr38
	s_waitcnt vmcnt(0)
	v_cmpx_lt_i16_e32 0x7f, v5
	s_xor_b32 s39, exec_lo, s39
	s_cbranch_execz .LBB143_197
; %bb.178:
	s_mov_b32 s2, -1
	s_mov_b32 s40, exec_lo
                                        ; implicit-def: $sgpr38
	v_cmpx_eq_u16_e32 0x80, v5
; %bb.179:
	s_mov_b32 s38, 0x7f800001
	s_xor_b32 s2, exec_lo, -1
; %bb.180:
	s_or_b32 exec_lo, exec_lo, s40
	s_delay_alu instid0(SALU_CYCLE_1)
	s_and_b32 s2, s2, exec_lo
	s_or_saveexec_b32 s39, s39
	v_mov_b32_e32 v7, s38
	s_xor_b32 exec_lo, exec_lo, s39
	s_cbranch_execnz .LBB143_198
.LBB143_181:
	s_or_b32 exec_lo, exec_lo, s39
	s_and_saveexec_b32 s38, s2
	s_cbranch_execz .LBB143_183
.LBB143_182:
	v_and_b32_e32 v7, 0xffff, v5
	v_lshlrev_b32_e32 v5, 24, v5
	s_delay_alu instid0(VALU_DEP_2) | instskip(NEXT) | instid1(VALU_DEP_2)
	v_and_b32_e32 v8, 7, v7
	v_and_b32_e32 v5, 0x80000000, v5
	s_delay_alu instid0(VALU_DEP_2) | instskip(NEXT) | instid1(VALU_DEP_1)
	v_clz_i32_u32_e32 v9, v8
	v_min_u32_e32 v9, 32, v9
	s_delay_alu instid0(VALU_DEP_1) | instskip(SKIP_1) | instid1(VALU_DEP_2)
	v_subrev_nc_u32_e32 v10, 28, v9
	v_sub_nc_u32_e32 v9, 29, v9
	v_lshlrev_b32_e32 v10, v10, v7
	v_bfe_u32 v7, v7, 3, 4
	s_delay_alu instid0(VALU_DEP_2) | instskip(NEXT) | instid1(VALU_DEP_2)
	v_and_b32_e32 v10, 7, v10
	v_cmp_eq_u32_e32 vcc_lo, 0, v7
	s_delay_alu instid0(VALU_DEP_2) | instskip(NEXT) | instid1(VALU_DEP_1)
	v_dual_cndmask_b32 v7, v7, v9 :: v_dual_cndmask_b32 v8, v8, v10
	v_lshl_add_u32 v7, v7, 23, 0x3b800000
	s_delay_alu instid0(VALU_DEP_2) | instskip(NEXT) | instid1(VALU_DEP_1)
	v_lshlrev_b32_e32 v8, 20, v8
	v_or3_b32 v7, v5, v7, v8
.LBB143_183:
	s_or_b32 exec_lo, exec_lo, s38
	s_delay_alu instid0(VALU_DEP_1) | instskip(SKIP_1) | instid1(VALU_DEP_2)
	v_bfe_u32 v5, v7, 16, 1
	v_cmp_o_f32_e32 vcc_lo, v7, v7
	v_add3_u32 v5, v7, v5, 0x7fff
	s_delay_alu instid0(VALU_DEP_1) | instskip(NEXT) | instid1(VALU_DEP_1)
	v_lshrrev_b32_e32 v5, 16, v5
	v_cndmask_b32_e32 v5, 0x7fc0, v5, vcc_lo
.LBB143_184:
	s_mov_b32 s2, -1
.LBB143_185:
	s_branch .LBB143_220
.LBB143_186:
	v_cmp_lt_i16_e32 vcc_lo, 22, v6
	s_cbranch_vccz .LBB143_196
; %bb.187:
	v_cmp_gt_i16_e32 vcc_lo, 24, v6
	s_cbranch_vccnz .LBB143_199
; %bb.188:
	v_cmp_lt_i16_e32 vcc_lo, 24, v6
	s_cbranch_vccz .LBB143_200
; %bb.189:
	global_load_u8 v5, v[2:3], off
	s_mov_b32 s2, 0
	s_mov_b32 s39, exec_lo
                                        ; implicit-def: $sgpr38
	s_waitcnt vmcnt(0)
	v_cmpx_lt_i16_e32 0x7f, v5
	s_xor_b32 s39, exec_lo, s39
	s_cbranch_execz .LBB143_212
; %bb.190:
	s_mov_b32 s2, -1
	s_mov_b32 s40, exec_lo
                                        ; implicit-def: $sgpr38
	v_cmpx_eq_u16_e32 0x80, v5
; %bb.191:
	s_mov_b32 s38, 0x7f800001
	s_xor_b32 s2, exec_lo, -1
; %bb.192:
	s_or_b32 exec_lo, exec_lo, s40
	s_delay_alu instid0(SALU_CYCLE_1)
	s_and_b32 s2, s2, exec_lo
	s_or_saveexec_b32 s39, s39
	v_mov_b32_e32 v7, s38
	s_xor_b32 exec_lo, exec_lo, s39
	s_cbranch_execnz .LBB143_213
.LBB143_193:
	s_or_b32 exec_lo, exec_lo, s39
	s_and_saveexec_b32 s38, s2
	s_cbranch_execz .LBB143_195
.LBB143_194:
	v_and_b32_e32 v7, 0xffff, v5
	v_lshlrev_b32_e32 v5, 24, v5
	s_delay_alu instid0(VALU_DEP_2) | instskip(NEXT) | instid1(VALU_DEP_2)
	v_and_b32_e32 v8, 3, v7
	v_and_b32_e32 v5, 0x80000000, v5
	s_delay_alu instid0(VALU_DEP_2) | instskip(NEXT) | instid1(VALU_DEP_1)
	v_clz_i32_u32_e32 v9, v8
	v_min_u32_e32 v9, 32, v9
	s_delay_alu instid0(VALU_DEP_1) | instskip(SKIP_1) | instid1(VALU_DEP_2)
	v_subrev_nc_u32_e32 v10, 29, v9
	v_sub_nc_u32_e32 v9, 30, v9
	v_lshlrev_b32_e32 v10, v10, v7
	v_bfe_u32 v7, v7, 2, 5
	s_delay_alu instid0(VALU_DEP_2) | instskip(NEXT) | instid1(VALU_DEP_2)
	v_and_b32_e32 v10, 3, v10
	v_cmp_eq_u32_e32 vcc_lo, 0, v7
	s_delay_alu instid0(VALU_DEP_2) | instskip(NEXT) | instid1(VALU_DEP_1)
	v_dual_cndmask_b32 v7, v7, v9 :: v_dual_cndmask_b32 v8, v8, v10
	v_lshl_add_u32 v7, v7, 23, 0x37800000
	s_delay_alu instid0(VALU_DEP_2) | instskip(NEXT) | instid1(VALU_DEP_1)
	v_lshlrev_b32_e32 v8, 21, v8
	v_or3_b32 v7, v5, v7, v8
.LBB143_195:
	s_or_b32 exec_lo, exec_lo, s38
	s_delay_alu instid0(VALU_DEP_1) | instskip(SKIP_2) | instid1(VALU_DEP_2)
	v_bfe_u32 v5, v7, 16, 1
	v_cmp_o_f32_e32 vcc_lo, v7, v7
	s_mov_b32 s2, 0
	v_add3_u32 v5, v7, v5, 0x7fff
	s_delay_alu instid0(VALU_DEP_1) | instskip(NEXT) | instid1(VALU_DEP_1)
	v_lshrrev_b32_e32 v5, 16, v5
	v_cndmask_b32_e32 v5, 0x7fc0, v5, vcc_lo
	s_branch .LBB143_201
.LBB143_196:
	s_mov_b32 s38, -1
                                        ; implicit-def: $vgpr5
	s_branch .LBB143_207
.LBB143_197:
	s_or_saveexec_b32 s39, s39
	v_mov_b32_e32 v7, s38
	s_xor_b32 exec_lo, exec_lo, s39
	s_cbranch_execz .LBB143_181
.LBB143_198:
	v_cmp_ne_u16_e32 vcc_lo, 0, v5
	v_mov_b32_e32 v7, 0
	s_and_not1_b32 s2, s2, exec_lo
	s_and_b32 s38, vcc_lo, exec_lo
	s_delay_alu instid0(SALU_CYCLE_1)
	s_or_b32 s2, s2, s38
	s_or_b32 exec_lo, exec_lo, s39
	s_and_saveexec_b32 s38, s2
	s_cbranch_execnz .LBB143_182
	s_branch .LBB143_183
.LBB143_199:
	s_mov_b32 s2, -1
                                        ; implicit-def: $vgpr5
	s_branch .LBB143_204
.LBB143_200:
	s_mov_b32 s2, -1
                                        ; implicit-def: $vgpr5
.LBB143_201:
	s_delay_alu instid0(SALU_CYCLE_1)
	s_and_b32 vcc_lo, exec_lo, s2
	s_cbranch_vccz .LBB143_203
; %bb.202:
	global_load_u8 v5, v[2:3], off
	s_waitcnt vmcnt(0)
	v_lshlrev_b32_e32 v5, 24, v5
	s_delay_alu instid0(VALU_DEP_1) | instskip(NEXT) | instid1(VALU_DEP_1)
	v_and_b32_e32 v7, 0x7f000000, v5
	v_clz_i32_u32_e32 v8, v7
	v_cmp_ne_u32_e32 vcc_lo, 0, v7
	v_add_nc_u32_e32 v10, 0x1000000, v7
	s_delay_alu instid0(VALU_DEP_3) | instskip(NEXT) | instid1(VALU_DEP_1)
	v_min_u32_e32 v8, 32, v8
	v_sub_nc_u32_e64 v8, v8, 4 clamp
	s_delay_alu instid0(VALU_DEP_1) | instskip(SKIP_1) | instid1(VALU_DEP_2)
	v_lshlrev_b32_e32 v9, v8, v7
	v_lshlrev_b32_e32 v8, 23, v8
	v_lshrrev_b32_e32 v9, 4, v9
	s_delay_alu instid0(VALU_DEP_1) | instskip(SKIP_1) | instid1(VALU_DEP_2)
	v_sub_nc_u32_e32 v8, v9, v8
	v_ashrrev_i32_e32 v9, 8, v10
	v_add_nc_u32_e32 v8, 0x3c000000, v8
	s_delay_alu instid0(VALU_DEP_1) | instskip(NEXT) | instid1(VALU_DEP_1)
	v_and_or_b32 v8, 0x7f800000, v9, v8
	v_cndmask_b32_e32 v7, 0, v8, vcc_lo
	s_delay_alu instid0(VALU_DEP_1) | instskip(SKIP_1) | instid1(VALU_DEP_2)
	v_and_or_b32 v5, 0x80000000, v5, v7
	v_bfe_u32 v7, v7, 16, 1
	v_cmp_o_f32_e32 vcc_lo, v5, v5
	s_delay_alu instid0(VALU_DEP_2) | instskip(NEXT) | instid1(VALU_DEP_1)
	v_add3_u32 v7, v5, v7, 0x7fff
	v_lshrrev_b32_e32 v7, 16, v7
	s_delay_alu instid0(VALU_DEP_1)
	v_cndmask_b32_e32 v5, 0x7fc0, v7, vcc_lo
.LBB143_203:
	s_mov_b32 s2, 0
.LBB143_204:
	s_delay_alu instid0(SALU_CYCLE_1)
	s_and_not1_b32 vcc_lo, exec_lo, s2
	s_cbranch_vccnz .LBB143_206
; %bb.205:
	global_load_u8 v5, v[2:3], off
	s_waitcnt vmcnt(0)
	v_lshlrev_b32_e32 v7, 25, v5
	v_lshlrev_b16 v5, 8, v5
	s_delay_alu instid0(VALU_DEP_2) | instskip(NEXT) | instid1(VALU_DEP_2)
	v_lshrrev_b32_e32 v8, 4, v7
	v_and_or_b32 v9, 0x7f00, v5, 0.5
	v_bfe_i32 v5, v5, 0, 16
	s_delay_alu instid0(VALU_DEP_3) | instskip(NEXT) | instid1(VALU_DEP_1)
	v_or_b32_e32 v8, 0x70000000, v8
	v_dual_add_f32 v9, -0.5, v9 :: v_dual_mul_f32 v8, 0x7800000, v8
	v_cmp_gt_u32_e32 vcc_lo, 0x8000000, v7
	s_delay_alu instid0(VALU_DEP_2) | instskip(NEXT) | instid1(VALU_DEP_1)
	v_cndmask_b32_e32 v7, v8, v9, vcc_lo
	v_and_or_b32 v5, 0x80000000, v5, v7
	v_bfe_u32 v7, v7, 16, 1
	s_delay_alu instid0(VALU_DEP_2) | instskip(NEXT) | instid1(VALU_DEP_2)
	v_cmp_o_f32_e32 vcc_lo, v5, v5
	v_add3_u32 v7, v5, v7, 0x7fff
	s_delay_alu instid0(VALU_DEP_1) | instskip(NEXT) | instid1(VALU_DEP_1)
	v_lshrrev_b32_e32 v7, 16, v7
	v_cndmask_b32_e32 v5, 0x7fc0, v7, vcc_lo
.LBB143_206:
	s_mov_b32 s38, 0
	s_mov_b32 s2, -1
.LBB143_207:
	s_and_not1_b32 vcc_lo, exec_lo, s38
	s_cbranch_vccnz .LBB143_220
; %bb.208:
	v_cmp_lt_i16_e32 vcc_lo, 14, v6
	s_cbranch_vccz .LBB143_211
; %bb.209:
	v_cmp_eq_u16_e32 vcc_lo, 15, v6
	s_cbranch_vccz .LBB143_214
; %bb.210:
	global_load_u16 v5, v[2:3], off
	s_mov_b32 s2, -1
	s_mov_b32 s3, 0
	s_branch .LBB143_215
.LBB143_211:
	s_mov_b32 s38, -1
                                        ; implicit-def: $vgpr5
	s_branch .LBB143_216
.LBB143_212:
	s_or_saveexec_b32 s39, s39
	v_mov_b32_e32 v7, s38
	s_xor_b32 exec_lo, exec_lo, s39
	s_cbranch_execz .LBB143_193
.LBB143_213:
	v_cmp_ne_u16_e32 vcc_lo, 0, v5
	v_mov_b32_e32 v7, 0
	s_and_not1_b32 s2, s2, exec_lo
	s_and_b32 s38, vcc_lo, exec_lo
	s_delay_alu instid0(SALU_CYCLE_1)
	s_or_b32 s2, s2, s38
	s_or_b32 exec_lo, exec_lo, s39
	s_and_saveexec_b32 s38, s2
	s_cbranch_execnz .LBB143_194
	s_branch .LBB143_195
.LBB143_214:
	s_mov_b32 s3, -1
                                        ; implicit-def: $vgpr5
.LBB143_215:
	s_mov_b32 s38, 0
.LBB143_216:
	s_delay_alu instid0(SALU_CYCLE_1)
	s_and_b32 vcc_lo, exec_lo, s38
	s_cbranch_vccz .LBB143_220
; %bb.217:
	v_cmp_eq_u16_e32 vcc_lo, 11, v6
	s_cbranch_vccz .LBB143_219
; %bb.218:
	global_load_u8 v5, v[2:3], off
	s_mov_b32 s3, 0
	s_mov_b32 s2, -1
	s_waitcnt vmcnt(0)
	v_cmp_ne_u16_e32 vcc_lo, 0, v5
	v_cndmask_b32_e64 v5, 0, 1.0, vcc_lo
	s_delay_alu instid0(VALU_DEP_1)
	v_lshrrev_b32_e32 v5, 16, v5
	s_branch .LBB143_220
.LBB143_219:
	s_mov_b32 s3, -1
                                        ; implicit-def: $vgpr5
.LBB143_220:
	s_branch .LBB143_20
.LBB143_221:
	v_cmp_gt_i16_e32 vcc_lo, 5, v6
	s_cbranch_vccnz .LBB143_226
; %bb.222:
	v_cmp_gt_i16_e32 vcc_lo, 8, v6
	s_cbranch_vccnz .LBB143_227
; %bb.223:
	v_cmp_gt_i16_e32 vcc_lo, 9, v6
	s_cbranch_vccnz .LBB143_228
; %bb.224:
	v_cmp_lt_i16_e32 vcc_lo, 9, v6
	s_cbranch_vccz .LBB143_229
; %bb.225:
	global_load_b64 v[7:8], v[2:3], off
	s_mov_b32 s2, 0
	s_waitcnt vmcnt(0)
	v_cvt_f32_f64_e32 v5, v[7:8]
	s_delay_alu instid0(VALU_DEP_1) | instskip(SKIP_1) | instid1(VALU_DEP_2)
	v_bfe_u32 v7, v5, 16, 1
	v_cmp_o_f32_e32 vcc_lo, v5, v5
	v_add3_u32 v7, v5, v7, 0x7fff
	s_delay_alu instid0(VALU_DEP_1) | instskip(NEXT) | instid1(VALU_DEP_1)
	v_lshrrev_b32_e32 v7, 16, v7
	v_cndmask_b32_e32 v5, 0x7fc0, v7, vcc_lo
	s_branch .LBB143_230
.LBB143_226:
                                        ; implicit-def: $vgpr5
	s_branch .LBB143_248
.LBB143_227:
	s_mov_b32 s2, -1
                                        ; implicit-def: $vgpr5
	s_branch .LBB143_236
.LBB143_228:
	s_mov_b32 s2, -1
                                        ; implicit-def: $vgpr5
	s_branch .LBB143_233
.LBB143_229:
	s_mov_b32 s2, -1
                                        ; implicit-def: $vgpr5
.LBB143_230:
	s_delay_alu instid0(SALU_CYCLE_1)
	s_and_not1_b32 vcc_lo, exec_lo, s2
	s_cbranch_vccnz .LBB143_232
; %bb.231:
	global_load_b32 v5, v[2:3], off
	s_waitcnt vmcnt(0)
	v_bfe_u32 v7, v5, 16, 1
	v_cmp_o_f32_e32 vcc_lo, v5, v5
	s_delay_alu instid0(VALU_DEP_2) | instskip(NEXT) | instid1(VALU_DEP_1)
	v_add3_u32 v7, v5, v7, 0x7fff
	v_lshrrev_b32_e32 v7, 16, v7
	s_delay_alu instid0(VALU_DEP_1)
	v_cndmask_b32_e32 v5, 0x7fc0, v7, vcc_lo
.LBB143_232:
	s_mov_b32 s2, 0
.LBB143_233:
	s_delay_alu instid0(SALU_CYCLE_1)
	s_and_not1_b32 vcc_lo, exec_lo, s2
	s_cbranch_vccnz .LBB143_235
; %bb.234:
	global_load_b32 v5, v[2:3], off
	s_waitcnt vmcnt(0)
	v_cvt_f32_f16_e32 v7, v5
	v_cmp_o_f16_e32 vcc_lo, v5, v5
	s_delay_alu instid0(VALU_DEP_2) | instskip(NEXT) | instid1(VALU_DEP_1)
	v_bfe_u32 v8, v7, 16, 1
	v_add3_u32 v7, v7, v8, 0x7fff
	s_delay_alu instid0(VALU_DEP_1) | instskip(NEXT) | instid1(VALU_DEP_1)
	v_lshrrev_b32_e32 v7, 16, v7
	v_cndmask_b32_e32 v5, 0x7fc0, v7, vcc_lo
.LBB143_235:
	s_mov_b32 s2, 0
.LBB143_236:
	s_delay_alu instid0(SALU_CYCLE_1)
	s_and_not1_b32 vcc_lo, exec_lo, s2
	s_cbranch_vccnz .LBB143_247
; %bb.237:
	v_cmp_gt_i16_e32 vcc_lo, 6, v6
	s_cbranch_vccnz .LBB143_240
; %bb.238:
	v_cmp_lt_i16_e32 vcc_lo, 6, v6
	s_cbranch_vccz .LBB143_241
; %bb.239:
	global_load_b64 v[7:8], v[2:3], off
	s_mov_b32 s2, 0
	s_waitcnt vmcnt(0)
	v_cvt_f32_f64_e32 v5, v[7:8]
	s_delay_alu instid0(VALU_DEP_1) | instskip(SKIP_1) | instid1(VALU_DEP_2)
	v_bfe_u32 v7, v5, 16, 1
	v_cmp_o_f32_e32 vcc_lo, v5, v5
	v_add3_u32 v7, v5, v7, 0x7fff
	s_delay_alu instid0(VALU_DEP_1) | instskip(NEXT) | instid1(VALU_DEP_1)
	v_lshrrev_b32_e32 v7, 16, v7
	v_cndmask_b32_e32 v5, 0x7fc0, v7, vcc_lo
	s_branch .LBB143_242
.LBB143_240:
	s_mov_b32 s2, -1
                                        ; implicit-def: $vgpr5
	s_branch .LBB143_245
.LBB143_241:
	s_mov_b32 s2, -1
                                        ; implicit-def: $vgpr5
.LBB143_242:
	s_delay_alu instid0(SALU_CYCLE_1)
	s_and_not1_b32 vcc_lo, exec_lo, s2
	s_cbranch_vccnz .LBB143_244
; %bb.243:
	global_load_b32 v5, v[2:3], off
	s_waitcnt vmcnt(0)
	v_bfe_u32 v7, v5, 16, 1
	v_cmp_o_f32_e32 vcc_lo, v5, v5
	s_delay_alu instid0(VALU_DEP_2) | instskip(NEXT) | instid1(VALU_DEP_1)
	v_add3_u32 v7, v5, v7, 0x7fff
	v_lshrrev_b32_e32 v7, 16, v7
	s_delay_alu instid0(VALU_DEP_1)
	v_cndmask_b32_e32 v5, 0x7fc0, v7, vcc_lo
.LBB143_244:
	s_mov_b32 s2, 0
.LBB143_245:
	s_delay_alu instid0(SALU_CYCLE_1)
	s_and_not1_b32 vcc_lo, exec_lo, s2
	s_cbranch_vccnz .LBB143_247
; %bb.246:
	global_load_u16 v5, v[2:3], off
	s_waitcnt vmcnt(0)
	v_cvt_f32_f16_e32 v7, v5
	v_cmp_o_f16_e32 vcc_lo, v5, v5
	s_delay_alu instid0(VALU_DEP_2) | instskip(NEXT) | instid1(VALU_DEP_1)
	v_bfe_u32 v8, v7, 16, 1
	v_add3_u32 v7, v7, v8, 0x7fff
	s_delay_alu instid0(VALU_DEP_1) | instskip(NEXT) | instid1(VALU_DEP_1)
	v_lshrrev_b32_e32 v7, 16, v7
	v_cndmask_b32_e32 v5, 0x7fc0, v7, vcc_lo
.LBB143_247:
	s_cbranch_execnz .LBB143_267
.LBB143_248:
	v_cmp_gt_i16_e32 vcc_lo, 2, v6
	s_cbranch_vccnz .LBB143_252
; %bb.249:
	v_cmp_gt_i16_e32 vcc_lo, 3, v6
	s_cbranch_vccnz .LBB143_253
; %bb.250:
	v_cmp_lt_i16_e32 vcc_lo, 3, v6
	s_cbranch_vccz .LBB143_254
; %bb.251:
	global_load_b64 v[7:8], v[2:3], off
	s_mov_b32 s2, 0
	s_waitcnt vmcnt(0)
	v_xor_b32_e32 v5, v7, v8
	v_cls_i32_e32 v9, v8
	s_delay_alu instid0(VALU_DEP_2) | instskip(NEXT) | instid1(VALU_DEP_2)
	v_ashrrev_i32_e32 v5, 31, v5
	v_add_nc_u32_e32 v9, -1, v9
	s_delay_alu instid0(VALU_DEP_2) | instskip(NEXT) | instid1(VALU_DEP_1)
	v_add_nc_u32_e32 v5, 32, v5
	v_min_u32_e32 v5, v9, v5
	s_delay_alu instid0(VALU_DEP_1) | instskip(SKIP_1) | instid1(VALU_DEP_2)
	v_lshlrev_b64 v[7:8], v5, v[7:8]
	v_sub_nc_u32_e32 v5, 32, v5
	v_min_u32_e32 v7, 1, v7
	s_delay_alu instid0(VALU_DEP_1) | instskip(NEXT) | instid1(VALU_DEP_1)
	v_or_b32_e32 v7, v8, v7
	v_cvt_f32_i32_e32 v7, v7
	s_delay_alu instid0(VALU_DEP_1) | instskip(NEXT) | instid1(VALU_DEP_1)
	v_ldexp_f32 v5, v7, v5
	v_bfe_u32 v7, v5, 16, 1
	s_delay_alu instid0(VALU_DEP_1) | instskip(NEXT) | instid1(VALU_DEP_1)
	v_add3_u32 v5, v5, v7, 0x7fff
	v_lshrrev_b32_e32 v5, 16, v5
	s_branch .LBB143_255
.LBB143_252:
	s_mov_b32 s2, -1
                                        ; implicit-def: $vgpr5
	s_branch .LBB143_261
.LBB143_253:
	s_mov_b32 s2, -1
                                        ; implicit-def: $vgpr5
	s_branch .LBB143_258
.LBB143_254:
	s_mov_b32 s2, -1
                                        ; implicit-def: $vgpr5
.LBB143_255:
	s_delay_alu instid0(SALU_CYCLE_1)
	s_and_not1_b32 vcc_lo, exec_lo, s2
	s_cbranch_vccnz .LBB143_257
; %bb.256:
	global_load_b32 v5, v[2:3], off
	s_waitcnt vmcnt(0)
	v_cvt_f32_i32_e32 v5, v5
	s_delay_alu instid0(VALU_DEP_1) | instskip(NEXT) | instid1(VALU_DEP_1)
	v_bfe_u32 v7, v5, 16, 1
	v_add3_u32 v5, v5, v7, 0x7fff
	s_delay_alu instid0(VALU_DEP_1)
	v_lshrrev_b32_e32 v5, 16, v5
.LBB143_257:
	s_mov_b32 s2, 0
.LBB143_258:
	s_delay_alu instid0(SALU_CYCLE_1)
	s_and_not1_b32 vcc_lo, exec_lo, s2
	s_cbranch_vccnz .LBB143_260
; %bb.259:
	global_load_i16 v5, v[2:3], off
	s_waitcnt vmcnt(0)
	v_cvt_f32_i32_e32 v5, v5
	s_delay_alu instid0(VALU_DEP_1) | instskip(NEXT) | instid1(VALU_DEP_1)
	v_bfe_u32 v7, v5, 16, 1
	v_add3_u32 v5, v5, v7, 0x7fff
	s_delay_alu instid0(VALU_DEP_1)
	v_lshrrev_b32_e32 v5, 16, v5
.LBB143_260:
	s_mov_b32 s2, 0
.LBB143_261:
	s_delay_alu instid0(SALU_CYCLE_1)
	s_and_not1_b32 vcc_lo, exec_lo, s2
	s_cbranch_vccnz .LBB143_267
; %bb.262:
	v_cmp_lt_i16_e32 vcc_lo, 0, v6
	s_mov_b32 s2, 0
	s_cbranch_vccz .LBB143_264
; %bb.263:
	global_load_i8 v5, v[2:3], off
	s_waitcnt vmcnt(0)
	v_cvt_f32_i32_e32 v5, v5
	s_delay_alu instid0(VALU_DEP_1) | instskip(NEXT) | instid1(VALU_DEP_1)
	v_bfe_u32 v6, v5, 16, 1
	v_add3_u32 v5, v5, v6, 0x7fff
	s_delay_alu instid0(VALU_DEP_1)
	v_lshrrev_b32_e32 v5, 16, v5
	s_branch .LBB143_265
.LBB143_264:
	s_mov_b32 s2, -1
                                        ; implicit-def: $vgpr5
.LBB143_265:
	s_delay_alu instid0(SALU_CYCLE_1)
	s_and_not1_b32 vcc_lo, exec_lo, s2
	s_cbranch_vccnz .LBB143_267
; %bb.266:
	global_load_u8 v2, v[2:3], off
	s_waitcnt vmcnt(0)
	v_cvt_f32_ubyte0_e32 v2, v2
	s_delay_alu instid0(VALU_DEP_1) | instskip(NEXT) | instid1(VALU_DEP_1)
	v_bfe_u32 v3, v2, 16, 1
	v_add3_u32 v2, v2, v3, 0x7fff
	s_delay_alu instid0(VALU_DEP_1)
	v_lshrrev_b32_e32 v5, 16, v2
.LBB143_267:
	s_branch .LBB143_21
.LBB143_268:
	s_mov_b32 s38, 0
	s_mov_b32 s39, 0
	s_branch .LBB143_383
.LBB143_269:
	s_mov_b32 s39, -1
.LBB143_270:
	s_mov_b32 s2, 0
                                        ; implicit-def: $sgpr38
.LBB143_271:
	s_and_b32 vcc_lo, exec_lo, s40
	s_cbranch_vccz .LBB143_273
; %bb.272:
	v_cmp_eq_u16_e64 s2, 44, v3
	s_mov_b32 s39, -1
	s_or_b32 s38, s38, exec_lo
.LBB143_273:
	s_mov_b32 s40, 0
.LBB143_274:
	s_delay_alu instid0(SALU_CYCLE_1)
	s_and_b32 vcc_lo, exec_lo, s40
	s_cbranch_vccz .LBB143_278
; %bb.275:
	v_cmp_eq_u16_e32 vcc_lo, 29, v3
	s_cbranch_vccz .LBB143_277
; %bb.276:
	global_load_b64 v[6:7], v[1:2], off
	s_mov_b32 s2, -1
	s_mov_b32 s39, 0
	s_mov_b32 s40, 0
	s_waitcnt vmcnt(0)
	v_cmp_ne_u64_e32 vcc_lo, 0, v[6:7]
	s_and_b32 s38, vcc_lo, exec_lo
	s_branch .LBB143_279
.LBB143_277:
	s_mov_b32 s39, -1
                                        ; implicit-def: $sgpr38
.LBB143_278:
	s_mov_b32 s40, 0
.LBB143_279:
	s_delay_alu instid0(SALU_CYCLE_1)
	s_and_b32 vcc_lo, exec_lo, s40
	s_cbranch_vccz .LBB143_297
; %bb.280:
	v_cmp_gt_i16_e32 vcc_lo, 27, v3
	s_cbranch_vccnz .LBB143_283
; %bb.281:
	v_cmp_lt_i16_e32 vcc_lo, 27, v3
	s_cbranch_vccz .LBB143_284
; %bb.282:
	global_load_b32 v6, v[1:2], off
	s_mov_b32 s2, 0
	s_waitcnt vmcnt(0)
	v_cmp_ne_u32_e32 vcc_lo, 0, v6
	s_and_b32 s38, vcc_lo, exec_lo
	s_branch .LBB143_285
.LBB143_283:
	s_mov_b32 s2, -1
                                        ; implicit-def: $sgpr38
	s_branch .LBB143_288
.LBB143_284:
	s_mov_b32 s2, -1
                                        ; implicit-def: $sgpr38
.LBB143_285:
	s_delay_alu instid0(SALU_CYCLE_1)
	s_and_not1_b32 vcc_lo, exec_lo, s2
	s_cbranch_vccnz .LBB143_287
; %bb.286:
	global_load_u16 v6, v[1:2], off
	s_and_not1_b32 s2, s38, exec_lo
	s_waitcnt vmcnt(0)
	v_cmp_ne_u16_e32 vcc_lo, 0, v6
	s_and_b32 s38, vcc_lo, exec_lo
	s_delay_alu instid0(SALU_CYCLE_1)
	s_or_b32 s38, s2, s38
.LBB143_287:
	s_mov_b32 s2, 0
.LBB143_288:
	s_delay_alu instid0(SALU_CYCLE_1)
	s_and_not1_b32 vcc_lo, exec_lo, s2
	s_cbranch_vccnz .LBB143_296
; %bb.289:
	global_load_u8 v6, v[1:2], off
	s_mov_b32 s2, 0
	s_mov_b32 s40, exec_lo
                                        ; implicit-def: $sgpr38
	s_waitcnt vmcnt(0)
	v_cmpx_lt_i16_e32 0x7f, v6
	s_xor_b32 s40, exec_lo, s40
	s_cbranch_execz .LBB143_310
; %bb.290:
	s_mov_b32 s2, -1
	s_mov_b32 s43, exec_lo
                                        ; implicit-def: $sgpr38
	v_cmpx_eq_u16_e32 0x80, v6
; %bb.291:
	s_mov_b32 s38, -1
	s_xor_b32 s2, exec_lo, -1
; %bb.292:
	s_or_b32 exec_lo, exec_lo, s43
	s_delay_alu instid0(SALU_CYCLE_1)
	s_and_b32 s2, s2, exec_lo
	s_and_not1_saveexec_b32 s40, s40
	s_cbranch_execnz .LBB143_311
.LBB143_293:
	s_or_b32 exec_lo, exec_lo, s40
	s_and_saveexec_b32 s40, s2
	s_cbranch_execz .LBB143_295
.LBB143_294:
	v_and_b32_e32 v6, 0xffff, v6
	s_and_not1_b32 s2, s38, exec_lo
	s_delay_alu instid0(VALU_DEP_1) | instskip(NEXT) | instid1(VALU_DEP_1)
	v_and_b32_e32 v7, 7, v6
	v_clz_i32_u32_e32 v8, v7
	s_delay_alu instid0(VALU_DEP_1) | instskip(NEXT) | instid1(VALU_DEP_1)
	v_min_u32_e32 v8, 32, v8
	v_subrev_nc_u32_e32 v9, 28, v8
	v_sub_nc_u32_e32 v8, 29, v8
	s_delay_alu instid0(VALU_DEP_2) | instskip(SKIP_1) | instid1(VALU_DEP_2)
	v_lshlrev_b32_e32 v9, v9, v6
	v_bfe_u32 v6, v6, 3, 4
	v_and_b32_e32 v9, 7, v9
	s_delay_alu instid0(VALU_DEP_2) | instskip(NEXT) | instid1(VALU_DEP_2)
	v_cmp_eq_u32_e32 vcc_lo, 0, v6
	v_dual_cndmask_b32 v6, v6, v8 :: v_dual_cndmask_b32 v7, v7, v9
	s_delay_alu instid0(VALU_DEP_1) | instskip(NEXT) | instid1(VALU_DEP_2)
	v_lshl_add_u32 v6, v6, 23, 0x3b800000
	v_lshlrev_b32_e32 v7, 20, v7
	s_delay_alu instid0(VALU_DEP_1) | instskip(NEXT) | instid1(VALU_DEP_1)
	v_and_or_b32 v6, 0x7f800000, v6, v7
	v_cmp_ne_u32_e32 vcc_lo, 0, v6
	s_and_b32 s38, vcc_lo, exec_lo
	s_delay_alu instid0(SALU_CYCLE_1)
	s_or_b32 s38, s2, s38
.LBB143_295:
	s_or_b32 exec_lo, exec_lo, s40
.LBB143_296:
	s_mov_b32 s2, -1
.LBB143_297:
	s_mov_b32 s40, 0
.LBB143_298:
	s_delay_alu instid0(SALU_CYCLE_1)
	s_and_b32 vcc_lo, exec_lo, s40
	s_cbranch_vccz .LBB143_333
; %bb.299:
	v_cmp_lt_i16_e32 vcc_lo, 22, v3
	s_cbranch_vccz .LBB143_309
; %bb.300:
	v_cmp_gt_i16_e32 vcc_lo, 24, v3
	s_cbranch_vccnz .LBB143_312
; %bb.301:
	v_cmp_lt_i16_e32 vcc_lo, 24, v3
	s_cbranch_vccz .LBB143_313
; %bb.302:
	global_load_u8 v6, v[1:2], off
	s_mov_b32 s2, 0
	s_mov_b32 s40, exec_lo
                                        ; implicit-def: $sgpr38
	s_waitcnt vmcnt(0)
	v_cmpx_lt_i16_e32 0x7f, v6
	s_xor_b32 s40, exec_lo, s40
	s_cbranch_execz .LBB143_325
; %bb.303:
	s_mov_b32 s2, -1
	s_mov_b32 s43, exec_lo
                                        ; implicit-def: $sgpr38
	v_cmpx_eq_u16_e32 0x80, v6
; %bb.304:
	s_mov_b32 s38, -1
	s_xor_b32 s2, exec_lo, -1
; %bb.305:
	s_or_b32 exec_lo, exec_lo, s43
	s_delay_alu instid0(SALU_CYCLE_1)
	s_and_b32 s2, s2, exec_lo
	s_and_not1_saveexec_b32 s40, s40
	s_cbranch_execnz .LBB143_326
.LBB143_306:
	s_or_b32 exec_lo, exec_lo, s40
	s_and_saveexec_b32 s40, s2
	s_cbranch_execz .LBB143_308
.LBB143_307:
	v_and_b32_e32 v6, 0xffff, v6
	s_and_not1_b32 s2, s38, exec_lo
	s_delay_alu instid0(VALU_DEP_1) | instskip(NEXT) | instid1(VALU_DEP_1)
	v_and_b32_e32 v7, 3, v6
	v_clz_i32_u32_e32 v8, v7
	s_delay_alu instid0(VALU_DEP_1) | instskip(NEXT) | instid1(VALU_DEP_1)
	v_min_u32_e32 v8, 32, v8
	v_subrev_nc_u32_e32 v9, 29, v8
	v_sub_nc_u32_e32 v8, 30, v8
	s_delay_alu instid0(VALU_DEP_2) | instskip(SKIP_1) | instid1(VALU_DEP_2)
	v_lshlrev_b32_e32 v9, v9, v6
	v_bfe_u32 v6, v6, 2, 5
	v_and_b32_e32 v9, 3, v9
	s_delay_alu instid0(VALU_DEP_2) | instskip(NEXT) | instid1(VALU_DEP_2)
	v_cmp_eq_u32_e32 vcc_lo, 0, v6
	v_dual_cndmask_b32 v6, v6, v8 :: v_dual_cndmask_b32 v7, v7, v9
	s_delay_alu instid0(VALU_DEP_1) | instskip(NEXT) | instid1(VALU_DEP_2)
	v_lshl_add_u32 v6, v6, 23, 0x37800000
	v_lshlrev_b32_e32 v7, 21, v7
	s_delay_alu instid0(VALU_DEP_1) | instskip(NEXT) | instid1(VALU_DEP_1)
	v_and_or_b32 v6, 0x7f800000, v6, v7
	v_cmp_ne_u32_e32 vcc_lo, 0, v6
	s_and_b32 s38, vcc_lo, exec_lo
	s_delay_alu instid0(SALU_CYCLE_1)
	s_or_b32 s38, s2, s38
.LBB143_308:
	s_or_b32 exec_lo, exec_lo, s40
	s_mov_b32 s2, 0
	s_branch .LBB143_314
.LBB143_309:
	s_mov_b32 s40, -1
                                        ; implicit-def: $sgpr38
	s_branch .LBB143_320
.LBB143_310:
	s_and_not1_saveexec_b32 s40, s40
	s_cbranch_execz .LBB143_293
.LBB143_311:
	v_cmp_ne_u16_e32 vcc_lo, 0, v6
	s_and_not1_b32 s2, s2, exec_lo
	s_and_not1_b32 s38, s38, exec_lo
	s_and_b32 s43, vcc_lo, exec_lo
	s_delay_alu instid0(SALU_CYCLE_1)
	s_or_b32 s2, s2, s43
	s_or_b32 exec_lo, exec_lo, s40
	s_and_saveexec_b32 s40, s2
	s_cbranch_execnz .LBB143_294
	s_branch .LBB143_295
.LBB143_312:
	s_mov_b32 s2, -1
                                        ; implicit-def: $sgpr38
	s_branch .LBB143_317
.LBB143_313:
	s_mov_b32 s2, -1
                                        ; implicit-def: $sgpr38
.LBB143_314:
	s_delay_alu instid0(SALU_CYCLE_1)
	s_and_b32 vcc_lo, exec_lo, s2
	s_cbranch_vccz .LBB143_316
; %bb.315:
	global_load_u8 v6, v[1:2], off
	s_and_not1_b32 s38, s38, exec_lo
	s_waitcnt vmcnt(0)
	v_lshlrev_b32_e32 v6, 24, v6
	s_delay_alu instid0(VALU_DEP_1) | instskip(NEXT) | instid1(VALU_DEP_1)
	v_and_b32_e32 v6, 0x7f000000, v6
	v_clz_i32_u32_e32 v7, v6
	v_add_nc_u32_e32 v9, 0x1000000, v6
	v_cmp_ne_u32_e32 vcc_lo, 0, v6
	s_delay_alu instid0(VALU_DEP_3) | instskip(NEXT) | instid1(VALU_DEP_3)
	v_min_u32_e32 v7, 32, v7
	v_ashrrev_i32_e32 v9, 8, v9
	s_delay_alu instid0(VALU_DEP_2) | instskip(NEXT) | instid1(VALU_DEP_1)
	v_sub_nc_u32_e64 v7, v7, 4 clamp
	v_lshlrev_b32_e32 v8, v7, v6
	v_lshlrev_b32_e32 v7, 23, v7
	s_delay_alu instid0(VALU_DEP_2) | instskip(NEXT) | instid1(VALU_DEP_1)
	v_lshrrev_b32_e32 v8, 4, v8
	v_sub_nc_u32_e32 v7, v8, v7
	v_and_b32_e32 v8, 0x7f800000, v9
	s_delay_alu instid0(VALU_DEP_2) | instskip(NEXT) | instid1(VALU_DEP_1)
	v_add_nc_u32_e32 v7, 0x3c000000, v7
	v_and_or_b32 v7, 0x7ff00000, v7, v8
	s_delay_alu instid0(VALU_DEP_1) | instskip(NEXT) | instid1(VALU_DEP_1)
	v_cmp_ne_u32_e64 s2, 0, v7
	s_and_b32 s2, vcc_lo, s2
	s_delay_alu instid0(SALU_CYCLE_1) | instskip(NEXT) | instid1(SALU_CYCLE_1)
	s_and_b32 s2, s2, exec_lo
	s_or_b32 s38, s38, s2
.LBB143_316:
	s_mov_b32 s2, 0
.LBB143_317:
	s_delay_alu instid0(SALU_CYCLE_1)
	s_and_not1_b32 vcc_lo, exec_lo, s2
	s_cbranch_vccnz .LBB143_319
; %bb.318:
	global_load_u8 v6, v[1:2], off
	s_and_not1_b32 s2, s38, exec_lo
	s_waitcnt vmcnt(0)
	v_lshlrev_b32_e32 v7, 25, v6
	v_lshlrev_b32_e32 v6, 8, v6
	s_delay_alu instid0(VALU_DEP_2) | instskip(NEXT) | instid1(VALU_DEP_2)
	v_lshrrev_b32_e32 v8, 4, v7
	v_and_or_b32 v6, 0x7f00, v6, 0.5
	s_delay_alu instid0(VALU_DEP_2) | instskip(NEXT) | instid1(VALU_DEP_2)
	v_or_b32_e32 v8, 0x70000000, v8
	v_add_f32_e32 v6, -0.5, v6
	s_delay_alu instid0(VALU_DEP_2) | instskip(SKIP_1) | instid1(VALU_DEP_2)
	v_mul_f32_e32 v8, 0x7800000, v8
	v_cmp_gt_u32_e32 vcc_lo, 0x8000000, v7
	v_cndmask_b32_e32 v6, v8, v6, vcc_lo
	s_delay_alu instid0(VALU_DEP_1) | instskip(SKIP_1) | instid1(SALU_CYCLE_1)
	v_cmp_neq_f32_e32 vcc_lo, 0, v6
	s_and_b32 s38, vcc_lo, exec_lo
	s_or_b32 s38, s2, s38
.LBB143_319:
	s_mov_b32 s40, 0
	s_mov_b32 s2, -1
.LBB143_320:
	s_and_not1_b32 vcc_lo, exec_lo, s40
	s_cbranch_vccnz .LBB143_333
; %bb.321:
	v_cmp_lt_i16_e32 vcc_lo, 14, v3
	s_cbranch_vccz .LBB143_324
; %bb.322:
	v_cmp_eq_u16_e32 vcc_lo, 15, v3
	s_cbranch_vccz .LBB143_327
; %bb.323:
	global_load_u16 v6, v[1:2], off
	s_mov_b32 s39, 0
	s_mov_b32 s2, -1
	s_waitcnt vmcnt(0)
	v_and_b32_e32 v6, 0x7fff, v6
	s_delay_alu instid0(VALU_DEP_1)
	v_cmp_ne_u16_e32 vcc_lo, 0, v6
	s_and_b32 s38, vcc_lo, exec_lo
	s_branch .LBB143_328
.LBB143_324:
	s_mov_b32 s40, -1
                                        ; implicit-def: $sgpr38
	s_branch .LBB143_329
.LBB143_325:
	s_and_not1_saveexec_b32 s40, s40
	s_cbranch_execz .LBB143_306
.LBB143_326:
	v_cmp_ne_u16_e32 vcc_lo, 0, v6
	s_and_not1_b32 s2, s2, exec_lo
	s_and_not1_b32 s38, s38, exec_lo
	s_and_b32 s43, vcc_lo, exec_lo
	s_delay_alu instid0(SALU_CYCLE_1)
	s_or_b32 s2, s2, s43
	s_or_b32 exec_lo, exec_lo, s40
	s_and_saveexec_b32 s40, s2
	s_cbranch_execnz .LBB143_307
	s_branch .LBB143_308
.LBB143_327:
	s_mov_b32 s39, -1
                                        ; implicit-def: $sgpr38
.LBB143_328:
	s_mov_b32 s40, 0
.LBB143_329:
	s_delay_alu instid0(SALU_CYCLE_1)
	s_and_b32 vcc_lo, exec_lo, s40
	s_cbranch_vccz .LBB143_333
; %bb.330:
	v_cmp_eq_u16_e32 vcc_lo, 11, v3
	s_cbranch_vccz .LBB143_332
; %bb.331:
	global_load_u8 v6, v[1:2], off
	s_mov_b32 s39, 0
	s_mov_b32 s2, -1
	s_waitcnt vmcnt(0)
	v_cmp_ne_u16_e32 vcc_lo, 0, v6
	s_and_b32 s38, vcc_lo, exec_lo
	s_branch .LBB143_333
.LBB143_332:
	s_mov_b32 s39, -1
                                        ; implicit-def: $sgpr38
.LBB143_333:
	s_branch .LBB143_30
.LBB143_334:
	v_cmp_gt_i16_e32 vcc_lo, 5, v3
	s_cbranch_vccnz .LBB143_339
; %bb.335:
	v_cmp_gt_i16_e32 vcc_lo, 8, v3
	s_cbranch_vccnz .LBB143_340
; %bb.336:
	;; [unrolled: 3-line block ×3, first 2 shown]
	v_cmp_lt_i16_e32 vcc_lo, 9, v3
	s_cbranch_vccz .LBB143_342
; %bb.338:
	global_load_b128 v[6:9], v[1:2], off
	s_waitcnt vmcnt(0)
	v_cmp_neq_f64_e32 vcc_lo, 0, v[6:7]
	v_cmp_neq_f64_e64 s2, 0, v[8:9]
	s_delay_alu instid0(VALU_DEP_1)
	s_or_b32 s38, vcc_lo, s2
	s_mov_b32 s2, 0
	s_and_b32 s38, s38, exec_lo
	s_branch .LBB143_343
.LBB143_339:
	s_mov_b32 s2, -1
                                        ; implicit-def: $sgpr38
	s_branch .LBB143_361
.LBB143_340:
	s_mov_b32 s2, -1
                                        ; implicit-def: $sgpr38
	s_branch .LBB143_349
.LBB143_341:
	s_mov_b32 s2, -1
                                        ; implicit-def: $sgpr38
	s_branch .LBB143_346
.LBB143_342:
	s_mov_b32 s2, -1
                                        ; implicit-def: $sgpr38
.LBB143_343:
	s_delay_alu instid0(SALU_CYCLE_1)
	s_and_not1_b32 vcc_lo, exec_lo, s2
	s_cbranch_vccnz .LBB143_345
; %bb.344:
	global_load_b64 v[6:7], v[1:2], off
	s_and_not1_b32 s2, s38, exec_lo
	s_waitcnt vmcnt(0)
	v_or_b32_e32 v6, v6, v7
	s_delay_alu instid0(VALU_DEP_1) | instskip(NEXT) | instid1(VALU_DEP_1)
	v_and_b32_e32 v6, 0x7fffffff, v6
	v_cmp_ne_u32_e32 vcc_lo, 0, v6
	s_and_b32 s38, vcc_lo, exec_lo
	s_delay_alu instid0(SALU_CYCLE_1)
	s_or_b32 s38, s2, s38
.LBB143_345:
	s_mov_b32 s2, 0
.LBB143_346:
	s_delay_alu instid0(SALU_CYCLE_1)
	s_and_not1_b32 vcc_lo, exec_lo, s2
	s_cbranch_vccnz .LBB143_348
; %bb.347:
	global_load_b32 v6, v[1:2], off
	s_and_not1_b32 s2, s38, exec_lo
	s_waitcnt vmcnt(0)
	v_and_b32_e32 v6, 0x7fff7fff, v6
	s_delay_alu instid0(VALU_DEP_1) | instskip(SKIP_1) | instid1(SALU_CYCLE_1)
	v_cmp_ne_u32_e32 vcc_lo, 0, v6
	s_and_b32 s38, vcc_lo, exec_lo
	s_or_b32 s38, s2, s38
.LBB143_348:
	s_mov_b32 s2, 0
.LBB143_349:
	s_delay_alu instid0(SALU_CYCLE_1)
	s_and_not1_b32 vcc_lo, exec_lo, s2
	s_cbranch_vccnz .LBB143_360
; %bb.350:
	v_cmp_gt_i16_e32 vcc_lo, 6, v3
	s_cbranch_vccnz .LBB143_353
; %bb.351:
	v_cmp_lt_i16_e32 vcc_lo, 6, v3
	s_cbranch_vccz .LBB143_354
; %bb.352:
	global_load_b64 v[6:7], v[1:2], off
	s_mov_b32 s2, 0
	s_waitcnt vmcnt(0)
	v_cmp_neq_f64_e32 vcc_lo, 0, v[6:7]
	s_and_b32 s38, vcc_lo, exec_lo
	s_branch .LBB143_355
.LBB143_353:
	s_mov_b32 s2, -1
                                        ; implicit-def: $sgpr38
	s_branch .LBB143_358
.LBB143_354:
	s_mov_b32 s2, -1
                                        ; implicit-def: $sgpr38
.LBB143_355:
	s_delay_alu instid0(SALU_CYCLE_1)
	s_and_not1_b32 vcc_lo, exec_lo, s2
	s_cbranch_vccnz .LBB143_357
; %bb.356:
	global_load_b32 v6, v[1:2], off
	s_and_not1_b32 s2, s38, exec_lo
	s_waitcnt vmcnt(0)
	v_cmp_neq_f32_e32 vcc_lo, 0, v6
	s_and_b32 s38, vcc_lo, exec_lo
	s_delay_alu instid0(SALU_CYCLE_1)
	s_or_b32 s38, s2, s38
.LBB143_357:
	s_mov_b32 s2, 0
.LBB143_358:
	s_delay_alu instid0(SALU_CYCLE_1)
	s_and_not1_b32 vcc_lo, exec_lo, s2
	s_cbranch_vccnz .LBB143_360
; %bb.359:
	global_load_u16 v6, v[1:2], off
	s_and_not1_b32 s2, s38, exec_lo
	s_waitcnt vmcnt(0)
	v_and_b32_e32 v6, 0x7fff, v6
	s_delay_alu instid0(VALU_DEP_1) | instskip(SKIP_1) | instid1(SALU_CYCLE_1)
	v_cmp_ne_u16_e32 vcc_lo, 0, v6
	s_and_b32 s38, vcc_lo, exec_lo
	s_or_b32 s38, s2, s38
.LBB143_360:
	s_mov_b32 s2, 0
.LBB143_361:
	s_delay_alu instid0(SALU_CYCLE_1)
	s_and_not1_b32 vcc_lo, exec_lo, s2
	s_cbranch_vccnz .LBB143_381
; %bb.362:
	v_cmp_gt_i16_e32 vcc_lo, 2, v3
	s_cbranch_vccnz .LBB143_366
; %bb.363:
	v_cmp_gt_i16_e32 vcc_lo, 3, v3
	s_cbranch_vccnz .LBB143_367
; %bb.364:
	v_cmp_lt_i16_e32 vcc_lo, 3, v3
	s_cbranch_vccz .LBB143_368
; %bb.365:
	global_load_b64 v[6:7], v[1:2], off
	s_mov_b32 s2, 0
	s_waitcnt vmcnt(0)
	v_cmp_ne_u64_e32 vcc_lo, 0, v[6:7]
	s_and_b32 s38, vcc_lo, exec_lo
	s_branch .LBB143_369
.LBB143_366:
	s_mov_b32 s2, -1
                                        ; implicit-def: $sgpr38
	s_branch .LBB143_375
.LBB143_367:
	s_mov_b32 s2, -1
                                        ; implicit-def: $sgpr38
	s_branch .LBB143_372
.LBB143_368:
	s_mov_b32 s2, -1
                                        ; implicit-def: $sgpr38
.LBB143_369:
	s_delay_alu instid0(SALU_CYCLE_1)
	s_and_not1_b32 vcc_lo, exec_lo, s2
	s_cbranch_vccnz .LBB143_371
; %bb.370:
	global_load_b32 v6, v[1:2], off
	s_and_not1_b32 s2, s38, exec_lo
	s_waitcnt vmcnt(0)
	v_cmp_ne_u32_e32 vcc_lo, 0, v6
	s_and_b32 s38, vcc_lo, exec_lo
	s_delay_alu instid0(SALU_CYCLE_1)
	s_or_b32 s38, s2, s38
.LBB143_371:
	s_mov_b32 s2, 0
.LBB143_372:
	s_delay_alu instid0(SALU_CYCLE_1)
	s_and_not1_b32 vcc_lo, exec_lo, s2
	s_cbranch_vccnz .LBB143_374
; %bb.373:
	global_load_u16 v6, v[1:2], off
	s_and_not1_b32 s2, s38, exec_lo
	s_waitcnt vmcnt(0)
	v_cmp_ne_u16_e32 vcc_lo, 0, v6
	s_and_b32 s38, vcc_lo, exec_lo
	s_delay_alu instid0(SALU_CYCLE_1)
	s_or_b32 s38, s2, s38
.LBB143_374:
	s_mov_b32 s2, 0
.LBB143_375:
	s_delay_alu instid0(SALU_CYCLE_1)
	s_and_not1_b32 vcc_lo, exec_lo, s2
	s_cbranch_vccnz .LBB143_381
; %bb.376:
	v_cmp_lt_i16_e32 vcc_lo, 0, v3
	s_mov_b32 s2, 0
	s_cbranch_vccz .LBB143_378
; %bb.377:
	global_load_u8 v3, v[1:2], off
	s_waitcnt vmcnt(0)
	v_cmp_ne_u16_e32 vcc_lo, 0, v3
	s_and_b32 s38, vcc_lo, exec_lo
	s_branch .LBB143_379
.LBB143_378:
	s_mov_b32 s2, -1
                                        ; implicit-def: $sgpr38
.LBB143_379:
	s_delay_alu instid0(SALU_CYCLE_1)
	s_and_not1_b32 vcc_lo, exec_lo, s2
	s_cbranch_vccnz .LBB143_381
; %bb.380:
	global_load_u8 v1, v[1:2], off
	s_and_not1_b32 s2, s38, exec_lo
	s_waitcnt vmcnt(0)
	v_cmp_ne_u16_e32 vcc_lo, 0, v1
	s_and_b32 s38, vcc_lo, exec_lo
	s_delay_alu instid0(SALU_CYCLE_1)
	s_or_b32 s38, s2, s38
.LBB143_381:
	s_branch .LBB143_31
.LBB143_382:
	s_mov_b32 s38, 0
.LBB143_383:
	s_mov_b32 s2, 0
                                        ; implicit-def: $vgpr4
.LBB143_384:
	s_and_b32 s38, s38, exec_lo
	s_and_b32 s39, s39, exec_lo
	;; [unrolled: 1-line block ×3, first 2 shown]
	s_or_not1_b32 s3, s2, exec_lo
.LBB143_385:
	s_or_b32 exec_lo, exec_lo, s41
	s_mov_b32 s43, 0
	s_mov_b32 s2, 0
                                        ; implicit-def: $vgpr6
                                        ; implicit-def: $vgpr2_vgpr3
                                        ; implicit-def: $vgpr0
                                        ; implicit-def: $vgpr1
                                        ; implicit-def: $vgpr5
	s_and_saveexec_b32 s41, s3
	s_cbranch_execz .LBB143_1275
; %bb.386:
	s_mov_b32 s47, -1
	s_mov_b32 s42, s40
	s_mov_b32 s44, s39
	s_mov_b32 s43, s38
	s_mov_b32 s45, exec_lo
	v_cmpx_gt_i32_e64 s36, v4
	s_cbranch_execz .LBB143_707
; %bb.387:
	s_and_not1_b32 vcc_lo, exec_lo, s29
	s_cbranch_vccnz .LBB143_393
; %bb.388:
	v_dual_mov_b32 v0, 0 :: v_dual_mov_b32 v1, 0
	v_mov_b32_e32 v2, 0
	s_and_not1_b32 vcc_lo, exec_lo, s37
	s_mov_b32 s42, 0
	s_cbranch_vccnz .LBB143_394
; %bb.389:
	s_add_i32 s2, s35, 1
	v_dual_mov_b32 v1, 0 :: v_dual_mov_b32 v2, 0
	v_dual_mov_b32 v0, 0 :: v_dual_mov_b32 v3, v4
	s_and_b32 s43, s2, 30
	s_add_u32 s2, s20, 0xffffffec
	s_addc_u32 s3, s21, -1
	s_set_inst_prefetch_distance 0x1
	.p2align	6
.LBB143_390:                            ; =>This Inner Loop Header: Depth=1
	s_clause 0x2
	s_load_b128 s[48:51], s[2:3], 0x18
	s_load_b64 s[46:47], s[2:3], 0x28
	s_load_b128 s[52:55], s[2:3], 0xd8
	s_waitcnt vmcnt(0) lgkmcnt(0)
	v_mul_hi_u32 v5, s49, v3
	s_delay_alu instid0(VALU_DEP_1) | instskip(NEXT) | instid1(VALU_DEP_1)
	v_add_nc_u32_e32 v5, v3, v5
	v_lshrrev_b32_e32 v5, s50, v5
	s_delay_alu instid0(VALU_DEP_1)
	v_mul_hi_u32 v6, s46, v5
	v_mul_lo_u32 v7, v5, s48
	s_load_b64 s[48:49], s[2:3], 0xe8
	s_add_u32 s2, s2, 24
	s_addc_u32 s3, s3, 0
	s_add_i32 s43, s43, -2
	s_delay_alu instid0(SALU_CYCLE_1) | instskip(NEXT) | instid1(VALU_DEP_2)
	s_cmp_eq_u32 s43, 0
	v_add_nc_u32_e32 v6, v5, v6
	s_delay_alu instid0(VALU_DEP_2) | instskip(NEXT) | instid1(VALU_DEP_2)
	v_sub_nc_u32_e32 v7, v3, v7
	v_lshrrev_b32_e32 v3, s47, v6
	s_delay_alu instid0(VALU_DEP_2) | instskip(NEXT) | instid1(VALU_DEP_2)
	v_mul_lo_u32 v8, v7, s52
	v_mul_lo_u32 v6, v3, s51
	s_delay_alu instid0(VALU_DEP_1) | instskip(SKIP_2) | instid1(VALU_DEP_3)
	v_sub_nc_u32_e32 v5, v5, v6
	v_mul_lo_u32 v6, v7, s53
	v_mul_lo_u32 v7, v7, s54
	;; [unrolled: 1-line block ×3, first 2 shown]
	s_waitcnt lgkmcnt(0)
	v_mul_lo_u32 v10, v5, s48
	v_mul_lo_u32 v5, v5, s49
	s_delay_alu instid0(VALU_DEP_3) | instskip(NEXT) | instid1(VALU_DEP_3)
	v_add3_u32 v0, v8, v0, v9
	v_add3_u32 v2, v6, v2, v10
	s_delay_alu instid0(VALU_DEP_3)
	v_add3_u32 v1, v7, v1, v5
	s_cbranch_scc0 .LBB143_390
; %bb.391:
	s_set_inst_prefetch_distance 0x2
	s_bitcmp1_b32 s35, 0
	s_cselect_b32 s43, -1, 0
	s_delay_alu instid0(SALU_CYCLE_1)
	s_and_b32 vcc_lo, exec_lo, s43
	s_cbranch_vccnz .LBB143_394
; %bb.392:
	s_clause 0x3
	s_load_b64 s[46:47], s[2:3], 0x18
	s_load_b32 s43, s[2:3], 0x20
	s_load_b64 s[48:49], s[2:3], 0xd8
	s_load_b32 s2, s[2:3], 0xe0
	s_waitcnt lgkmcnt(0)
	v_mul_hi_u32 v5, s47, v3
	s_delay_alu instid0(VALU_DEP_1) | instskip(NEXT) | instid1(VALU_DEP_1)
	v_add_nc_u32_e32 v5, v3, v5
	v_lshrrev_b32_e32 v5, s43, v5
	s_delay_alu instid0(VALU_DEP_1) | instskip(NEXT) | instid1(VALU_DEP_1)
	v_mul_lo_u32 v5, v5, s46
	v_sub_nc_u32_e32 v3, v3, v5
	s_delay_alu instid0(VALU_DEP_1) | instskip(SKIP_2) | instid1(VALU_DEP_3)
	v_mad_u64_u32 v[5:6], null, v3, s48, v[0:1]
	v_mad_u64_u32 v[6:7], null, v3, s49, v[2:3]
	v_mad_u64_u32 v[7:8], null, v3, s2, v[1:2]
	v_mov_b32_e32 v0, v5
	s_delay_alu instid0(VALU_DEP_2)
	v_dual_mov_b32 v2, v6 :: v_dual_mov_b32 v1, v7
	s_branch .LBB143_394
.LBB143_393:
	s_mov_b32 s42, -1
                                        ; implicit-def: $vgpr0
                                        ; implicit-def: $vgpr2
                                        ; implicit-def: $vgpr1
.LBB143_394:
	s_delay_alu instid0(SALU_CYCLE_1)
	s_and_not1_b32 vcc_lo, exec_lo, s42
	s_cbranch_vccnz .LBB143_397
; %bb.395:
	v_mul_hi_u32 v0, s17, v4
	s_and_not1_b32 vcc_lo, exec_lo, s34
	s_delay_alu instid0(VALU_DEP_1) | instskip(NEXT) | instid1(VALU_DEP_1)
	v_add_nc_u32_e32 v0, v4, v0
	v_lshrrev_b32_e32 v3, s18, v0
	s_delay_alu instid0(VALU_DEP_1) | instskip(NEXT) | instid1(VALU_DEP_1)
	v_mul_lo_u32 v0, v3, s16
	v_sub_nc_u32_e32 v1, v4, v0
	s_delay_alu instid0(VALU_DEP_1)
	v_mul_lo_u32 v0, v1, s12
	v_mul_lo_u32 v2, v1, s13
	;; [unrolled: 1-line block ×3, first 2 shown]
	s_cbranch_vccnz .LBB143_397
; %bb.396:
	s_waitcnt vmcnt(0)
	v_mul_hi_u32 v5, s24, v3
	s_delay_alu instid0(VALU_DEP_1) | instskip(NEXT) | instid1(VALU_DEP_1)
	v_add_nc_u32_e32 v5, v3, v5
	v_lshrrev_b32_e32 v5, s25, v5
	s_delay_alu instid0(VALU_DEP_1) | instskip(NEXT) | instid1(VALU_DEP_1)
	v_mul_lo_u32 v5, v5, s19
	v_sub_nc_u32_e32 v3, v3, v5
	s_delay_alu instid0(VALU_DEP_1) | instskip(SKIP_2) | instid1(VALU_DEP_3)
	v_mad_u64_u32 v[5:6], null, v3, s15, v[0:1]
	v_mad_u64_u32 v[6:7], null, v3, s22, v[2:3]
	v_mad_u64_u32 v[7:8], null, v3, s23, v[1:2]
	v_mov_b32_e32 v0, v5
	s_delay_alu instid0(VALU_DEP_2)
	v_dual_mov_b32 v2, v6 :: v_dual_mov_b32 v1, v7
.LBB143_397:
	v_and_b32_e64 v6, 0xff, s33
	s_delay_alu instid0(VALU_DEP_2) | instskip(NEXT) | instid1(VALU_DEP_1)
	v_add_co_u32 v2, s2, s6, v2
	v_add_co_ci_u32_e64 v3, null, s7, 0, s2
	s_delay_alu instid0(VALU_DEP_3)
	v_cmp_gt_i16_e32 vcc_lo, 11, v6
	s_mov_b32 s2, 0
	s_cbranch_vccnz .LBB143_404
; %bb.398:
	v_cmp_lt_i16_e32 vcc_lo, 25, v6
	s_cbranch_vccz .LBB143_413
; %bb.399:
	v_cmp_lt_i16_e32 vcc_lo, 28, v6
	s_cbranch_vccz .LBB143_415
	;; [unrolled: 3-line block ×4, first 2 shown]
; %bb.402:
	v_cmp_eq_u16_e32 vcc_lo, 46, v6
	s_mov_b32 s42, 0
	s_cbranch_vccz .LBB143_423
; %bb.403:
	global_load_b32 v5, v[2:3], off
	s_mov_b32 s2, -1
	s_mov_b32 s3, 0
	s_branch .LBB143_425
.LBB143_404:
	s_mov_b32 s3, s40
                                        ; implicit-def: $vgpr5
	s_cbranch_execnz .LBB143_491
.LBB143_405:
	s_and_not1_b32 vcc_lo, exec_lo, s2
	s_cbranch_vccnz .LBB143_539
.LBB143_406:
	v_and_b32_e64 v3, 0xff, s31
	v_add_co_u32 v1, s2, s8, v1
	s_delay_alu instid0(VALU_DEP_1) | instskip(NEXT) | instid1(VALU_DEP_3)
	v_add_co_ci_u32_e64 v2, null, s9, 0, s2
	v_cmp_gt_i16_e32 vcc_lo, 11, v3
	s_mov_b32 s2, 0
	s_cbranch_vccnz .LBB143_414
; %bb.407:
	v_cmp_lt_i16_e32 vcc_lo, 25, v3
	s_cbranch_vccz .LBB143_416
; %bb.408:
	v_cmp_lt_i16_e32 vcc_lo, 28, v3
	s_cbranch_vccz .LBB143_418
; %bb.409:
	v_cmp_lt_i16_e32 vcc_lo, 43, v3
	s_cbranch_vccz .LBB143_420
; %bb.410:
	v_cmp_lt_i16_e32 vcc_lo, 45, v3
	s_cbranch_vccz .LBB143_428
; %bb.411:
	v_cmp_eq_u16_e32 vcc_lo, 46, v3
	s_mov_b32 s44, 0
	s_cbranch_vccz .LBB143_542
; %bb.412:
	global_load_b32 v6, v[1:2], off
	s_mov_b32 s42, 0
	s_mov_b32 s2, -1
	s_waitcnt vmcnt(0)
	v_and_b32_e32 v6, 0x7fff7fff, v6
	s_delay_alu instid0(VALU_DEP_1)
	v_cmp_ne_u32_e32 vcc_lo, 0, v6
	s_and_b32 s43, vcc_lo, exec_lo
	s_branch .LBB143_544
.LBB143_413:
	s_mov_b32 s42, -1
	s_mov_b32 s3, s40
                                        ; implicit-def: $vgpr5
	s_branch .LBB143_455
.LBB143_414:
	s_mov_b32 s44, -1
	s_mov_b32 s42, s39
                                        ; implicit-def: $sgpr43
	s_branch .LBB143_607
.LBB143_415:
	s_mov_b32 s42, -1
	s_mov_b32 s3, s40
                                        ; implicit-def: $vgpr5
	s_branch .LBB143_436
.LBB143_416:
	s_mov_b32 s44, -1
	s_mov_b32 s42, s39
                                        ; implicit-def: $sgpr43
	s_branch .LBB143_571
.LBB143_417:
	s_mov_b32 s42, -1
	s_mov_b32 s3, s40
                                        ; implicit-def: $vgpr5
	s_branch .LBB143_431
.LBB143_418:
	s_mov_b32 s44, -1
	s_mov_b32 s42, s39
                                        ; implicit-def: $sgpr43
	s_branch .LBB143_552
.LBB143_419:
	s_mov_b32 s42, -1
	s_mov_b32 s3, s40
	s_branch .LBB143_424
.LBB143_420:
	s_mov_b32 s44, -1
	s_mov_b32 s42, s39
                                        ; implicit-def: $sgpr43
	s_branch .LBB143_547
.LBB143_421:
	s_or_saveexec_b32 s40, s40
                                        ; implicit-def: $sgpr43
	s_delay_alu instid0(SALU_CYCLE_1)
	s_xor_b32 exec_lo, exec_lo, s40
	s_cbranch_execz .LBB143_59
.LBB143_422:
	v_add_f32_e64 v6, 0x46000000, |v7|
	s_and_not1_b32 s39, s39, exec_lo
	s_mov_b32 s43, 0
	s_delay_alu instid0(VALU_DEP_1) | instskip(NEXT) | instid1(VALU_DEP_1)
	v_and_b32_e32 v6, 0xff, v6
	v_cmp_ne_u32_e32 vcc_lo, 0, v6
	s_and_b32 s44, vcc_lo, exec_lo
	s_delay_alu instid0(SALU_CYCLE_1)
	s_or_b32 s39, s39, s44
	s_or_b32 exec_lo, exec_lo, s40
	v_mov_b32_e32 v8, s43
	s_and_saveexec_b32 s40, s39
	s_cbranch_execnz .LBB143_60
	s_branch .LBB143_61
.LBB143_423:
	s_mov_b32 s3, -1
.LBB143_424:
                                        ; implicit-def: $vgpr5
.LBB143_425:
	s_and_b32 vcc_lo, exec_lo, s42
	s_cbranch_vccz .LBB143_430
; %bb.426:
	v_cmp_eq_u16_e32 vcc_lo, 44, v6
	s_cbranch_vccz .LBB143_429
; %bb.427:
	global_load_u8 v5, v[2:3], off
	s_mov_b32 s3, 0
	s_mov_b32 s2, -1
	s_waitcnt vmcnt(0)
	v_lshlrev_b32_e32 v7, 23, v5
	v_cmp_ne_u32_e32 vcc_lo, 0xff, v5
	s_delay_alu instid0(VALU_DEP_2) | instskip(SKIP_1) | instid1(VALU_DEP_2)
	v_cndmask_b32_e32 v7, 0x7f800001, v7, vcc_lo
	v_cmp_ne_u32_e32 vcc_lo, 0, v5
	v_cndmask_b32_e32 v5, 0x400000, v7, vcc_lo
	s_delay_alu instid0(VALU_DEP_1) | instskip(SKIP_1) | instid1(VALU_DEP_2)
	v_add_nc_u32_e32 v7, 0x7fff, v5
	v_cmp_o_f32_e32 vcc_lo, v5, v5
	v_lshrrev_b32_e32 v7, 16, v7
	s_delay_alu instid0(VALU_DEP_1)
	v_cndmask_b32_e32 v5, 0x7fc0, v7, vcc_lo
	s_branch .LBB143_430
.LBB143_428:
	s_mov_b32 s44, -1
	s_mov_b32 s42, s39
	s_branch .LBB143_543
.LBB143_429:
	s_mov_b32 s3, -1
                                        ; implicit-def: $vgpr5
.LBB143_430:
	s_mov_b32 s42, 0
.LBB143_431:
	s_delay_alu instid0(SALU_CYCLE_1)
	s_and_b32 vcc_lo, exec_lo, s42
	s_cbranch_vccz .LBB143_435
; %bb.432:
	v_cmp_eq_u16_e32 vcc_lo, 29, v6
	s_cbranch_vccz .LBB143_434
; %bb.433:
	global_load_b64 v[7:8], v[2:3], off
	s_mov_b32 s2, -1
	s_mov_b32 s3, 0
	s_mov_b32 s42, 0
	s_waitcnt vmcnt(0)
	v_clz_i32_u32_e32 v5, v8
	s_delay_alu instid0(VALU_DEP_1) | instskip(NEXT) | instid1(VALU_DEP_1)
	v_min_u32_e32 v5, 32, v5
	v_lshlrev_b64 v[7:8], v5, v[7:8]
	v_sub_nc_u32_e32 v5, 32, v5
	s_delay_alu instid0(VALU_DEP_2) | instskip(NEXT) | instid1(VALU_DEP_1)
	v_min_u32_e32 v7, 1, v7
	v_or_b32_e32 v7, v8, v7
	s_delay_alu instid0(VALU_DEP_1) | instskip(NEXT) | instid1(VALU_DEP_1)
	v_cvt_f32_u32_e32 v7, v7
	v_ldexp_f32 v5, v7, v5
	s_delay_alu instid0(VALU_DEP_1) | instskip(NEXT) | instid1(VALU_DEP_1)
	v_bfe_u32 v7, v5, 16, 1
	v_add3_u32 v5, v5, v7, 0x7fff
	s_delay_alu instid0(VALU_DEP_1)
	v_lshrrev_b32_e32 v5, 16, v5
	s_branch .LBB143_436
.LBB143_434:
	s_mov_b32 s3, -1
                                        ; implicit-def: $vgpr5
.LBB143_435:
	s_mov_b32 s42, 0
.LBB143_436:
	s_delay_alu instid0(SALU_CYCLE_1)
	s_and_b32 vcc_lo, exec_lo, s42
	s_cbranch_vccz .LBB143_454
; %bb.437:
	v_cmp_gt_i16_e32 vcc_lo, 27, v6
	s_cbranch_vccnz .LBB143_440
; %bb.438:
	v_cmp_lt_i16_e32 vcc_lo, 27, v6
	s_cbranch_vccz .LBB143_441
; %bb.439:
	global_load_b32 v5, v[2:3], off
	s_mov_b32 s2, 0
	s_waitcnt vmcnt(0)
	v_cvt_f32_u32_e32 v5, v5
	s_delay_alu instid0(VALU_DEP_1) | instskip(NEXT) | instid1(VALU_DEP_1)
	v_bfe_u32 v7, v5, 16, 1
	v_add3_u32 v5, v5, v7, 0x7fff
	s_delay_alu instid0(VALU_DEP_1)
	v_lshrrev_b32_e32 v5, 16, v5
	s_branch .LBB143_442
.LBB143_440:
	s_mov_b32 s2, -1
                                        ; implicit-def: $vgpr5
	s_branch .LBB143_445
.LBB143_441:
	s_mov_b32 s2, -1
                                        ; implicit-def: $vgpr5
.LBB143_442:
	s_delay_alu instid0(SALU_CYCLE_1)
	s_and_not1_b32 vcc_lo, exec_lo, s2
	s_cbranch_vccnz .LBB143_444
; %bb.443:
	global_load_u16 v5, v[2:3], off
	s_waitcnt vmcnt(0)
	v_cvt_f32_u32_e32 v5, v5
	s_delay_alu instid0(VALU_DEP_1) | instskip(NEXT) | instid1(VALU_DEP_1)
	v_bfe_u32 v7, v5, 16, 1
	v_add3_u32 v5, v5, v7, 0x7fff
	s_delay_alu instid0(VALU_DEP_1)
	v_lshrrev_b32_e32 v5, 16, v5
.LBB143_444:
	s_mov_b32 s2, 0
.LBB143_445:
	s_delay_alu instid0(SALU_CYCLE_1)
	s_and_not1_b32 vcc_lo, exec_lo, s2
	s_cbranch_vccnz .LBB143_453
; %bb.446:
	global_load_u8 v5, v[2:3], off
	s_mov_b32 s2, 0
	s_mov_b32 s43, exec_lo
                                        ; implicit-def: $sgpr42
	s_waitcnt vmcnt(0)
	v_cmpx_lt_i16_e32 0x7f, v5
	s_xor_b32 s43, exec_lo, s43
	s_cbranch_execz .LBB143_467
; %bb.447:
	s_mov_b32 s2, -1
	s_mov_b32 s44, exec_lo
                                        ; implicit-def: $sgpr42
	v_cmpx_eq_u16_e32 0x80, v5
; %bb.448:
	s_mov_b32 s42, 0x7f800001
	s_xor_b32 s2, exec_lo, -1
; %bb.449:
	s_or_b32 exec_lo, exec_lo, s44
	s_delay_alu instid0(SALU_CYCLE_1)
	s_and_b32 s2, s2, exec_lo
	s_or_saveexec_b32 s43, s43
	v_mov_b32_e32 v7, s42
	s_xor_b32 exec_lo, exec_lo, s43
	s_cbranch_execnz .LBB143_468
.LBB143_450:
	s_or_b32 exec_lo, exec_lo, s43
	s_and_saveexec_b32 s42, s2
	s_cbranch_execz .LBB143_452
.LBB143_451:
	v_and_b32_e32 v7, 0xffff, v5
	v_lshlrev_b32_e32 v5, 24, v5
	s_delay_alu instid0(VALU_DEP_2) | instskip(NEXT) | instid1(VALU_DEP_2)
	v_and_b32_e32 v8, 7, v7
	v_and_b32_e32 v5, 0x80000000, v5
	s_delay_alu instid0(VALU_DEP_2) | instskip(NEXT) | instid1(VALU_DEP_1)
	v_clz_i32_u32_e32 v9, v8
	v_min_u32_e32 v9, 32, v9
	s_delay_alu instid0(VALU_DEP_1) | instskip(SKIP_1) | instid1(VALU_DEP_2)
	v_subrev_nc_u32_e32 v10, 28, v9
	v_sub_nc_u32_e32 v9, 29, v9
	v_lshlrev_b32_e32 v10, v10, v7
	v_bfe_u32 v7, v7, 3, 4
	s_delay_alu instid0(VALU_DEP_2) | instskip(NEXT) | instid1(VALU_DEP_2)
	v_and_b32_e32 v10, 7, v10
	v_cmp_eq_u32_e32 vcc_lo, 0, v7
	s_delay_alu instid0(VALU_DEP_2) | instskip(NEXT) | instid1(VALU_DEP_1)
	v_dual_cndmask_b32 v7, v7, v9 :: v_dual_cndmask_b32 v8, v8, v10
	v_lshl_add_u32 v7, v7, 23, 0x3b800000
	s_delay_alu instid0(VALU_DEP_2) | instskip(NEXT) | instid1(VALU_DEP_1)
	v_lshlrev_b32_e32 v8, 20, v8
	v_or3_b32 v7, v5, v7, v8
.LBB143_452:
	s_or_b32 exec_lo, exec_lo, s42
	s_delay_alu instid0(VALU_DEP_1) | instskip(SKIP_1) | instid1(VALU_DEP_2)
	v_bfe_u32 v5, v7, 16, 1
	v_cmp_o_f32_e32 vcc_lo, v7, v7
	v_add3_u32 v5, v7, v5, 0x7fff
	s_delay_alu instid0(VALU_DEP_1) | instskip(NEXT) | instid1(VALU_DEP_1)
	v_lshrrev_b32_e32 v5, 16, v5
	v_cndmask_b32_e32 v5, 0x7fc0, v5, vcc_lo
.LBB143_453:
	s_mov_b32 s2, -1
.LBB143_454:
	s_mov_b32 s42, 0
.LBB143_455:
	s_delay_alu instid0(SALU_CYCLE_1)
	s_and_b32 vcc_lo, exec_lo, s42
	s_cbranch_vccz .LBB143_490
; %bb.456:
	v_cmp_lt_i16_e32 vcc_lo, 22, v6
	s_cbranch_vccz .LBB143_466
; %bb.457:
	v_cmp_gt_i16_e32 vcc_lo, 24, v6
	s_cbranch_vccnz .LBB143_469
; %bb.458:
	v_cmp_lt_i16_e32 vcc_lo, 24, v6
	s_cbranch_vccz .LBB143_470
; %bb.459:
	global_load_u8 v5, v[2:3], off
	s_mov_b32 s2, 0
	s_mov_b32 s43, exec_lo
                                        ; implicit-def: $sgpr42
	s_waitcnt vmcnt(0)
	v_cmpx_lt_i16_e32 0x7f, v5
	s_xor_b32 s43, exec_lo, s43
	s_cbranch_execz .LBB143_482
; %bb.460:
	s_mov_b32 s2, -1
	s_mov_b32 s44, exec_lo
                                        ; implicit-def: $sgpr42
	v_cmpx_eq_u16_e32 0x80, v5
; %bb.461:
	s_mov_b32 s42, 0x7f800001
	s_xor_b32 s2, exec_lo, -1
; %bb.462:
	s_or_b32 exec_lo, exec_lo, s44
	s_delay_alu instid0(SALU_CYCLE_1)
	s_and_b32 s2, s2, exec_lo
	s_or_saveexec_b32 s43, s43
	v_mov_b32_e32 v7, s42
	s_xor_b32 exec_lo, exec_lo, s43
	s_cbranch_execnz .LBB143_483
.LBB143_463:
	s_or_b32 exec_lo, exec_lo, s43
	s_and_saveexec_b32 s42, s2
	s_cbranch_execz .LBB143_465
.LBB143_464:
	v_and_b32_e32 v7, 0xffff, v5
	v_lshlrev_b32_e32 v5, 24, v5
	s_delay_alu instid0(VALU_DEP_2) | instskip(NEXT) | instid1(VALU_DEP_2)
	v_and_b32_e32 v8, 3, v7
	v_and_b32_e32 v5, 0x80000000, v5
	s_delay_alu instid0(VALU_DEP_2) | instskip(NEXT) | instid1(VALU_DEP_1)
	v_clz_i32_u32_e32 v9, v8
	v_min_u32_e32 v9, 32, v9
	s_delay_alu instid0(VALU_DEP_1) | instskip(SKIP_1) | instid1(VALU_DEP_2)
	v_subrev_nc_u32_e32 v10, 29, v9
	v_sub_nc_u32_e32 v9, 30, v9
	v_lshlrev_b32_e32 v10, v10, v7
	v_bfe_u32 v7, v7, 2, 5
	s_delay_alu instid0(VALU_DEP_2) | instskip(NEXT) | instid1(VALU_DEP_2)
	v_and_b32_e32 v10, 3, v10
	v_cmp_eq_u32_e32 vcc_lo, 0, v7
	s_delay_alu instid0(VALU_DEP_2) | instskip(NEXT) | instid1(VALU_DEP_1)
	v_dual_cndmask_b32 v7, v7, v9 :: v_dual_cndmask_b32 v8, v8, v10
	v_lshl_add_u32 v7, v7, 23, 0x37800000
	s_delay_alu instid0(VALU_DEP_2) | instskip(NEXT) | instid1(VALU_DEP_1)
	v_lshlrev_b32_e32 v8, 21, v8
	v_or3_b32 v7, v5, v7, v8
.LBB143_465:
	s_or_b32 exec_lo, exec_lo, s42
	s_delay_alu instid0(VALU_DEP_1) | instskip(SKIP_2) | instid1(VALU_DEP_2)
	v_bfe_u32 v5, v7, 16, 1
	v_cmp_o_f32_e32 vcc_lo, v7, v7
	s_mov_b32 s2, 0
	v_add3_u32 v5, v7, v5, 0x7fff
	s_delay_alu instid0(VALU_DEP_1) | instskip(NEXT) | instid1(VALU_DEP_1)
	v_lshrrev_b32_e32 v5, 16, v5
	v_cndmask_b32_e32 v5, 0x7fc0, v5, vcc_lo
	s_branch .LBB143_471
.LBB143_466:
	s_mov_b32 s42, -1
                                        ; implicit-def: $vgpr5
	s_branch .LBB143_477
.LBB143_467:
	s_or_saveexec_b32 s43, s43
	v_mov_b32_e32 v7, s42
	s_xor_b32 exec_lo, exec_lo, s43
	s_cbranch_execz .LBB143_450
.LBB143_468:
	v_cmp_ne_u16_e32 vcc_lo, 0, v5
	v_mov_b32_e32 v7, 0
	s_and_not1_b32 s2, s2, exec_lo
	s_and_b32 s42, vcc_lo, exec_lo
	s_delay_alu instid0(SALU_CYCLE_1)
	s_or_b32 s2, s2, s42
	s_or_b32 exec_lo, exec_lo, s43
	s_and_saveexec_b32 s42, s2
	s_cbranch_execnz .LBB143_451
	s_branch .LBB143_452
.LBB143_469:
	s_mov_b32 s2, -1
                                        ; implicit-def: $vgpr5
	s_branch .LBB143_474
.LBB143_470:
	s_mov_b32 s2, -1
                                        ; implicit-def: $vgpr5
.LBB143_471:
	s_delay_alu instid0(SALU_CYCLE_1)
	s_and_b32 vcc_lo, exec_lo, s2
	s_cbranch_vccz .LBB143_473
; %bb.472:
	global_load_u8 v5, v[2:3], off
	s_waitcnt vmcnt(0)
	v_lshlrev_b32_e32 v5, 24, v5
	s_delay_alu instid0(VALU_DEP_1) | instskip(NEXT) | instid1(VALU_DEP_1)
	v_and_b32_e32 v7, 0x7f000000, v5
	v_clz_i32_u32_e32 v8, v7
	v_cmp_ne_u32_e32 vcc_lo, 0, v7
	v_add_nc_u32_e32 v10, 0x1000000, v7
	s_delay_alu instid0(VALU_DEP_3) | instskip(NEXT) | instid1(VALU_DEP_1)
	v_min_u32_e32 v8, 32, v8
	v_sub_nc_u32_e64 v8, v8, 4 clamp
	s_delay_alu instid0(VALU_DEP_1) | instskip(SKIP_1) | instid1(VALU_DEP_2)
	v_lshlrev_b32_e32 v9, v8, v7
	v_lshlrev_b32_e32 v8, 23, v8
	v_lshrrev_b32_e32 v9, 4, v9
	s_delay_alu instid0(VALU_DEP_1) | instskip(SKIP_1) | instid1(VALU_DEP_2)
	v_sub_nc_u32_e32 v8, v9, v8
	v_ashrrev_i32_e32 v9, 8, v10
	v_add_nc_u32_e32 v8, 0x3c000000, v8
	s_delay_alu instid0(VALU_DEP_1) | instskip(NEXT) | instid1(VALU_DEP_1)
	v_and_or_b32 v8, 0x7f800000, v9, v8
	v_cndmask_b32_e32 v7, 0, v8, vcc_lo
	s_delay_alu instid0(VALU_DEP_1) | instskip(SKIP_1) | instid1(VALU_DEP_2)
	v_and_or_b32 v5, 0x80000000, v5, v7
	v_bfe_u32 v7, v7, 16, 1
	v_cmp_o_f32_e32 vcc_lo, v5, v5
	s_delay_alu instid0(VALU_DEP_2) | instskip(NEXT) | instid1(VALU_DEP_1)
	v_add3_u32 v7, v5, v7, 0x7fff
	v_lshrrev_b32_e32 v7, 16, v7
	s_delay_alu instid0(VALU_DEP_1)
	v_cndmask_b32_e32 v5, 0x7fc0, v7, vcc_lo
.LBB143_473:
	s_mov_b32 s2, 0
.LBB143_474:
	s_delay_alu instid0(SALU_CYCLE_1)
	s_and_not1_b32 vcc_lo, exec_lo, s2
	s_cbranch_vccnz .LBB143_476
; %bb.475:
	global_load_u8 v5, v[2:3], off
	s_waitcnt vmcnt(0)
	v_lshlrev_b32_e32 v7, 25, v5
	v_lshlrev_b16 v5, 8, v5
	s_delay_alu instid0(VALU_DEP_2) | instskip(NEXT) | instid1(VALU_DEP_2)
	v_lshrrev_b32_e32 v8, 4, v7
	v_and_or_b32 v9, 0x7f00, v5, 0.5
	v_bfe_i32 v5, v5, 0, 16
	s_delay_alu instid0(VALU_DEP_3) | instskip(NEXT) | instid1(VALU_DEP_1)
	v_or_b32_e32 v8, 0x70000000, v8
	v_dual_add_f32 v9, -0.5, v9 :: v_dual_mul_f32 v8, 0x7800000, v8
	v_cmp_gt_u32_e32 vcc_lo, 0x8000000, v7
	s_delay_alu instid0(VALU_DEP_2) | instskip(NEXT) | instid1(VALU_DEP_1)
	v_cndmask_b32_e32 v7, v8, v9, vcc_lo
	v_and_or_b32 v5, 0x80000000, v5, v7
	v_bfe_u32 v7, v7, 16, 1
	s_delay_alu instid0(VALU_DEP_2) | instskip(NEXT) | instid1(VALU_DEP_2)
	v_cmp_o_f32_e32 vcc_lo, v5, v5
	v_add3_u32 v7, v5, v7, 0x7fff
	s_delay_alu instid0(VALU_DEP_1) | instskip(NEXT) | instid1(VALU_DEP_1)
	v_lshrrev_b32_e32 v7, 16, v7
	v_cndmask_b32_e32 v5, 0x7fc0, v7, vcc_lo
.LBB143_476:
	s_mov_b32 s42, 0
	s_mov_b32 s2, -1
.LBB143_477:
	s_and_not1_b32 vcc_lo, exec_lo, s42
	s_cbranch_vccnz .LBB143_490
; %bb.478:
	v_cmp_lt_i16_e32 vcc_lo, 14, v6
	s_cbranch_vccz .LBB143_481
; %bb.479:
	v_cmp_eq_u16_e32 vcc_lo, 15, v6
	s_cbranch_vccz .LBB143_484
; %bb.480:
	global_load_u16 v5, v[2:3], off
	s_mov_b32 s2, -1
	s_mov_b32 s3, 0
	s_branch .LBB143_485
.LBB143_481:
	s_mov_b32 s42, -1
                                        ; implicit-def: $vgpr5
	s_branch .LBB143_486
.LBB143_482:
	s_or_saveexec_b32 s43, s43
	v_mov_b32_e32 v7, s42
	s_xor_b32 exec_lo, exec_lo, s43
	s_cbranch_execz .LBB143_463
.LBB143_483:
	v_cmp_ne_u16_e32 vcc_lo, 0, v5
	v_mov_b32_e32 v7, 0
	s_and_not1_b32 s2, s2, exec_lo
	s_and_b32 s42, vcc_lo, exec_lo
	s_delay_alu instid0(SALU_CYCLE_1)
	s_or_b32 s2, s2, s42
	s_or_b32 exec_lo, exec_lo, s43
	s_and_saveexec_b32 s42, s2
	s_cbranch_execnz .LBB143_464
	s_branch .LBB143_465
.LBB143_484:
	s_mov_b32 s3, -1
                                        ; implicit-def: $vgpr5
.LBB143_485:
	s_mov_b32 s42, 0
.LBB143_486:
	s_delay_alu instid0(SALU_CYCLE_1)
	s_and_b32 vcc_lo, exec_lo, s42
	s_cbranch_vccz .LBB143_490
; %bb.487:
	v_cmp_eq_u16_e32 vcc_lo, 11, v6
	s_cbranch_vccz .LBB143_489
; %bb.488:
	global_load_u8 v5, v[2:3], off
	s_mov_b32 s3, 0
	s_mov_b32 s2, -1
	s_waitcnt vmcnt(0)
	v_cmp_ne_u16_e32 vcc_lo, 0, v5
	v_cndmask_b32_e64 v5, 0, 1.0, vcc_lo
	s_delay_alu instid0(VALU_DEP_1)
	v_lshrrev_b32_e32 v5, 16, v5
	s_branch .LBB143_490
.LBB143_489:
	s_mov_b32 s3, -1
                                        ; implicit-def: $vgpr5
.LBB143_490:
	s_branch .LBB143_405
.LBB143_491:
	v_cmp_gt_i16_e32 vcc_lo, 5, v6
	s_cbranch_vccnz .LBB143_496
; %bb.492:
	v_cmp_gt_i16_e32 vcc_lo, 8, v6
	s_cbranch_vccnz .LBB143_497
; %bb.493:
	;; [unrolled: 3-line block ×3, first 2 shown]
	v_cmp_lt_i16_e32 vcc_lo, 9, v6
	s_cbranch_vccz .LBB143_499
; %bb.495:
	global_load_b64 v[7:8], v[2:3], off
	s_mov_b32 s2, 0
	s_waitcnt vmcnt(0)
	v_cvt_f32_f64_e32 v5, v[7:8]
	s_delay_alu instid0(VALU_DEP_1) | instskip(SKIP_1) | instid1(VALU_DEP_2)
	v_bfe_u32 v7, v5, 16, 1
	v_cmp_o_f32_e32 vcc_lo, v5, v5
	v_add3_u32 v7, v5, v7, 0x7fff
	s_delay_alu instid0(VALU_DEP_1) | instskip(NEXT) | instid1(VALU_DEP_1)
	v_lshrrev_b32_e32 v7, 16, v7
	v_cndmask_b32_e32 v5, 0x7fc0, v7, vcc_lo
	s_branch .LBB143_500
.LBB143_496:
	s_mov_b32 s2, -1
                                        ; implicit-def: $vgpr5
	s_branch .LBB143_518
.LBB143_497:
	s_mov_b32 s2, -1
                                        ; implicit-def: $vgpr5
	s_branch .LBB143_506
.LBB143_498:
	s_mov_b32 s2, -1
                                        ; implicit-def: $vgpr5
	s_branch .LBB143_503
.LBB143_499:
	s_mov_b32 s2, -1
                                        ; implicit-def: $vgpr5
.LBB143_500:
	s_delay_alu instid0(SALU_CYCLE_1)
	s_and_not1_b32 vcc_lo, exec_lo, s2
	s_cbranch_vccnz .LBB143_502
; %bb.501:
	global_load_b32 v5, v[2:3], off
	s_waitcnt vmcnt(0)
	v_bfe_u32 v7, v5, 16, 1
	v_cmp_o_f32_e32 vcc_lo, v5, v5
	s_delay_alu instid0(VALU_DEP_2) | instskip(NEXT) | instid1(VALU_DEP_1)
	v_add3_u32 v7, v5, v7, 0x7fff
	v_lshrrev_b32_e32 v7, 16, v7
	s_delay_alu instid0(VALU_DEP_1)
	v_cndmask_b32_e32 v5, 0x7fc0, v7, vcc_lo
.LBB143_502:
	s_mov_b32 s2, 0
.LBB143_503:
	s_delay_alu instid0(SALU_CYCLE_1)
	s_and_not1_b32 vcc_lo, exec_lo, s2
	s_cbranch_vccnz .LBB143_505
; %bb.504:
	global_load_b32 v5, v[2:3], off
	s_waitcnt vmcnt(0)
	v_cvt_f32_f16_e32 v7, v5
	v_cmp_o_f16_e32 vcc_lo, v5, v5
	s_delay_alu instid0(VALU_DEP_2) | instskip(NEXT) | instid1(VALU_DEP_1)
	v_bfe_u32 v8, v7, 16, 1
	v_add3_u32 v7, v7, v8, 0x7fff
	s_delay_alu instid0(VALU_DEP_1) | instskip(NEXT) | instid1(VALU_DEP_1)
	v_lshrrev_b32_e32 v7, 16, v7
	v_cndmask_b32_e32 v5, 0x7fc0, v7, vcc_lo
.LBB143_505:
	s_mov_b32 s2, 0
.LBB143_506:
	s_delay_alu instid0(SALU_CYCLE_1)
	s_and_not1_b32 vcc_lo, exec_lo, s2
	s_cbranch_vccnz .LBB143_517
; %bb.507:
	v_cmp_gt_i16_e32 vcc_lo, 6, v6
	s_cbranch_vccnz .LBB143_510
; %bb.508:
	v_cmp_lt_i16_e32 vcc_lo, 6, v6
	s_cbranch_vccz .LBB143_511
; %bb.509:
	global_load_b64 v[7:8], v[2:3], off
	s_mov_b32 s2, 0
	s_waitcnt vmcnt(0)
	v_cvt_f32_f64_e32 v5, v[7:8]
	s_delay_alu instid0(VALU_DEP_1) | instskip(SKIP_1) | instid1(VALU_DEP_2)
	v_bfe_u32 v7, v5, 16, 1
	v_cmp_o_f32_e32 vcc_lo, v5, v5
	v_add3_u32 v7, v5, v7, 0x7fff
	s_delay_alu instid0(VALU_DEP_1) | instskip(NEXT) | instid1(VALU_DEP_1)
	v_lshrrev_b32_e32 v7, 16, v7
	v_cndmask_b32_e32 v5, 0x7fc0, v7, vcc_lo
	s_branch .LBB143_512
.LBB143_510:
	s_mov_b32 s2, -1
                                        ; implicit-def: $vgpr5
	s_branch .LBB143_515
.LBB143_511:
	s_mov_b32 s2, -1
                                        ; implicit-def: $vgpr5
.LBB143_512:
	s_delay_alu instid0(SALU_CYCLE_1)
	s_and_not1_b32 vcc_lo, exec_lo, s2
	s_cbranch_vccnz .LBB143_514
; %bb.513:
	global_load_b32 v5, v[2:3], off
	s_waitcnt vmcnt(0)
	v_bfe_u32 v7, v5, 16, 1
	v_cmp_o_f32_e32 vcc_lo, v5, v5
	s_delay_alu instid0(VALU_DEP_2) | instskip(NEXT) | instid1(VALU_DEP_1)
	v_add3_u32 v7, v5, v7, 0x7fff
	v_lshrrev_b32_e32 v7, 16, v7
	s_delay_alu instid0(VALU_DEP_1)
	v_cndmask_b32_e32 v5, 0x7fc0, v7, vcc_lo
.LBB143_514:
	s_mov_b32 s2, 0
.LBB143_515:
	s_delay_alu instid0(SALU_CYCLE_1)
	s_and_not1_b32 vcc_lo, exec_lo, s2
	s_cbranch_vccnz .LBB143_517
; %bb.516:
	global_load_u16 v5, v[2:3], off
	s_waitcnt vmcnt(0)
	v_cvt_f32_f16_e32 v7, v5
	v_cmp_o_f16_e32 vcc_lo, v5, v5
	s_delay_alu instid0(VALU_DEP_2) | instskip(NEXT) | instid1(VALU_DEP_1)
	v_bfe_u32 v8, v7, 16, 1
	v_add3_u32 v7, v7, v8, 0x7fff
	s_delay_alu instid0(VALU_DEP_1) | instskip(NEXT) | instid1(VALU_DEP_1)
	v_lshrrev_b32_e32 v7, 16, v7
	v_cndmask_b32_e32 v5, 0x7fc0, v7, vcc_lo
.LBB143_517:
	s_mov_b32 s2, 0
.LBB143_518:
	s_delay_alu instid0(SALU_CYCLE_1)
	s_and_not1_b32 vcc_lo, exec_lo, s2
	s_cbranch_vccnz .LBB143_538
; %bb.519:
	v_cmp_gt_i16_e32 vcc_lo, 2, v6
	s_cbranch_vccnz .LBB143_523
; %bb.520:
	v_cmp_gt_i16_e32 vcc_lo, 3, v6
	s_cbranch_vccnz .LBB143_524
; %bb.521:
	v_cmp_lt_i16_e32 vcc_lo, 3, v6
	s_cbranch_vccz .LBB143_525
; %bb.522:
	global_load_b64 v[7:8], v[2:3], off
	s_mov_b32 s2, 0
	s_waitcnt vmcnt(0)
	v_xor_b32_e32 v5, v7, v8
	v_cls_i32_e32 v9, v8
	s_delay_alu instid0(VALU_DEP_2) | instskip(NEXT) | instid1(VALU_DEP_2)
	v_ashrrev_i32_e32 v5, 31, v5
	v_add_nc_u32_e32 v9, -1, v9
	s_delay_alu instid0(VALU_DEP_2) | instskip(NEXT) | instid1(VALU_DEP_1)
	v_add_nc_u32_e32 v5, 32, v5
	v_min_u32_e32 v5, v9, v5
	s_delay_alu instid0(VALU_DEP_1) | instskip(SKIP_1) | instid1(VALU_DEP_2)
	v_lshlrev_b64 v[7:8], v5, v[7:8]
	v_sub_nc_u32_e32 v5, 32, v5
	v_min_u32_e32 v7, 1, v7
	s_delay_alu instid0(VALU_DEP_1) | instskip(NEXT) | instid1(VALU_DEP_1)
	v_or_b32_e32 v7, v8, v7
	v_cvt_f32_i32_e32 v7, v7
	s_delay_alu instid0(VALU_DEP_1) | instskip(NEXT) | instid1(VALU_DEP_1)
	v_ldexp_f32 v5, v7, v5
	v_bfe_u32 v7, v5, 16, 1
	s_delay_alu instid0(VALU_DEP_1) | instskip(NEXT) | instid1(VALU_DEP_1)
	v_add3_u32 v5, v5, v7, 0x7fff
	v_lshrrev_b32_e32 v5, 16, v5
	s_branch .LBB143_526
.LBB143_523:
	s_mov_b32 s2, -1
                                        ; implicit-def: $vgpr5
	s_branch .LBB143_532
.LBB143_524:
	s_mov_b32 s2, -1
                                        ; implicit-def: $vgpr5
	s_branch .LBB143_529
.LBB143_525:
	s_mov_b32 s2, -1
                                        ; implicit-def: $vgpr5
.LBB143_526:
	s_delay_alu instid0(SALU_CYCLE_1)
	s_and_not1_b32 vcc_lo, exec_lo, s2
	s_cbranch_vccnz .LBB143_528
; %bb.527:
	global_load_b32 v5, v[2:3], off
	s_waitcnt vmcnt(0)
	v_cvt_f32_i32_e32 v5, v5
	s_delay_alu instid0(VALU_DEP_1) | instskip(NEXT) | instid1(VALU_DEP_1)
	v_bfe_u32 v7, v5, 16, 1
	v_add3_u32 v5, v5, v7, 0x7fff
	s_delay_alu instid0(VALU_DEP_1)
	v_lshrrev_b32_e32 v5, 16, v5
.LBB143_528:
	s_mov_b32 s2, 0
.LBB143_529:
	s_delay_alu instid0(SALU_CYCLE_1)
	s_and_not1_b32 vcc_lo, exec_lo, s2
	s_cbranch_vccnz .LBB143_531
; %bb.530:
	global_load_i16 v5, v[2:3], off
	s_waitcnt vmcnt(0)
	v_cvt_f32_i32_e32 v5, v5
	s_delay_alu instid0(VALU_DEP_1) | instskip(NEXT) | instid1(VALU_DEP_1)
	v_bfe_u32 v7, v5, 16, 1
	v_add3_u32 v5, v5, v7, 0x7fff
	s_delay_alu instid0(VALU_DEP_1)
	v_lshrrev_b32_e32 v5, 16, v5
.LBB143_531:
	s_mov_b32 s2, 0
.LBB143_532:
	s_delay_alu instid0(SALU_CYCLE_1)
	s_and_not1_b32 vcc_lo, exec_lo, s2
	s_cbranch_vccnz .LBB143_538
; %bb.533:
	v_cmp_lt_i16_e32 vcc_lo, 0, v6
	s_mov_b32 s2, 0
	s_cbranch_vccz .LBB143_535
; %bb.534:
	global_load_i8 v5, v[2:3], off
	s_waitcnt vmcnt(0)
	v_cvt_f32_i32_e32 v5, v5
	s_delay_alu instid0(VALU_DEP_1) | instskip(NEXT) | instid1(VALU_DEP_1)
	v_bfe_u32 v6, v5, 16, 1
	v_add3_u32 v5, v5, v6, 0x7fff
	s_delay_alu instid0(VALU_DEP_1)
	v_lshrrev_b32_e32 v5, 16, v5
	s_branch .LBB143_536
.LBB143_535:
	s_mov_b32 s2, -1
                                        ; implicit-def: $vgpr5
.LBB143_536:
	s_delay_alu instid0(SALU_CYCLE_1)
	s_and_not1_b32 vcc_lo, exec_lo, s2
	s_cbranch_vccnz .LBB143_538
; %bb.537:
	global_load_u8 v2, v[2:3], off
	s_waitcnt vmcnt(0)
	v_cvt_f32_ubyte0_e32 v2, v2
	s_delay_alu instid0(VALU_DEP_1) | instskip(NEXT) | instid1(VALU_DEP_1)
	v_bfe_u32 v3, v2, 16, 1
	v_add3_u32 v2, v2, v3, 0x7fff
	s_delay_alu instid0(VALU_DEP_1)
	v_lshrrev_b32_e32 v5, 16, v2
.LBB143_538:
	s_branch .LBB143_406
.LBB143_539:
	s_mov_b32 s46, 0
	s_mov_b32 s2, s38
	;; [unrolled: 1-line block ×3, first 2 shown]
	s_branch .LBB143_705
.LBB143_540:
	s_or_saveexec_b32 s40, s40
                                        ; implicit-def: $sgpr43
	s_delay_alu instid0(SALU_CYCLE_1)
	s_xor_b32 exec_lo, exec_lo, s40
	s_cbranch_execz .LBB143_72
.LBB143_541:
	v_add_f32_e64 v6, 0x42800000, |v7|
	s_and_not1_b32 s39, s39, exec_lo
	s_mov_b32 s43, 0
	s_delay_alu instid0(VALU_DEP_1) | instskip(NEXT) | instid1(VALU_DEP_1)
	v_and_b32_e32 v6, 0xff, v6
	v_cmp_ne_u32_e32 vcc_lo, 0, v6
	s_and_b32 s44, vcc_lo, exec_lo
	s_delay_alu instid0(SALU_CYCLE_1)
	s_or_b32 s39, s39, s44
	s_or_b32 exec_lo, exec_lo, s40
	v_mov_b32_e32 v8, s43
	s_and_saveexec_b32 s40, s39
	s_cbranch_execnz .LBB143_73
	s_branch .LBB143_74
.LBB143_542:
	s_mov_b32 s42, -1
.LBB143_543:
                                        ; implicit-def: $sgpr43
.LBB143_544:
	s_and_b32 vcc_lo, exec_lo, s44
	s_cbranch_vccz .LBB143_546
; %bb.545:
	v_cmp_eq_u16_e64 s2, 44, v3
	s_or_b32 s43, s43, exec_lo
	s_or_b32 s42, s42, exec_lo
.LBB143_546:
	s_mov_b32 s44, 0
.LBB143_547:
	s_delay_alu instid0(SALU_CYCLE_1)
	s_and_b32 vcc_lo, exec_lo, s44
	s_cbranch_vccz .LBB143_551
; %bb.548:
	v_cmp_eq_u16_e32 vcc_lo, 29, v3
	s_cbranch_vccz .LBB143_550
; %bb.549:
	global_load_b64 v[6:7], v[1:2], off
	s_mov_b32 s2, -1
	s_mov_b32 s42, 0
	s_mov_b32 s44, 0
	s_waitcnt vmcnt(0)
	v_cmp_ne_u64_e32 vcc_lo, 0, v[6:7]
	s_and_b32 s43, vcc_lo, exec_lo
	s_branch .LBB143_552
.LBB143_550:
	s_mov_b32 s42, -1
                                        ; implicit-def: $sgpr43
.LBB143_551:
	s_mov_b32 s44, 0
.LBB143_552:
	s_delay_alu instid0(SALU_CYCLE_1)
	s_and_b32 vcc_lo, exec_lo, s44
	s_cbranch_vccz .LBB143_570
; %bb.553:
	v_cmp_gt_i16_e32 vcc_lo, 27, v3
	s_cbranch_vccnz .LBB143_556
; %bb.554:
	v_cmp_lt_i16_e32 vcc_lo, 27, v3
	s_cbranch_vccz .LBB143_557
; %bb.555:
	global_load_b32 v6, v[1:2], off
	s_mov_b32 s2, 0
	s_waitcnt vmcnt(0)
	v_cmp_ne_u32_e32 vcc_lo, 0, v6
	s_and_b32 s43, vcc_lo, exec_lo
	s_branch .LBB143_558
.LBB143_556:
	s_mov_b32 s2, -1
                                        ; implicit-def: $sgpr43
	s_branch .LBB143_561
.LBB143_557:
	s_mov_b32 s2, -1
                                        ; implicit-def: $sgpr43
.LBB143_558:
	s_delay_alu instid0(SALU_CYCLE_1)
	s_and_not1_b32 vcc_lo, exec_lo, s2
	s_cbranch_vccnz .LBB143_560
; %bb.559:
	global_load_u16 v6, v[1:2], off
	s_and_not1_b32 s2, s43, exec_lo
	s_waitcnt vmcnt(0)
	v_cmp_ne_u16_e32 vcc_lo, 0, v6
	s_and_b32 s43, vcc_lo, exec_lo
	s_delay_alu instid0(SALU_CYCLE_1)
	s_or_b32 s43, s2, s43
.LBB143_560:
	s_mov_b32 s2, 0
.LBB143_561:
	s_delay_alu instid0(SALU_CYCLE_1)
	s_and_not1_b32 vcc_lo, exec_lo, s2
	s_cbranch_vccnz .LBB143_569
; %bb.562:
	global_load_u8 v6, v[1:2], off
	s_mov_b32 s2, 0
	s_mov_b32 s44, exec_lo
                                        ; implicit-def: $sgpr43
	s_waitcnt vmcnt(0)
	v_cmpx_lt_i16_e32 0x7f, v6
	s_xor_b32 s44, exec_lo, s44
	s_cbranch_execz .LBB143_583
; %bb.563:
	s_mov_b32 s2, -1
	s_mov_b32 s46, exec_lo
                                        ; implicit-def: $sgpr43
	v_cmpx_eq_u16_e32 0x80, v6
; %bb.564:
	s_mov_b32 s43, -1
	s_xor_b32 s2, exec_lo, -1
; %bb.565:
	s_or_b32 exec_lo, exec_lo, s46
	s_delay_alu instid0(SALU_CYCLE_1)
	s_and_b32 s2, s2, exec_lo
	s_and_not1_saveexec_b32 s44, s44
	s_cbranch_execnz .LBB143_584
.LBB143_566:
	s_or_b32 exec_lo, exec_lo, s44
	s_and_saveexec_b32 s44, s2
	s_cbranch_execz .LBB143_568
.LBB143_567:
	v_and_b32_e32 v6, 0xffff, v6
	s_and_not1_b32 s2, s43, exec_lo
	s_delay_alu instid0(VALU_DEP_1) | instskip(NEXT) | instid1(VALU_DEP_1)
	v_and_b32_e32 v7, 7, v6
	v_clz_i32_u32_e32 v8, v7
	s_delay_alu instid0(VALU_DEP_1) | instskip(NEXT) | instid1(VALU_DEP_1)
	v_min_u32_e32 v8, 32, v8
	v_subrev_nc_u32_e32 v9, 28, v8
	v_sub_nc_u32_e32 v8, 29, v8
	s_delay_alu instid0(VALU_DEP_2) | instskip(SKIP_1) | instid1(VALU_DEP_2)
	v_lshlrev_b32_e32 v9, v9, v6
	v_bfe_u32 v6, v6, 3, 4
	v_and_b32_e32 v9, 7, v9
	s_delay_alu instid0(VALU_DEP_2) | instskip(NEXT) | instid1(VALU_DEP_2)
	v_cmp_eq_u32_e32 vcc_lo, 0, v6
	v_dual_cndmask_b32 v6, v6, v8 :: v_dual_cndmask_b32 v7, v7, v9
	s_delay_alu instid0(VALU_DEP_1) | instskip(NEXT) | instid1(VALU_DEP_2)
	v_lshl_add_u32 v6, v6, 23, 0x3b800000
	v_lshlrev_b32_e32 v7, 20, v7
	s_delay_alu instid0(VALU_DEP_1) | instskip(NEXT) | instid1(VALU_DEP_1)
	v_and_or_b32 v6, 0x7f800000, v6, v7
	v_cmp_ne_u32_e32 vcc_lo, 0, v6
	s_and_b32 s43, vcc_lo, exec_lo
	s_delay_alu instid0(SALU_CYCLE_1)
	s_or_b32 s43, s2, s43
.LBB143_568:
	s_or_b32 exec_lo, exec_lo, s44
.LBB143_569:
	s_mov_b32 s2, -1
.LBB143_570:
	s_mov_b32 s44, 0
.LBB143_571:
	s_delay_alu instid0(SALU_CYCLE_1)
	s_and_b32 vcc_lo, exec_lo, s44
	s_cbranch_vccz .LBB143_606
; %bb.572:
	v_cmp_lt_i16_e32 vcc_lo, 22, v3
	s_cbranch_vccz .LBB143_582
; %bb.573:
	v_cmp_gt_i16_e32 vcc_lo, 24, v3
	s_cbranch_vccnz .LBB143_585
; %bb.574:
	v_cmp_lt_i16_e32 vcc_lo, 24, v3
	s_cbranch_vccz .LBB143_586
; %bb.575:
	global_load_u8 v6, v[1:2], off
	s_mov_b32 s2, 0
	s_mov_b32 s44, exec_lo
                                        ; implicit-def: $sgpr43
	s_waitcnt vmcnt(0)
	v_cmpx_lt_i16_e32 0x7f, v6
	s_xor_b32 s44, exec_lo, s44
	s_cbranch_execz .LBB143_598
; %bb.576:
	s_mov_b32 s2, -1
	s_mov_b32 s46, exec_lo
                                        ; implicit-def: $sgpr43
	v_cmpx_eq_u16_e32 0x80, v6
; %bb.577:
	s_mov_b32 s43, -1
	s_xor_b32 s2, exec_lo, -1
; %bb.578:
	s_or_b32 exec_lo, exec_lo, s46
	s_delay_alu instid0(SALU_CYCLE_1)
	s_and_b32 s2, s2, exec_lo
	s_and_not1_saveexec_b32 s44, s44
	s_cbranch_execnz .LBB143_599
.LBB143_579:
	s_or_b32 exec_lo, exec_lo, s44
	s_and_saveexec_b32 s44, s2
	s_cbranch_execz .LBB143_581
.LBB143_580:
	v_and_b32_e32 v6, 0xffff, v6
	s_and_not1_b32 s2, s43, exec_lo
	s_delay_alu instid0(VALU_DEP_1) | instskip(NEXT) | instid1(VALU_DEP_1)
	v_and_b32_e32 v7, 3, v6
	v_clz_i32_u32_e32 v8, v7
	s_delay_alu instid0(VALU_DEP_1) | instskip(NEXT) | instid1(VALU_DEP_1)
	v_min_u32_e32 v8, 32, v8
	v_subrev_nc_u32_e32 v9, 29, v8
	v_sub_nc_u32_e32 v8, 30, v8
	s_delay_alu instid0(VALU_DEP_2) | instskip(SKIP_1) | instid1(VALU_DEP_2)
	v_lshlrev_b32_e32 v9, v9, v6
	v_bfe_u32 v6, v6, 2, 5
	v_and_b32_e32 v9, 3, v9
	s_delay_alu instid0(VALU_DEP_2) | instskip(NEXT) | instid1(VALU_DEP_2)
	v_cmp_eq_u32_e32 vcc_lo, 0, v6
	v_dual_cndmask_b32 v6, v6, v8 :: v_dual_cndmask_b32 v7, v7, v9
	s_delay_alu instid0(VALU_DEP_1) | instskip(NEXT) | instid1(VALU_DEP_2)
	v_lshl_add_u32 v6, v6, 23, 0x37800000
	v_lshlrev_b32_e32 v7, 21, v7
	s_delay_alu instid0(VALU_DEP_1) | instskip(NEXT) | instid1(VALU_DEP_1)
	v_and_or_b32 v6, 0x7f800000, v6, v7
	v_cmp_ne_u32_e32 vcc_lo, 0, v6
	s_and_b32 s43, vcc_lo, exec_lo
	s_delay_alu instid0(SALU_CYCLE_1)
	s_or_b32 s43, s2, s43
.LBB143_581:
	s_or_b32 exec_lo, exec_lo, s44
	s_mov_b32 s2, 0
	s_branch .LBB143_587
.LBB143_582:
	s_mov_b32 s44, -1
                                        ; implicit-def: $sgpr43
	s_branch .LBB143_593
.LBB143_583:
	s_and_not1_saveexec_b32 s44, s44
	s_cbranch_execz .LBB143_566
.LBB143_584:
	v_cmp_ne_u16_e32 vcc_lo, 0, v6
	s_and_not1_b32 s2, s2, exec_lo
	s_and_not1_b32 s43, s43, exec_lo
	s_and_b32 s46, vcc_lo, exec_lo
	s_delay_alu instid0(SALU_CYCLE_1)
	s_or_b32 s2, s2, s46
	s_or_b32 exec_lo, exec_lo, s44
	s_and_saveexec_b32 s44, s2
	s_cbranch_execnz .LBB143_567
	s_branch .LBB143_568
.LBB143_585:
	s_mov_b32 s2, -1
                                        ; implicit-def: $sgpr43
	s_branch .LBB143_590
.LBB143_586:
	s_mov_b32 s2, -1
                                        ; implicit-def: $sgpr43
.LBB143_587:
	s_delay_alu instid0(SALU_CYCLE_1)
	s_and_b32 vcc_lo, exec_lo, s2
	s_cbranch_vccz .LBB143_589
; %bb.588:
	global_load_u8 v6, v[1:2], off
	s_and_not1_b32 s43, s43, exec_lo
	s_waitcnt vmcnt(0)
	v_lshlrev_b32_e32 v6, 24, v6
	s_delay_alu instid0(VALU_DEP_1) | instskip(NEXT) | instid1(VALU_DEP_1)
	v_and_b32_e32 v6, 0x7f000000, v6
	v_clz_i32_u32_e32 v7, v6
	v_add_nc_u32_e32 v9, 0x1000000, v6
	v_cmp_ne_u32_e32 vcc_lo, 0, v6
	s_delay_alu instid0(VALU_DEP_3) | instskip(NEXT) | instid1(VALU_DEP_3)
	v_min_u32_e32 v7, 32, v7
	v_ashrrev_i32_e32 v9, 8, v9
	s_delay_alu instid0(VALU_DEP_2) | instskip(NEXT) | instid1(VALU_DEP_1)
	v_sub_nc_u32_e64 v7, v7, 4 clamp
	v_lshlrev_b32_e32 v8, v7, v6
	v_lshlrev_b32_e32 v7, 23, v7
	s_delay_alu instid0(VALU_DEP_2) | instskip(NEXT) | instid1(VALU_DEP_1)
	v_lshrrev_b32_e32 v8, 4, v8
	v_sub_nc_u32_e32 v7, v8, v7
	v_and_b32_e32 v8, 0x7f800000, v9
	s_delay_alu instid0(VALU_DEP_2) | instskip(NEXT) | instid1(VALU_DEP_1)
	v_add_nc_u32_e32 v7, 0x3c000000, v7
	v_and_or_b32 v7, 0x7ff00000, v7, v8
	s_delay_alu instid0(VALU_DEP_1) | instskip(NEXT) | instid1(VALU_DEP_1)
	v_cmp_ne_u32_e64 s2, 0, v7
	s_and_b32 s2, vcc_lo, s2
	s_delay_alu instid0(SALU_CYCLE_1) | instskip(NEXT) | instid1(SALU_CYCLE_1)
	s_and_b32 s2, s2, exec_lo
	s_or_b32 s43, s43, s2
.LBB143_589:
	s_mov_b32 s2, 0
.LBB143_590:
	s_delay_alu instid0(SALU_CYCLE_1)
	s_and_not1_b32 vcc_lo, exec_lo, s2
	s_cbranch_vccnz .LBB143_592
; %bb.591:
	global_load_u8 v6, v[1:2], off
	s_and_not1_b32 s2, s43, exec_lo
	s_waitcnt vmcnt(0)
	v_lshlrev_b32_e32 v7, 25, v6
	v_lshlrev_b32_e32 v6, 8, v6
	s_delay_alu instid0(VALU_DEP_2) | instskip(NEXT) | instid1(VALU_DEP_2)
	v_lshrrev_b32_e32 v8, 4, v7
	v_and_or_b32 v6, 0x7f00, v6, 0.5
	s_delay_alu instid0(VALU_DEP_2) | instskip(NEXT) | instid1(VALU_DEP_2)
	v_or_b32_e32 v8, 0x70000000, v8
	v_add_f32_e32 v6, -0.5, v6
	s_delay_alu instid0(VALU_DEP_2) | instskip(SKIP_1) | instid1(VALU_DEP_2)
	v_mul_f32_e32 v8, 0x7800000, v8
	v_cmp_gt_u32_e32 vcc_lo, 0x8000000, v7
	v_cndmask_b32_e32 v6, v8, v6, vcc_lo
	s_delay_alu instid0(VALU_DEP_1) | instskip(SKIP_1) | instid1(SALU_CYCLE_1)
	v_cmp_neq_f32_e32 vcc_lo, 0, v6
	s_and_b32 s43, vcc_lo, exec_lo
	s_or_b32 s43, s2, s43
.LBB143_592:
	s_mov_b32 s44, 0
	s_mov_b32 s2, -1
.LBB143_593:
	s_and_not1_b32 vcc_lo, exec_lo, s44
	s_cbranch_vccnz .LBB143_606
; %bb.594:
	v_cmp_lt_i16_e32 vcc_lo, 14, v3
	s_cbranch_vccz .LBB143_597
; %bb.595:
	v_cmp_eq_u16_e32 vcc_lo, 15, v3
	s_cbranch_vccz .LBB143_600
; %bb.596:
	global_load_u16 v6, v[1:2], off
	s_mov_b32 s42, 0
	s_mov_b32 s2, -1
	s_waitcnt vmcnt(0)
	v_and_b32_e32 v6, 0x7fff, v6
	s_delay_alu instid0(VALU_DEP_1)
	v_cmp_ne_u16_e32 vcc_lo, 0, v6
	s_and_b32 s43, vcc_lo, exec_lo
	s_branch .LBB143_601
.LBB143_597:
	s_mov_b32 s44, -1
                                        ; implicit-def: $sgpr43
	s_branch .LBB143_602
.LBB143_598:
	s_and_not1_saveexec_b32 s44, s44
	s_cbranch_execz .LBB143_579
.LBB143_599:
	v_cmp_ne_u16_e32 vcc_lo, 0, v6
	s_and_not1_b32 s2, s2, exec_lo
	s_and_not1_b32 s43, s43, exec_lo
	s_and_b32 s46, vcc_lo, exec_lo
	s_delay_alu instid0(SALU_CYCLE_1)
	s_or_b32 s2, s2, s46
	s_or_b32 exec_lo, exec_lo, s44
	s_and_saveexec_b32 s44, s2
	s_cbranch_execnz .LBB143_580
	s_branch .LBB143_581
.LBB143_600:
	s_mov_b32 s42, -1
                                        ; implicit-def: $sgpr43
.LBB143_601:
	s_mov_b32 s44, 0
.LBB143_602:
	s_delay_alu instid0(SALU_CYCLE_1)
	s_and_b32 vcc_lo, exec_lo, s44
	s_cbranch_vccz .LBB143_606
; %bb.603:
	v_cmp_eq_u16_e32 vcc_lo, 11, v3
	s_cbranch_vccz .LBB143_605
; %bb.604:
	global_load_u8 v6, v[1:2], off
	s_mov_b32 s42, 0
	s_mov_b32 s2, -1
	s_waitcnt vmcnt(0)
	v_cmp_ne_u16_e32 vcc_lo, 0, v6
	s_and_b32 s43, vcc_lo, exec_lo
	s_branch .LBB143_606
.LBB143_605:
	s_mov_b32 s42, -1
                                        ; implicit-def: $sgpr43
.LBB143_606:
	s_mov_b32 s44, 0
.LBB143_607:
	s_delay_alu instid0(SALU_CYCLE_1)
	s_and_b32 vcc_lo, exec_lo, s44
	s_cbranch_vccz .LBB143_656
; %bb.608:
	v_cmp_gt_i16_e32 vcc_lo, 5, v3
	s_cbranch_vccnz .LBB143_613
; %bb.609:
	v_cmp_gt_i16_e32 vcc_lo, 8, v3
	s_cbranch_vccnz .LBB143_614
	;; [unrolled: 3-line block ×3, first 2 shown]
; %bb.611:
	v_cmp_lt_i16_e32 vcc_lo, 9, v3
	s_cbranch_vccz .LBB143_616
; %bb.612:
	global_load_b128 v[6:9], v[1:2], off
	s_waitcnt vmcnt(0)
	v_cmp_neq_f64_e32 vcc_lo, 0, v[6:7]
	v_cmp_neq_f64_e64 s2, 0, v[8:9]
	s_delay_alu instid0(VALU_DEP_1)
	s_or_b32 s43, vcc_lo, s2
	s_mov_b32 s2, 0
	s_and_b32 s43, s43, exec_lo
	s_branch .LBB143_617
.LBB143_613:
	s_mov_b32 s2, -1
                                        ; implicit-def: $sgpr43
	s_branch .LBB143_635
.LBB143_614:
	s_mov_b32 s2, -1
                                        ; implicit-def: $sgpr43
	s_branch .LBB143_623
.LBB143_615:
	s_mov_b32 s2, -1
                                        ; implicit-def: $sgpr43
	s_branch .LBB143_620
.LBB143_616:
	s_mov_b32 s2, -1
                                        ; implicit-def: $sgpr43
.LBB143_617:
	s_delay_alu instid0(SALU_CYCLE_1)
	s_and_not1_b32 vcc_lo, exec_lo, s2
	s_cbranch_vccnz .LBB143_619
; %bb.618:
	global_load_b64 v[6:7], v[1:2], off
	s_and_not1_b32 s2, s43, exec_lo
	s_waitcnt vmcnt(0)
	v_or_b32_e32 v6, v6, v7
	s_delay_alu instid0(VALU_DEP_1) | instskip(NEXT) | instid1(VALU_DEP_1)
	v_and_b32_e32 v6, 0x7fffffff, v6
	v_cmp_ne_u32_e32 vcc_lo, 0, v6
	s_and_b32 s43, vcc_lo, exec_lo
	s_delay_alu instid0(SALU_CYCLE_1)
	s_or_b32 s43, s2, s43
.LBB143_619:
	s_mov_b32 s2, 0
.LBB143_620:
	s_delay_alu instid0(SALU_CYCLE_1)
	s_and_not1_b32 vcc_lo, exec_lo, s2
	s_cbranch_vccnz .LBB143_622
; %bb.621:
	global_load_b32 v6, v[1:2], off
	s_and_not1_b32 s2, s43, exec_lo
	s_waitcnt vmcnt(0)
	v_and_b32_e32 v6, 0x7fff7fff, v6
	s_delay_alu instid0(VALU_DEP_1) | instskip(SKIP_1) | instid1(SALU_CYCLE_1)
	v_cmp_ne_u32_e32 vcc_lo, 0, v6
	s_and_b32 s43, vcc_lo, exec_lo
	s_or_b32 s43, s2, s43
.LBB143_622:
	s_mov_b32 s2, 0
.LBB143_623:
	s_delay_alu instid0(SALU_CYCLE_1)
	s_and_not1_b32 vcc_lo, exec_lo, s2
	s_cbranch_vccnz .LBB143_634
; %bb.624:
	v_cmp_gt_i16_e32 vcc_lo, 6, v3
	s_cbranch_vccnz .LBB143_627
; %bb.625:
	v_cmp_lt_i16_e32 vcc_lo, 6, v3
	s_cbranch_vccz .LBB143_628
; %bb.626:
	global_load_b64 v[6:7], v[1:2], off
	s_mov_b32 s2, 0
	s_waitcnt vmcnt(0)
	v_cmp_neq_f64_e32 vcc_lo, 0, v[6:7]
	s_and_b32 s43, vcc_lo, exec_lo
	s_branch .LBB143_629
.LBB143_627:
	s_mov_b32 s2, -1
                                        ; implicit-def: $sgpr43
	s_branch .LBB143_632
.LBB143_628:
	s_mov_b32 s2, -1
                                        ; implicit-def: $sgpr43
.LBB143_629:
	s_delay_alu instid0(SALU_CYCLE_1)
	s_and_not1_b32 vcc_lo, exec_lo, s2
	s_cbranch_vccnz .LBB143_631
; %bb.630:
	global_load_b32 v6, v[1:2], off
	s_and_not1_b32 s2, s43, exec_lo
	s_waitcnt vmcnt(0)
	v_cmp_neq_f32_e32 vcc_lo, 0, v6
	s_and_b32 s43, vcc_lo, exec_lo
	s_delay_alu instid0(SALU_CYCLE_1)
	s_or_b32 s43, s2, s43
.LBB143_631:
	s_mov_b32 s2, 0
.LBB143_632:
	s_delay_alu instid0(SALU_CYCLE_1)
	s_and_not1_b32 vcc_lo, exec_lo, s2
	s_cbranch_vccnz .LBB143_634
; %bb.633:
	global_load_u16 v6, v[1:2], off
	s_and_not1_b32 s2, s43, exec_lo
	s_waitcnt vmcnt(0)
	v_and_b32_e32 v6, 0x7fff, v6
	s_delay_alu instid0(VALU_DEP_1) | instskip(SKIP_1) | instid1(SALU_CYCLE_1)
	v_cmp_ne_u16_e32 vcc_lo, 0, v6
	s_and_b32 s43, vcc_lo, exec_lo
	s_or_b32 s43, s2, s43
.LBB143_634:
	s_mov_b32 s2, 0
.LBB143_635:
	s_delay_alu instid0(SALU_CYCLE_1)
	s_and_not1_b32 vcc_lo, exec_lo, s2
	s_cbranch_vccnz .LBB143_655
; %bb.636:
	v_cmp_gt_i16_e32 vcc_lo, 2, v3
	s_cbranch_vccnz .LBB143_640
; %bb.637:
	v_cmp_gt_i16_e32 vcc_lo, 3, v3
	s_cbranch_vccnz .LBB143_641
; %bb.638:
	v_cmp_lt_i16_e32 vcc_lo, 3, v3
	s_cbranch_vccz .LBB143_642
; %bb.639:
	global_load_b64 v[6:7], v[1:2], off
	s_mov_b32 s2, 0
	s_waitcnt vmcnt(0)
	v_cmp_ne_u64_e32 vcc_lo, 0, v[6:7]
	s_and_b32 s43, vcc_lo, exec_lo
	s_branch .LBB143_643
.LBB143_640:
	s_mov_b32 s2, -1
                                        ; implicit-def: $sgpr43
	s_branch .LBB143_649
.LBB143_641:
	s_mov_b32 s2, -1
                                        ; implicit-def: $sgpr43
	s_branch .LBB143_646
.LBB143_642:
	s_mov_b32 s2, -1
                                        ; implicit-def: $sgpr43
.LBB143_643:
	s_delay_alu instid0(SALU_CYCLE_1)
	s_and_not1_b32 vcc_lo, exec_lo, s2
	s_cbranch_vccnz .LBB143_645
; %bb.644:
	global_load_b32 v6, v[1:2], off
	s_and_not1_b32 s2, s43, exec_lo
	s_waitcnt vmcnt(0)
	v_cmp_ne_u32_e32 vcc_lo, 0, v6
	s_and_b32 s43, vcc_lo, exec_lo
	s_delay_alu instid0(SALU_CYCLE_1)
	s_or_b32 s43, s2, s43
.LBB143_645:
	s_mov_b32 s2, 0
.LBB143_646:
	s_delay_alu instid0(SALU_CYCLE_1)
	s_and_not1_b32 vcc_lo, exec_lo, s2
	s_cbranch_vccnz .LBB143_648
; %bb.647:
	global_load_u16 v6, v[1:2], off
	s_and_not1_b32 s2, s43, exec_lo
	s_waitcnt vmcnt(0)
	v_cmp_ne_u16_e32 vcc_lo, 0, v6
	s_and_b32 s43, vcc_lo, exec_lo
	s_delay_alu instid0(SALU_CYCLE_1)
	s_or_b32 s43, s2, s43
.LBB143_648:
	s_mov_b32 s2, 0
.LBB143_649:
	s_delay_alu instid0(SALU_CYCLE_1)
	s_and_not1_b32 vcc_lo, exec_lo, s2
	s_cbranch_vccnz .LBB143_655
; %bb.650:
	v_cmp_lt_i16_e32 vcc_lo, 0, v3
	s_mov_b32 s2, 0
	s_cbranch_vccz .LBB143_652
; %bb.651:
	global_load_u8 v3, v[1:2], off
	s_waitcnt vmcnt(0)
	v_cmp_ne_u16_e32 vcc_lo, 0, v3
	s_and_b32 s43, vcc_lo, exec_lo
	s_branch .LBB143_653
.LBB143_652:
	s_mov_b32 s2, -1
                                        ; implicit-def: $sgpr43
.LBB143_653:
	s_delay_alu instid0(SALU_CYCLE_1)
	s_and_not1_b32 vcc_lo, exec_lo, s2
	s_cbranch_vccnz .LBB143_655
; %bb.654:
	global_load_u8 v1, v[1:2], off
	s_and_not1_b32 s2, s43, exec_lo
	s_waitcnt vmcnt(0)
	v_cmp_ne_u16_e32 vcc_lo, 0, v1
	s_and_b32 s43, vcc_lo, exec_lo
	s_delay_alu instid0(SALU_CYCLE_1)
	s_or_b32 s43, s2, s43
.LBB143_655:
	s_mov_b32 s2, -1
.LBB143_656:
	s_delay_alu instid0(SALU_CYCLE_1)
	s_and_not1_b32 vcc_lo, exec_lo, s2
	s_cbranch_vccnz .LBB143_664
; %bb.657:
	v_cndmask_b32_e64 v1, 0, 1.0, s43
	s_waitcnt vmcnt(0)
	v_lshlrev_b32_e32 v2, 16, v5
	v_and_b32_e64 v3, 0xff, s11
	v_add_co_u32 v0, s2, s4, v0
	s_mov_b32 s42, 0
	s_delay_alu instid0(VALU_DEP_3) | instskip(NEXT) | instid1(VALU_DEP_3)
	v_mul_f32_e32 v1, v2, v1
	v_cmp_gt_i16_e32 vcc_lo, 11, v3
	s_mov_b32 s43, -1
	s_delay_alu instid0(VALU_DEP_2) | instskip(SKIP_1) | instid1(VALU_DEP_1)
	v_mul_f32_e32 v2, s10, v1
	s_and_b32 vcc_lo, exec_lo, vcc_lo
	v_bfe_u32 v1, v2, 16, 1
	s_delay_alu instid0(VALU_DEP_1) | instskip(NEXT) | instid1(VALU_DEP_1)
	v_add3_u32 v1, v2, v1, 0x7fff
	v_lshrrev_b32_e32 v5, 16, v1
	v_add_co_ci_u32_e64 v1, null, s5, 0, s2
	v_cmp_o_f32_e64 s2, v2, v2
	s_delay_alu instid0(VALU_DEP_1)
	v_cndmask_b32_e64 v2, 0x7fc0, v5, s2
	s_mov_b32 s2, s38
	s_cbranch_vccnz .LBB143_665
; %bb.658:
	v_cmp_lt_i16_e32 vcc_lo, 25, v3
	s_cbranch_vccz .LBB143_728
; %bb.659:
	v_cmp_lt_i16_e32 vcc_lo, 28, v3
	s_cbranch_vccz .LBB143_730
	;; [unrolled: 3-line block ×4, first 2 shown]
; %bb.662:
	v_cmp_eq_u16_e32 vcc_lo, 46, v3
	s_mov_b32 s43, 0
	s_mov_b32 s2, -1
	s_cbranch_vccz .LBB143_735
; %bb.663:
	v_and_b32_e32 v5, 0xffff, v2
	s_mov_b32 s42, -1
	s_mov_b32 s2, 0
	global_store_b32 v[0:1], v5, off
	s_branch .LBB143_735
.LBB143_664:
	s_mov_b32 s46, 0
	s_mov_b32 s2, s38
	s_branch .LBB143_705
.LBB143_665:
	s_and_b32 vcc_lo, exec_lo, s43
	s_cbranch_vccz .LBB143_804
; %bb.666:
	v_cmp_gt_i16_e32 vcc_lo, 5, v3
	s_mov_b32 s42, -1
	s_cbranch_vccnz .LBB143_687
; %bb.667:
	v_cmp_gt_i16_e32 vcc_lo, 8, v3
	s_cbranch_vccnz .LBB143_677
; %bb.668:
	v_cmp_gt_i16_e32 vcc_lo, 9, v3
	s_cbranch_vccnz .LBB143_674
; %bb.669:
	v_cmp_lt_i16_e32 vcc_lo, 9, v3
	s_cbranch_vccz .LBB143_671
; %bb.670:
	v_mov_b32_e32 v7, 0
	v_lshlrev_b32_e32 v5, 16, v2
	s_mov_b32 s42, 0
	s_delay_alu instid0(VALU_DEP_2) | instskip(NEXT) | instid1(VALU_DEP_2)
	v_mov_b32_e32 v8, v7
	v_cvt_f64_f32_e32 v[5:6], v5
	global_store_b128 v[0:1], v[5:8], off
.LBB143_671:
	s_and_not1_b32 vcc_lo, exec_lo, s42
	s_cbranch_vccnz .LBB143_673
; %bb.672:
	v_dual_mov_b32 v6, 0 :: v_dual_lshlrev_b32 v5, 16, v2
	global_store_b64 v[0:1], v[5:6], off
.LBB143_673:
	s_mov_b32 s42, 0
.LBB143_674:
	s_delay_alu instid0(SALU_CYCLE_1)
	s_and_not1_b32 vcc_lo, exec_lo, s42
	s_cbranch_vccnz .LBB143_676
; %bb.675:
	v_lshlrev_b32_e32 v5, 16, v2
	s_delay_alu instid0(VALU_DEP_1) | instskip(NEXT) | instid1(VALU_DEP_1)
	v_cvt_f16_f32_e32 v5, v5
	v_and_b32_e32 v5, 0xffff, v5
	global_store_b32 v[0:1], v5, off
.LBB143_676:
	s_mov_b32 s42, 0
.LBB143_677:
	s_delay_alu instid0(SALU_CYCLE_1)
	s_and_not1_b32 vcc_lo, exec_lo, s42
	s_cbranch_vccnz .LBB143_686
; %bb.678:
	v_cmp_gt_i16_e32 vcc_lo, 6, v3
	s_mov_b32 s42, -1
	s_cbranch_vccnz .LBB143_684
; %bb.679:
	v_cmp_lt_i16_e32 vcc_lo, 6, v3
	s_cbranch_vccz .LBB143_681
; %bb.680:
	v_lshlrev_b32_e32 v5, 16, v2
	s_mov_b32 s42, 0
	s_delay_alu instid0(VALU_DEP_1)
	v_cvt_f64_f32_e32 v[5:6], v5
	global_store_b64 v[0:1], v[5:6], off
.LBB143_681:
	s_and_not1_b32 vcc_lo, exec_lo, s42
	s_cbranch_vccnz .LBB143_683
; %bb.682:
	v_lshlrev_b32_e32 v5, 16, v2
	global_store_b32 v[0:1], v5, off
.LBB143_683:
	s_mov_b32 s42, 0
.LBB143_684:
	s_delay_alu instid0(SALU_CYCLE_1)
	s_and_not1_b32 vcc_lo, exec_lo, s42
	s_cbranch_vccnz .LBB143_686
; %bb.685:
	v_lshlrev_b32_e32 v5, 16, v2
	s_delay_alu instid0(VALU_DEP_1)
	v_cvt_f16_f32_e32 v5, v5
	global_store_b16 v[0:1], v5, off
.LBB143_686:
	s_mov_b32 s42, 0
.LBB143_687:
	s_delay_alu instid0(SALU_CYCLE_1)
	s_and_not1_b32 vcc_lo, exec_lo, s42
	s_cbranch_vccnz .LBB143_703
; %bb.688:
	v_cmp_gt_i16_e32 vcc_lo, 2, v3
	s_mov_b32 s42, -1
	s_cbranch_vccnz .LBB143_698
; %bb.689:
	v_cmp_gt_i16_e32 vcc_lo, 3, v3
	s_cbranch_vccnz .LBB143_695
; %bb.690:
	v_cmp_lt_i16_e32 vcc_lo, 3, v3
	s_cbranch_vccz .LBB143_692
; %bb.691:
	v_lshlrev_b32_e32 v5, 16, v2
	s_mov_b32 s42, 0
	s_delay_alu instid0(VALU_DEP_1) | instskip(NEXT) | instid1(VALU_DEP_1)
	v_trunc_f32_e32 v5, v5
	v_mul_f32_e64 v6, 0x2f800000, |v5|
	v_ashrrev_i32_e32 v8, 31, v5
	s_delay_alu instid0(VALU_DEP_2) | instskip(NEXT) | instid1(VALU_DEP_1)
	v_floor_f32_e32 v6, v6
	v_fma_f32 v7, 0xcf800000, v6, |v5|
	v_cvt_u32_f32_e32 v6, v6
	s_delay_alu instid0(VALU_DEP_2) | instskip(NEXT) | instid1(VALU_DEP_2)
	v_cvt_u32_f32_e32 v5, v7
	v_xor_b32_e32 v6, v6, v8
	s_delay_alu instid0(VALU_DEP_2) | instskip(NEXT) | instid1(VALU_DEP_1)
	v_xor_b32_e32 v5, v5, v8
	v_sub_co_u32 v5, vcc_lo, v5, v8
	s_delay_alu instid0(VALU_DEP_3)
	v_sub_co_ci_u32_e32 v6, vcc_lo, v6, v8, vcc_lo
	global_store_b64 v[0:1], v[5:6], off
.LBB143_692:
	s_and_not1_b32 vcc_lo, exec_lo, s42
	s_cbranch_vccnz .LBB143_694
; %bb.693:
	v_lshlrev_b32_e32 v5, 16, v2
	s_delay_alu instid0(VALU_DEP_1)
	v_cvt_i32_f32_e32 v5, v5
	global_store_b32 v[0:1], v5, off
.LBB143_694:
	s_mov_b32 s42, 0
.LBB143_695:
	s_delay_alu instid0(SALU_CYCLE_1)
	s_and_not1_b32 vcc_lo, exec_lo, s42
	s_cbranch_vccnz .LBB143_697
; %bb.696:
	v_lshlrev_b32_e32 v5, 16, v2
	s_delay_alu instid0(VALU_DEP_1)
	v_cvt_i32_f32_e32 v5, v5
	global_store_b16 v[0:1], v5, off
.LBB143_697:
	s_mov_b32 s42, 0
.LBB143_698:
	s_delay_alu instid0(SALU_CYCLE_1)
	s_and_not1_b32 vcc_lo, exec_lo, s42
	s_cbranch_vccnz .LBB143_703
; %bb.699:
	v_cmp_lt_i16_e32 vcc_lo, 0, v3
	s_mov_b32 s42, -1
	s_cbranch_vccz .LBB143_701
; %bb.700:
	v_lshlrev_b32_e32 v3, 16, v2
	s_mov_b32 s42, 0
	s_delay_alu instid0(VALU_DEP_1)
	v_cvt_i32_f32_e32 v3, v3
	global_store_b8 v[0:1], v3, off
.LBB143_701:
	s_and_not1_b32 vcc_lo, exec_lo, s42
	s_cbranch_vccnz .LBB143_703
; %bb.702:
	v_lshlrev_b32_e32 v2, 16, v2
	s_delay_alu instid0(VALU_DEP_1) | instskip(NEXT) | instid1(VALU_DEP_1)
	v_trunc_f32_e32 v2, v2
	v_mul_f32_e64 v3, 0x2f800000, |v2|
	s_delay_alu instid0(VALU_DEP_1) | instskip(NEXT) | instid1(VALU_DEP_1)
	v_floor_f32_e32 v3, v3
	v_fma_f32 v3, 0xcf800000, v3, |v2|
	v_ashrrev_i32_e32 v2, 31, v2
	s_delay_alu instid0(VALU_DEP_2) | instskip(NEXT) | instid1(VALU_DEP_1)
	v_cvt_u32_f32_e32 v3, v3
	v_xor_b32_e32 v3, v3, v2
	s_delay_alu instid0(VALU_DEP_1)
	v_sub_nc_u32_e32 v2, v3, v2
	global_store_b8 v[0:1], v2, off
.LBB143_703:
	s_mov_b32 s42, 0
	s_branch .LBB143_805
.LBB143_704:
	s_mov_b32 s46, 0
.LBB143_705:
                                        ; implicit-def: $vgpr4
.LBB143_706:
	s_and_not1_b32 s43, s38, exec_lo
	s_and_b32 s2, s2, exec_lo
	s_and_b32 s42, s42, exec_lo
	s_or_b32 s43, s43, s2
	s_and_not1_b32 s2, s39, exec_lo
	s_and_not1_b32 s47, s40, exec_lo
	s_and_b32 s3, s3, exec_lo
	s_or_b32 s44, s2, s42
	s_or_b32 s42, s47, s3
	s_or_not1_b32 s47, s46, exec_lo
.LBB143_707:
	s_or_b32 exec_lo, exec_lo, s45
	s_mov_b32 s3, 0
	s_mov_b32 s46, 0
	;; [unrolled: 1-line block ×3, first 2 shown]
                                        ; implicit-def: $vgpr6
                                        ; implicit-def: $vgpr2_vgpr3
                                        ; implicit-def: $vgpr0
                                        ; implicit-def: $vgpr1
                                        ; implicit-def: $vgpr5
	s_and_saveexec_b32 s45, s47
	s_cbranch_execz .LBB143_1274
; %bb.708:
	s_mov_b32 s51, -1
	s_mov_b32 s47, s42
	s_mov_b32 s49, s44
	;; [unrolled: 1-line block ×3, first 2 shown]
	s_mov_b32 s46, exec_lo
	v_cmpx_gt_i32_e64 s36, v4
	s_cbranch_execz .LBB143_1105
; %bb.709:
	s_and_not1_b32 vcc_lo, exec_lo, s29
	s_cbranch_vccnz .LBB143_715
; %bb.710:
	v_dual_mov_b32 v0, 0 :: v_dual_mov_b32 v1, 0
	v_mov_b32_e32 v2, 0
	s_and_not1_b32 vcc_lo, exec_lo, s37
	s_mov_b32 s47, 0
	s_cbranch_vccnz .LBB143_716
; %bb.711:
	s_add_i32 s2, s35, 1
	v_dual_mov_b32 v1, 0 :: v_dual_mov_b32 v2, 0
	v_dual_mov_b32 v0, 0 :: v_dual_mov_b32 v3, v4
	s_and_b32 s48, s2, 30
	s_add_u32 s2, s20, 0xffffffec
	s_addc_u32 s3, s21, -1
	s_set_inst_prefetch_distance 0x1
	.p2align	6
.LBB143_712:                            ; =>This Inner Loop Header: Depth=1
	s_clause 0x2
	s_load_b128 s[52:55], s[2:3], 0x18
	s_load_b64 s[50:51], s[2:3], 0x28
	s_load_b128 s[56:59], s[2:3], 0xd8
	s_waitcnt vmcnt(0) lgkmcnt(0)
	v_mul_hi_u32 v5, s53, v3
	s_delay_alu instid0(VALU_DEP_1) | instskip(NEXT) | instid1(VALU_DEP_1)
	v_add_nc_u32_e32 v5, v3, v5
	v_lshrrev_b32_e32 v5, s54, v5
	s_delay_alu instid0(VALU_DEP_1)
	v_mul_hi_u32 v6, s50, v5
	v_mul_lo_u32 v7, v5, s52
	s_load_b64 s[52:53], s[2:3], 0xe8
	s_add_u32 s2, s2, 24
	s_addc_u32 s3, s3, 0
	s_add_i32 s48, s48, -2
	s_delay_alu instid0(SALU_CYCLE_1) | instskip(NEXT) | instid1(VALU_DEP_2)
	s_cmp_eq_u32 s48, 0
	v_add_nc_u32_e32 v6, v5, v6
	s_delay_alu instid0(VALU_DEP_2) | instskip(NEXT) | instid1(VALU_DEP_2)
	v_sub_nc_u32_e32 v7, v3, v7
	v_lshrrev_b32_e32 v3, s51, v6
	s_delay_alu instid0(VALU_DEP_2) | instskip(NEXT) | instid1(VALU_DEP_2)
	v_mul_lo_u32 v8, v7, s56
	v_mul_lo_u32 v6, v3, s55
	s_delay_alu instid0(VALU_DEP_1) | instskip(SKIP_2) | instid1(VALU_DEP_3)
	v_sub_nc_u32_e32 v5, v5, v6
	v_mul_lo_u32 v6, v7, s57
	v_mul_lo_u32 v7, v7, s58
	;; [unrolled: 1-line block ×3, first 2 shown]
	s_waitcnt lgkmcnt(0)
	v_mul_lo_u32 v10, v5, s52
	v_mul_lo_u32 v5, v5, s53
	s_delay_alu instid0(VALU_DEP_3) | instskip(NEXT) | instid1(VALU_DEP_3)
	v_add3_u32 v0, v8, v0, v9
	v_add3_u32 v2, v6, v2, v10
	s_delay_alu instid0(VALU_DEP_3)
	v_add3_u32 v1, v7, v1, v5
	s_cbranch_scc0 .LBB143_712
; %bb.713:
	s_set_inst_prefetch_distance 0x2
	s_bitcmp1_b32 s35, 0
	s_cselect_b32 s48, -1, 0
	s_delay_alu instid0(SALU_CYCLE_1)
	s_and_b32 vcc_lo, exec_lo, s48
	s_cbranch_vccnz .LBB143_716
; %bb.714:
	s_clause 0x3
	s_load_b64 s[48:49], s[2:3], 0x18
	s_load_b32 s52, s[2:3], 0x20
	s_load_b64 s[50:51], s[2:3], 0xd8
	s_load_b32 s2, s[2:3], 0xe0
	s_waitcnt lgkmcnt(0)
	v_mul_hi_u32 v5, s49, v3
	s_delay_alu instid0(VALU_DEP_1) | instskip(NEXT) | instid1(VALU_DEP_1)
	v_add_nc_u32_e32 v5, v3, v5
	v_lshrrev_b32_e32 v5, s52, v5
	s_delay_alu instid0(VALU_DEP_1) | instskip(NEXT) | instid1(VALU_DEP_1)
	v_mul_lo_u32 v5, v5, s48
	v_sub_nc_u32_e32 v3, v3, v5
	s_delay_alu instid0(VALU_DEP_1) | instskip(SKIP_2) | instid1(VALU_DEP_3)
	v_mad_u64_u32 v[5:6], null, v3, s50, v[0:1]
	v_mad_u64_u32 v[6:7], null, v3, s51, v[2:3]
	;; [unrolled: 1-line block ×3, first 2 shown]
	v_mov_b32_e32 v0, v5
	s_delay_alu instid0(VALU_DEP_2)
	v_dual_mov_b32 v2, v6 :: v_dual_mov_b32 v1, v7
	s_branch .LBB143_716
.LBB143_715:
	s_mov_b32 s47, -1
                                        ; implicit-def: $vgpr0
                                        ; implicit-def: $vgpr2
                                        ; implicit-def: $vgpr1
.LBB143_716:
	s_delay_alu instid0(SALU_CYCLE_1)
	s_and_not1_b32 vcc_lo, exec_lo, s47
	s_cbranch_vccnz .LBB143_719
; %bb.717:
	v_mul_hi_u32 v0, s17, v4
	s_and_not1_b32 vcc_lo, exec_lo, s34
	s_delay_alu instid0(VALU_DEP_1) | instskip(NEXT) | instid1(VALU_DEP_1)
	v_add_nc_u32_e32 v0, v4, v0
	v_lshrrev_b32_e32 v3, s18, v0
	s_delay_alu instid0(VALU_DEP_1) | instskip(NEXT) | instid1(VALU_DEP_1)
	v_mul_lo_u32 v0, v3, s16
	v_sub_nc_u32_e32 v1, v4, v0
	s_delay_alu instid0(VALU_DEP_1)
	v_mul_lo_u32 v0, v1, s12
	v_mul_lo_u32 v2, v1, s13
	;; [unrolled: 1-line block ×3, first 2 shown]
	s_cbranch_vccnz .LBB143_719
; %bb.718:
	s_waitcnt vmcnt(0)
	v_mul_hi_u32 v5, s24, v3
	s_delay_alu instid0(VALU_DEP_1) | instskip(NEXT) | instid1(VALU_DEP_1)
	v_add_nc_u32_e32 v5, v3, v5
	v_lshrrev_b32_e32 v5, s25, v5
	s_delay_alu instid0(VALU_DEP_1) | instskip(NEXT) | instid1(VALU_DEP_1)
	v_mul_lo_u32 v5, v5, s19
	v_sub_nc_u32_e32 v3, v3, v5
	s_delay_alu instid0(VALU_DEP_1) | instskip(SKIP_2) | instid1(VALU_DEP_3)
	v_mad_u64_u32 v[5:6], null, v3, s15, v[0:1]
	v_mad_u64_u32 v[6:7], null, v3, s22, v[2:3]
	;; [unrolled: 1-line block ×3, first 2 shown]
	v_mov_b32_e32 v0, v5
	s_delay_alu instid0(VALU_DEP_2)
	v_dual_mov_b32 v2, v6 :: v_dual_mov_b32 v1, v7
.LBB143_719:
	v_and_b32_e64 v6, 0xff, s33
	s_delay_alu instid0(VALU_DEP_2) | instskip(NEXT) | instid1(VALU_DEP_1)
	v_add_co_u32 v2, s2, s6, v2
	v_add_co_ci_u32_e64 v3, null, s7, 0, s2
	s_delay_alu instid0(VALU_DEP_3)
	v_cmp_gt_i16_e32 vcc_lo, 11, v6
	s_mov_b32 s2, 0
	s_cbranch_vccnz .LBB143_726
; %bb.720:
	v_cmp_lt_i16_e32 vcc_lo, 25, v6
	s_cbranch_vccz .LBB143_727
; %bb.721:
	v_cmp_lt_i16_e32 vcc_lo, 28, v6
	s_cbranch_vccz .LBB143_729
	;; [unrolled: 3-line block ×4, first 2 shown]
; %bb.724:
	v_cmp_eq_u16_e32 vcc_lo, 46, v6
	s_mov_b32 s47, 0
	s_cbranch_vccz .LBB143_806
; %bb.725:
	global_load_b32 v5, v[2:3], off
	s_mov_b32 s2, -1
	s_mov_b32 s3, 0
	s_branch .LBB143_808
.LBB143_726:
	s_mov_b32 s47, -1
	s_mov_b32 s3, s42
                                        ; implicit-def: $vgpr5
	s_branch .LBB143_875
.LBB143_727:
	s_mov_b32 s47, -1
	s_mov_b32 s3, s42
                                        ; implicit-def: $vgpr5
	s_branch .LBB143_839
.LBB143_728:
	s_mov_b32 s2, s38
	s_branch .LBB143_762
.LBB143_729:
	s_mov_b32 s47, -1
	s_mov_b32 s3, s42
                                        ; implicit-def: $vgpr5
	s_branch .LBB143_820
.LBB143_730:
	s_mov_b32 s2, s38
	s_branch .LBB143_745
.LBB143_731:
	s_mov_b32 s47, -1
	s_mov_b32 s3, s42
                                        ; implicit-def: $vgpr5
	s_branch .LBB143_815
.LBB143_732:
	s_mov_b32 s2, s38
	s_branch .LBB143_741
.LBB143_733:
	s_mov_b32 s47, -1
	s_mov_b32 s3, s42
	s_branch .LBB143_807
.LBB143_734:
	s_mov_b32 s2, s38
.LBB143_735:
	s_and_b32 vcc_lo, exec_lo, s43
	s_cbranch_vccz .LBB143_740
; %bb.736:
	v_cmp_eq_u16_e32 vcc_lo, 44, v3
	s_mov_b32 s2, -1
	s_cbranch_vccz .LBB143_740
; %bb.737:
	v_and_b32_e32 v5, 0xffff, v2
	v_mov_b32_e32 v6, 0xff
	s_mov_b32 s42, exec_lo
	s_delay_alu instid0(VALU_DEP_2) | instskip(NEXT) | instid1(VALU_DEP_1)
	v_bfe_u32 v7, v5, 7, 8
	v_cmpx_ne_u32_e32 0xff, v7
; %bb.738:
	v_lshlrev_b32_e32 v6, 16, v5
	v_and_b32_e32 v8, 64, v5
	v_lshrrev_b32_e32 v5, 7, v5
	s_delay_alu instid0(VALU_DEP_3) | instskip(NEXT) | instid1(VALU_DEP_3)
	v_and_or_b32 v6, 0x3f0000, v6, v7
	v_cmp_ne_u32_e32 vcc_lo, 0, v8
	s_delay_alu instid0(VALU_DEP_2) | instskip(NEXT) | instid1(VALU_DEP_1)
	v_cmp_ne_u32_e64 s2, 0, v6
	s_and_b32 s2, vcc_lo, s2
	s_delay_alu instid0(SALU_CYCLE_1) | instskip(NEXT) | instid1(VALU_DEP_1)
	v_cndmask_b32_e64 v6, 0, 1, s2
	v_add_nc_u32_e32 v6, v5, v6
; %bb.739:
	s_or_b32 exec_lo, exec_lo, s42
	s_mov_b32 s42, -1
	s_mov_b32 s2, 0
	global_store_b8 v[0:1], v6, off
.LBB143_740:
	s_mov_b32 s43, 0
.LBB143_741:
	s_delay_alu instid0(SALU_CYCLE_1)
	s_and_b32 vcc_lo, exec_lo, s43
	s_cbranch_vccz .LBB143_744
; %bb.742:
	v_cmp_eq_u16_e32 vcc_lo, 29, v3
	s_mov_b32 s2, -1
	s_cbranch_vccz .LBB143_744
; %bb.743:
	v_lshlrev_b32_e32 v5, 16, v2
	s_mov_b32 s42, -1
	s_mov_b32 s2, 0
	s_mov_b32 s43, 0
	s_delay_alu instid0(VALU_DEP_1) | instskip(NEXT) | instid1(VALU_DEP_1)
	v_trunc_f32_e32 v5, v5
	v_mul_f32_e32 v6, 0x2f800000, v5
	s_delay_alu instid0(VALU_DEP_1) | instskip(NEXT) | instid1(VALU_DEP_1)
	v_floor_f32_e32 v6, v6
	v_fmamk_f32 v5, v6, 0xcf800000, v5
	v_cvt_u32_f32_e32 v6, v6
	s_delay_alu instid0(VALU_DEP_2)
	v_cvt_u32_f32_e32 v5, v5
	global_store_b64 v[0:1], v[5:6], off
	s_branch .LBB143_745
.LBB143_744:
	s_mov_b32 s43, 0
.LBB143_745:
	s_delay_alu instid0(SALU_CYCLE_1)
	s_and_b32 vcc_lo, exec_lo, s43
	s_cbranch_vccz .LBB143_761
; %bb.746:
	v_cmp_gt_i16_e32 vcc_lo, 27, v3
	s_mov_b32 s42, -1
	s_cbranch_vccnz .LBB143_752
; %bb.747:
	v_cmp_lt_i16_e32 vcc_lo, 27, v3
	s_cbranch_vccz .LBB143_749
; %bb.748:
	v_lshlrev_b32_e32 v5, 16, v2
	s_mov_b32 s42, 0
	s_delay_alu instid0(VALU_DEP_1)
	v_cvt_u32_f32_e32 v5, v5
	global_store_b32 v[0:1], v5, off
.LBB143_749:
	s_and_not1_b32 vcc_lo, exec_lo, s42
	s_cbranch_vccnz .LBB143_751
; %bb.750:
	v_lshlrev_b32_e32 v5, 16, v2
	s_delay_alu instid0(VALU_DEP_1)
	v_cvt_u32_f32_e32 v5, v5
	global_store_b16 v[0:1], v5, off
.LBB143_751:
	s_mov_b32 s42, 0
.LBB143_752:
	s_delay_alu instid0(SALU_CYCLE_1)
	s_and_not1_b32 vcc_lo, exec_lo, s42
	s_cbranch_vccnz .LBB143_760
; %bb.753:
	v_dual_mov_b32 v8, 0x80 :: v_dual_lshlrev_b32 v7, 16, v2
	s_mov_b32 s42, exec_lo
	s_delay_alu instid0(VALU_DEP_1) | instskip(NEXT) | instid1(VALU_DEP_1)
	v_and_b32_e32 v6, 0x7fffffff, v7
	v_cmpx_gt_u32_e32 0x43800000, v6
	s_cbranch_execz .LBB143_759
; %bb.754:
	v_and_b32_e32 v5, 0xffff, v2
	v_cmp_lt_u32_e32 vcc_lo, 0x3bffffff, v6
	s_mov_b32 s43, 0
                                        ; implicit-def: $vgpr6
	s_and_saveexec_b32 s44, vcc_lo
	s_delay_alu instid0(SALU_CYCLE_1)
	s_xor_b32 s44, exec_lo, s44
	s_cbranch_execz .LBB143_811
; %bb.755:
	v_bfe_u32 v6, v5, 4, 1
	s_mov_b32 s43, exec_lo
	s_delay_alu instid0(VALU_DEP_1) | instskip(NEXT) | instid1(VALU_DEP_1)
	v_add3_u32 v6, v7, v6, 0x487ffff
                                        ; implicit-def: $vgpr7
	v_lshrrev_b32_e32 v6, 20, v6
	s_or_saveexec_b32 s44, s44
                                        ; implicit-def: $sgpr46
	s_delay_alu instid0(SALU_CYCLE_1)
	s_xor_b32 exec_lo, exec_lo, s44
	s_cbranch_execnz .LBB143_812
.LBB143_756:
	s_or_b32 exec_lo, exec_lo, s44
	v_mov_b32_e32 v8, s46
	s_and_saveexec_b32 s44, s43
.LBB143_757:
	v_lshrrev_b32_e32 v5, 8, v5
	s_delay_alu instid0(VALU_DEP_1)
	v_and_or_b32 v8, 0x80, v5, v6
.LBB143_758:
	s_or_b32 exec_lo, exec_lo, s44
.LBB143_759:
	s_delay_alu instid0(SALU_CYCLE_1)
	s_or_b32 exec_lo, exec_lo, s42
	global_store_b8 v[0:1], v8, off
.LBB143_760:
	s_mov_b32 s42, -1
.LBB143_761:
	s_mov_b32 s43, 0
.LBB143_762:
	s_delay_alu instid0(SALU_CYCLE_1)
	s_and_b32 vcc_lo, exec_lo, s43
	s_cbranch_vccz .LBB143_803
; %bb.763:
	v_cmp_lt_i16_e32 vcc_lo, 22, v3
	s_mov_b32 s43, -1
	s_cbranch_vccz .LBB143_795
; %bb.764:
	v_cmp_gt_i16_e32 vcc_lo, 24, v3
	s_mov_b32 s42, -1
	s_cbranch_vccnz .LBB143_784
; %bb.765:
	v_cmp_lt_i16_e32 vcc_lo, 24, v3
	s_cbranch_vccz .LBB143_773
; %bb.766:
	v_dual_mov_b32 v8, 0x80 :: v_dual_lshlrev_b32 v7, 16, v2
	s_mov_b32 s42, exec_lo
	s_delay_alu instid0(VALU_DEP_1) | instskip(NEXT) | instid1(VALU_DEP_1)
	v_and_b32_e32 v6, 0x7fffffff, v7
	v_cmpx_gt_u32_e32 0x47800000, v6
	s_cbranch_execz .LBB143_772
; %bb.767:
	v_and_b32_e32 v5, 0xffff, v2
	v_cmp_lt_u32_e32 vcc_lo, 0x37ffffff, v6
	s_mov_b32 s43, 0
                                        ; implicit-def: $vgpr6
	s_and_saveexec_b32 s44, vcc_lo
	s_delay_alu instid0(SALU_CYCLE_1)
	s_xor_b32 s44, exec_lo, s44
	s_cbranch_execz .LBB143_938
; %bb.768:
	v_bfe_u32 v6, v5, 5, 1
	s_mov_b32 s43, exec_lo
	s_delay_alu instid0(VALU_DEP_1) | instskip(NEXT) | instid1(VALU_DEP_1)
	v_add3_u32 v6, v7, v6, 0x88fffff
                                        ; implicit-def: $vgpr7
	v_lshrrev_b32_e32 v6, 21, v6
	s_or_saveexec_b32 s44, s44
                                        ; implicit-def: $sgpr46
	s_delay_alu instid0(SALU_CYCLE_1)
	s_xor_b32 exec_lo, exec_lo, s44
	s_cbranch_execnz .LBB143_939
.LBB143_769:
	s_or_b32 exec_lo, exec_lo, s44
	v_mov_b32_e32 v8, s46
	s_and_saveexec_b32 s44, s43
.LBB143_770:
	v_lshrrev_b32_e32 v5, 8, v5
	s_delay_alu instid0(VALU_DEP_1)
	v_and_or_b32 v8, 0x80, v5, v6
.LBB143_771:
	s_or_b32 exec_lo, exec_lo, s44
.LBB143_772:
	s_delay_alu instid0(SALU_CYCLE_1)
	s_or_b32 exec_lo, exec_lo, s42
	s_mov_b32 s42, 0
	global_store_b8 v[0:1], v8, off
.LBB143_773:
	s_and_b32 vcc_lo, exec_lo, s42
	s_cbranch_vccz .LBB143_783
; %bb.774:
	v_lshlrev_b32_e32 v7, 16, v2
	v_and_b32_e32 v5, 0xffff, v2
	s_mov_b32 s42, exec_lo
                                        ; implicit-def: $vgpr6
	s_delay_alu instid0(VALU_DEP_2) | instskip(NEXT) | instid1(VALU_DEP_1)
	v_and_b32_e32 v8, 0x7fffffff, v7
	v_cmpx_gt_u32_e32 0x43f00000, v8
	s_xor_b32 s42, exec_lo, s42
	s_cbranch_execz .LBB143_780
; %bb.775:
	s_mov_b32 s43, exec_lo
                                        ; implicit-def: $vgpr6
	v_cmpx_lt_u32_e32 0x3c7fffff, v8
	s_xor_b32 s43, exec_lo, s43
; %bb.776:
	v_bfe_u32 v6, v5, 4, 1
	s_delay_alu instid0(VALU_DEP_1) | instskip(NEXT) | instid1(VALU_DEP_1)
	v_add3_u32 v6, v7, v6, 0x407ffff
	v_and_b32_e32 v7, 0xff00000, v6
	v_lshrrev_b32_e32 v6, 20, v6
	s_delay_alu instid0(VALU_DEP_2) | instskip(NEXT) | instid1(VALU_DEP_2)
	v_cmp_ne_u32_e32 vcc_lo, 0x7f00000, v7
                                        ; implicit-def: $vgpr7
	v_cndmask_b32_e32 v6, 0x7e, v6, vcc_lo
; %bb.777:
	s_and_not1_saveexec_b32 s43, s43
; %bb.778:
	v_add_f32_e64 v6, 0x46800000, |v7|
; %bb.779:
	s_or_b32 exec_lo, exec_lo, s43
                                        ; implicit-def: $vgpr8
.LBB143_780:
	s_and_not1_saveexec_b32 s42, s42
; %bb.781:
	v_mov_b32_e32 v6, 0x7f
	v_cmp_lt_u32_e32 vcc_lo, 0x7f800000, v8
	s_delay_alu instid0(VALU_DEP_2)
	v_cndmask_b32_e32 v6, 0x7e, v6, vcc_lo
; %bb.782:
	s_or_b32 exec_lo, exec_lo, s42
	v_lshrrev_b32_e32 v5, 8, v5
	s_delay_alu instid0(VALU_DEP_1)
	v_and_or_b32 v5, 0x80, v5, v6
	global_store_b8 v[0:1], v5, off
.LBB143_783:
	s_mov_b32 s42, 0
.LBB143_784:
	s_delay_alu instid0(SALU_CYCLE_1)
	s_and_not1_b32 vcc_lo, exec_lo, s42
	s_cbranch_vccnz .LBB143_794
; %bb.785:
	v_lshlrev_b32_e32 v7, 16, v2
	v_and_b32_e32 v5, 0xffff, v2
	s_mov_b32 s42, exec_lo
                                        ; implicit-def: $vgpr6
	s_delay_alu instid0(VALU_DEP_2) | instskip(NEXT) | instid1(VALU_DEP_1)
	v_and_b32_e32 v8, 0x7fffffff, v7
	v_cmpx_gt_u32_e32 0x47800000, v8
	s_xor_b32 s42, exec_lo, s42
	s_cbranch_execz .LBB143_791
; %bb.786:
	s_mov_b32 s43, exec_lo
                                        ; implicit-def: $vgpr6
	v_cmpx_lt_u32_e32 0x387fffff, v8
	s_xor_b32 s43, exec_lo, s43
; %bb.787:
	v_bfe_u32 v6, v5, 5, 1
	s_delay_alu instid0(VALU_DEP_1) | instskip(NEXT) | instid1(VALU_DEP_1)
	v_add3_u32 v6, v7, v6, 0x80fffff
                                        ; implicit-def: $vgpr7
	v_lshrrev_b32_e32 v6, 21, v6
; %bb.788:
	s_and_not1_saveexec_b32 s43, s43
; %bb.789:
	v_add_f32_e64 v6, 0x43000000, |v7|
; %bb.790:
	s_or_b32 exec_lo, exec_lo, s43
                                        ; implicit-def: $vgpr8
.LBB143_791:
	s_and_not1_saveexec_b32 s42, s42
; %bb.792:
	v_mov_b32_e32 v6, 0x7f
	v_cmp_lt_u32_e32 vcc_lo, 0x7f800000, v8
	s_delay_alu instid0(VALU_DEP_2)
	v_cndmask_b32_e32 v6, 0x7c, v6, vcc_lo
; %bb.793:
	s_or_b32 exec_lo, exec_lo, s42
	v_lshrrev_b32_e32 v5, 8, v5
	s_delay_alu instid0(VALU_DEP_1)
	v_and_or_b32 v5, 0x80, v5, v6
	global_store_b8 v[0:1], v5, off
.LBB143_794:
	s_mov_b32 s43, 0
	s_mov_b32 s42, -1
.LBB143_795:
	s_and_not1_b32 vcc_lo, exec_lo, s43
	s_cbranch_vccnz .LBB143_803
; %bb.796:
	v_cmp_lt_i16_e32 vcc_lo, 14, v3
	s_mov_b32 s43, -1
	s_cbranch_vccz .LBB143_800
; %bb.797:
	v_cmp_eq_u16_e32 vcc_lo, 15, v3
	s_mov_b32 s2, -1
	s_cbranch_vccz .LBB143_799
; %bb.798:
	s_mov_b32 s42, -1
	s_mov_b32 s2, 0
	global_store_b16 v[0:1], v2, off
.LBB143_799:
	s_mov_b32 s43, 0
.LBB143_800:
	s_delay_alu instid0(SALU_CYCLE_1)
	s_and_b32 vcc_lo, exec_lo, s43
	s_cbranch_vccz .LBB143_803
; %bb.801:
	v_cmp_eq_u16_e32 vcc_lo, 11, v3
	s_mov_b32 s2, -1
	s_cbranch_vccz .LBB143_803
; %bb.802:
	v_and_b32_e32 v5, 0x7fff, v2
	s_mov_b32 s2, 0
	s_mov_b32 s42, -1
	s_delay_alu instid0(VALU_DEP_1)
	v_cmp_ne_u16_e32 vcc_lo, 0, v5
	v_cndmask_b32_e64 v5, 0, 1, vcc_lo
	global_store_b8 v[0:1], v5, off
.LBB143_803:
.LBB143_804:
	s_and_not1_b32 vcc_lo, exec_lo, s42
	s_mov_b32 s42, 0
	s_cbranch_vccnz .LBB143_704
.LBB143_805:
	v_add_nc_u32_e32 v4, 0x80, v4
	s_mov_b32 s46, -1
	s_branch .LBB143_706
.LBB143_806:
	s_mov_b32 s3, -1
.LBB143_807:
                                        ; implicit-def: $vgpr5
.LBB143_808:
	s_and_b32 vcc_lo, exec_lo, s47
	s_cbranch_vccz .LBB143_814
; %bb.809:
	v_cmp_eq_u16_e32 vcc_lo, 44, v6
	s_cbranch_vccz .LBB143_813
; %bb.810:
	global_load_u8 v5, v[2:3], off
	s_mov_b32 s3, 0
	s_mov_b32 s2, -1
	s_waitcnt vmcnt(0)
	v_lshlrev_b32_e32 v7, 23, v5
	v_cmp_ne_u32_e32 vcc_lo, 0xff, v5
	s_delay_alu instid0(VALU_DEP_2) | instskip(SKIP_1) | instid1(VALU_DEP_2)
	v_cndmask_b32_e32 v7, 0x7f800001, v7, vcc_lo
	v_cmp_ne_u32_e32 vcc_lo, 0, v5
	v_cndmask_b32_e32 v5, 0x400000, v7, vcc_lo
	s_delay_alu instid0(VALU_DEP_1) | instskip(SKIP_1) | instid1(VALU_DEP_2)
	v_add_nc_u32_e32 v7, 0x7fff, v5
	v_cmp_o_f32_e32 vcc_lo, v5, v5
	v_lshrrev_b32_e32 v7, 16, v7
	s_delay_alu instid0(VALU_DEP_1)
	v_cndmask_b32_e32 v5, 0x7fc0, v7, vcc_lo
	s_branch .LBB143_814
.LBB143_811:
	s_or_saveexec_b32 s44, s44
                                        ; implicit-def: $sgpr46
	s_delay_alu instid0(SALU_CYCLE_1)
	s_xor_b32 exec_lo, exec_lo, s44
	s_cbranch_execz .LBB143_756
.LBB143_812:
	v_add_f32_e64 v6, 0x46000000, |v7|
	s_and_not1_b32 s43, s43, exec_lo
	s_mov_b32 s46, 0
	s_delay_alu instid0(VALU_DEP_1) | instskip(NEXT) | instid1(VALU_DEP_1)
	v_and_b32_e32 v6, 0xff, v6
	v_cmp_ne_u32_e32 vcc_lo, 0, v6
	s_and_b32 s47, vcc_lo, exec_lo
	s_delay_alu instid0(SALU_CYCLE_1)
	s_or_b32 s43, s43, s47
	s_or_b32 exec_lo, exec_lo, s44
	v_mov_b32_e32 v8, s46
	s_and_saveexec_b32 s44, s43
	s_cbranch_execnz .LBB143_757
	s_branch .LBB143_758
.LBB143_813:
	s_mov_b32 s3, -1
                                        ; implicit-def: $vgpr5
.LBB143_814:
	s_mov_b32 s47, 0
.LBB143_815:
	s_delay_alu instid0(SALU_CYCLE_1)
	s_and_b32 vcc_lo, exec_lo, s47
	s_cbranch_vccz .LBB143_819
; %bb.816:
	v_cmp_eq_u16_e32 vcc_lo, 29, v6
	s_cbranch_vccz .LBB143_818
; %bb.817:
	global_load_b64 v[7:8], v[2:3], off
	s_mov_b32 s2, -1
	s_mov_b32 s3, 0
	s_mov_b32 s47, 0
	s_waitcnt vmcnt(0)
	v_clz_i32_u32_e32 v5, v8
	s_delay_alu instid0(VALU_DEP_1) | instskip(NEXT) | instid1(VALU_DEP_1)
	v_min_u32_e32 v5, 32, v5
	v_lshlrev_b64 v[7:8], v5, v[7:8]
	v_sub_nc_u32_e32 v5, 32, v5
	s_delay_alu instid0(VALU_DEP_2) | instskip(NEXT) | instid1(VALU_DEP_1)
	v_min_u32_e32 v7, 1, v7
	v_or_b32_e32 v7, v8, v7
	s_delay_alu instid0(VALU_DEP_1) | instskip(NEXT) | instid1(VALU_DEP_1)
	v_cvt_f32_u32_e32 v7, v7
	v_ldexp_f32 v5, v7, v5
	s_delay_alu instid0(VALU_DEP_1) | instskip(NEXT) | instid1(VALU_DEP_1)
	v_bfe_u32 v7, v5, 16, 1
	v_add3_u32 v5, v5, v7, 0x7fff
	s_delay_alu instid0(VALU_DEP_1)
	v_lshrrev_b32_e32 v5, 16, v5
	s_branch .LBB143_820
.LBB143_818:
	s_mov_b32 s3, -1
                                        ; implicit-def: $vgpr5
.LBB143_819:
	s_mov_b32 s47, 0
.LBB143_820:
	s_delay_alu instid0(SALU_CYCLE_1)
	s_and_b32 vcc_lo, exec_lo, s47
	s_cbranch_vccz .LBB143_838
; %bb.821:
	v_cmp_gt_i16_e32 vcc_lo, 27, v6
	s_cbranch_vccnz .LBB143_824
; %bb.822:
	v_cmp_lt_i16_e32 vcc_lo, 27, v6
	s_cbranch_vccz .LBB143_825
; %bb.823:
	global_load_b32 v5, v[2:3], off
	s_mov_b32 s2, 0
	s_waitcnt vmcnt(0)
	v_cvt_f32_u32_e32 v5, v5
	s_delay_alu instid0(VALU_DEP_1) | instskip(NEXT) | instid1(VALU_DEP_1)
	v_bfe_u32 v7, v5, 16, 1
	v_add3_u32 v5, v5, v7, 0x7fff
	s_delay_alu instid0(VALU_DEP_1)
	v_lshrrev_b32_e32 v5, 16, v5
	s_branch .LBB143_826
.LBB143_824:
	s_mov_b32 s2, -1
                                        ; implicit-def: $vgpr5
	s_branch .LBB143_829
.LBB143_825:
	s_mov_b32 s2, -1
                                        ; implicit-def: $vgpr5
.LBB143_826:
	s_delay_alu instid0(SALU_CYCLE_1)
	s_and_not1_b32 vcc_lo, exec_lo, s2
	s_cbranch_vccnz .LBB143_828
; %bb.827:
	global_load_u16 v5, v[2:3], off
	s_waitcnt vmcnt(0)
	v_cvt_f32_u32_e32 v5, v5
	s_delay_alu instid0(VALU_DEP_1) | instskip(NEXT) | instid1(VALU_DEP_1)
	v_bfe_u32 v7, v5, 16, 1
	v_add3_u32 v5, v5, v7, 0x7fff
	s_delay_alu instid0(VALU_DEP_1)
	v_lshrrev_b32_e32 v5, 16, v5
.LBB143_828:
	s_mov_b32 s2, 0
.LBB143_829:
	s_delay_alu instid0(SALU_CYCLE_1)
	s_and_not1_b32 vcc_lo, exec_lo, s2
	s_cbranch_vccnz .LBB143_837
; %bb.830:
	global_load_u8 v5, v[2:3], off
	s_mov_b32 s2, 0
	s_mov_b32 s48, exec_lo
                                        ; implicit-def: $sgpr47
	s_waitcnt vmcnt(0)
	v_cmpx_lt_i16_e32 0x7f, v5
	s_xor_b32 s48, exec_lo, s48
	s_cbranch_execz .LBB143_851
; %bb.831:
	s_mov_b32 s2, -1
	s_mov_b32 s49, exec_lo
                                        ; implicit-def: $sgpr47
	v_cmpx_eq_u16_e32 0x80, v5
; %bb.832:
	s_mov_b32 s47, 0x7f800001
	s_xor_b32 s2, exec_lo, -1
; %bb.833:
	s_or_b32 exec_lo, exec_lo, s49
	s_delay_alu instid0(SALU_CYCLE_1)
	s_and_b32 s2, s2, exec_lo
	s_or_saveexec_b32 s48, s48
	v_mov_b32_e32 v7, s47
	s_xor_b32 exec_lo, exec_lo, s48
	s_cbranch_execnz .LBB143_852
.LBB143_834:
	s_or_b32 exec_lo, exec_lo, s48
	s_and_saveexec_b32 s47, s2
	s_cbranch_execz .LBB143_836
.LBB143_835:
	v_and_b32_e32 v7, 0xffff, v5
	v_lshlrev_b32_e32 v5, 24, v5
	s_delay_alu instid0(VALU_DEP_2) | instskip(NEXT) | instid1(VALU_DEP_2)
	v_and_b32_e32 v8, 7, v7
	v_and_b32_e32 v5, 0x80000000, v5
	s_delay_alu instid0(VALU_DEP_2) | instskip(NEXT) | instid1(VALU_DEP_1)
	v_clz_i32_u32_e32 v9, v8
	v_min_u32_e32 v9, 32, v9
	s_delay_alu instid0(VALU_DEP_1) | instskip(SKIP_1) | instid1(VALU_DEP_2)
	v_subrev_nc_u32_e32 v10, 28, v9
	v_sub_nc_u32_e32 v9, 29, v9
	v_lshlrev_b32_e32 v10, v10, v7
	v_bfe_u32 v7, v7, 3, 4
	s_delay_alu instid0(VALU_DEP_2) | instskip(NEXT) | instid1(VALU_DEP_2)
	v_and_b32_e32 v10, 7, v10
	v_cmp_eq_u32_e32 vcc_lo, 0, v7
	s_delay_alu instid0(VALU_DEP_2) | instskip(NEXT) | instid1(VALU_DEP_1)
	v_dual_cndmask_b32 v7, v7, v9 :: v_dual_cndmask_b32 v8, v8, v10
	v_lshl_add_u32 v7, v7, 23, 0x3b800000
	s_delay_alu instid0(VALU_DEP_2) | instskip(NEXT) | instid1(VALU_DEP_1)
	v_lshlrev_b32_e32 v8, 20, v8
	v_or3_b32 v7, v5, v7, v8
.LBB143_836:
	s_or_b32 exec_lo, exec_lo, s47
	s_delay_alu instid0(VALU_DEP_1) | instskip(SKIP_1) | instid1(VALU_DEP_2)
	v_bfe_u32 v5, v7, 16, 1
	v_cmp_o_f32_e32 vcc_lo, v7, v7
	v_add3_u32 v5, v7, v5, 0x7fff
	s_delay_alu instid0(VALU_DEP_1) | instskip(NEXT) | instid1(VALU_DEP_1)
	v_lshrrev_b32_e32 v5, 16, v5
	v_cndmask_b32_e32 v5, 0x7fc0, v5, vcc_lo
.LBB143_837:
	s_mov_b32 s2, -1
.LBB143_838:
	s_mov_b32 s47, 0
.LBB143_839:
	s_delay_alu instid0(SALU_CYCLE_1)
	s_and_b32 vcc_lo, exec_lo, s47
	s_cbranch_vccz .LBB143_874
; %bb.840:
	v_cmp_lt_i16_e32 vcc_lo, 22, v6
	s_cbranch_vccz .LBB143_850
; %bb.841:
	v_cmp_gt_i16_e32 vcc_lo, 24, v6
	s_cbranch_vccnz .LBB143_853
; %bb.842:
	v_cmp_lt_i16_e32 vcc_lo, 24, v6
	s_cbranch_vccz .LBB143_854
; %bb.843:
	global_load_u8 v5, v[2:3], off
	s_mov_b32 s2, 0
	s_mov_b32 s48, exec_lo
                                        ; implicit-def: $sgpr47
	s_waitcnt vmcnt(0)
	v_cmpx_lt_i16_e32 0x7f, v5
	s_xor_b32 s48, exec_lo, s48
	s_cbranch_execz .LBB143_866
; %bb.844:
	s_mov_b32 s2, -1
	s_mov_b32 s49, exec_lo
                                        ; implicit-def: $sgpr47
	v_cmpx_eq_u16_e32 0x80, v5
; %bb.845:
	s_mov_b32 s47, 0x7f800001
	s_xor_b32 s2, exec_lo, -1
; %bb.846:
	s_or_b32 exec_lo, exec_lo, s49
	s_delay_alu instid0(SALU_CYCLE_1)
	s_and_b32 s2, s2, exec_lo
	s_or_saveexec_b32 s48, s48
	v_mov_b32_e32 v7, s47
	s_xor_b32 exec_lo, exec_lo, s48
	s_cbranch_execnz .LBB143_867
.LBB143_847:
	s_or_b32 exec_lo, exec_lo, s48
	s_and_saveexec_b32 s47, s2
	s_cbranch_execz .LBB143_849
.LBB143_848:
	v_and_b32_e32 v7, 0xffff, v5
	v_lshlrev_b32_e32 v5, 24, v5
	s_delay_alu instid0(VALU_DEP_2) | instskip(NEXT) | instid1(VALU_DEP_2)
	v_and_b32_e32 v8, 3, v7
	v_and_b32_e32 v5, 0x80000000, v5
	s_delay_alu instid0(VALU_DEP_2) | instskip(NEXT) | instid1(VALU_DEP_1)
	v_clz_i32_u32_e32 v9, v8
	v_min_u32_e32 v9, 32, v9
	s_delay_alu instid0(VALU_DEP_1) | instskip(SKIP_1) | instid1(VALU_DEP_2)
	v_subrev_nc_u32_e32 v10, 29, v9
	v_sub_nc_u32_e32 v9, 30, v9
	v_lshlrev_b32_e32 v10, v10, v7
	v_bfe_u32 v7, v7, 2, 5
	s_delay_alu instid0(VALU_DEP_2) | instskip(NEXT) | instid1(VALU_DEP_2)
	v_and_b32_e32 v10, 3, v10
	v_cmp_eq_u32_e32 vcc_lo, 0, v7
	s_delay_alu instid0(VALU_DEP_2) | instskip(NEXT) | instid1(VALU_DEP_1)
	v_dual_cndmask_b32 v7, v7, v9 :: v_dual_cndmask_b32 v8, v8, v10
	v_lshl_add_u32 v7, v7, 23, 0x37800000
	s_delay_alu instid0(VALU_DEP_2) | instskip(NEXT) | instid1(VALU_DEP_1)
	v_lshlrev_b32_e32 v8, 21, v8
	v_or3_b32 v7, v5, v7, v8
.LBB143_849:
	s_or_b32 exec_lo, exec_lo, s47
	s_delay_alu instid0(VALU_DEP_1) | instskip(SKIP_2) | instid1(VALU_DEP_2)
	v_bfe_u32 v5, v7, 16, 1
	v_cmp_o_f32_e32 vcc_lo, v7, v7
	s_mov_b32 s2, 0
	v_add3_u32 v5, v7, v5, 0x7fff
	s_delay_alu instid0(VALU_DEP_1) | instskip(NEXT) | instid1(VALU_DEP_1)
	v_lshrrev_b32_e32 v5, 16, v5
	v_cndmask_b32_e32 v5, 0x7fc0, v5, vcc_lo
	s_branch .LBB143_855
.LBB143_850:
	s_mov_b32 s47, -1
                                        ; implicit-def: $vgpr5
	s_branch .LBB143_861
.LBB143_851:
	s_or_saveexec_b32 s48, s48
	v_mov_b32_e32 v7, s47
	s_xor_b32 exec_lo, exec_lo, s48
	s_cbranch_execz .LBB143_834
.LBB143_852:
	v_cmp_ne_u16_e32 vcc_lo, 0, v5
	v_mov_b32_e32 v7, 0
	s_and_not1_b32 s2, s2, exec_lo
	s_and_b32 s47, vcc_lo, exec_lo
	s_delay_alu instid0(SALU_CYCLE_1)
	s_or_b32 s2, s2, s47
	s_or_b32 exec_lo, exec_lo, s48
	s_and_saveexec_b32 s47, s2
	s_cbranch_execnz .LBB143_835
	s_branch .LBB143_836
.LBB143_853:
	s_mov_b32 s2, -1
                                        ; implicit-def: $vgpr5
	s_branch .LBB143_858
.LBB143_854:
	s_mov_b32 s2, -1
                                        ; implicit-def: $vgpr5
.LBB143_855:
	s_delay_alu instid0(SALU_CYCLE_1)
	s_and_b32 vcc_lo, exec_lo, s2
	s_cbranch_vccz .LBB143_857
; %bb.856:
	global_load_u8 v5, v[2:3], off
	s_waitcnt vmcnt(0)
	v_lshlrev_b32_e32 v5, 24, v5
	s_delay_alu instid0(VALU_DEP_1) | instskip(NEXT) | instid1(VALU_DEP_1)
	v_and_b32_e32 v7, 0x7f000000, v5
	v_clz_i32_u32_e32 v8, v7
	v_cmp_ne_u32_e32 vcc_lo, 0, v7
	v_add_nc_u32_e32 v10, 0x1000000, v7
	s_delay_alu instid0(VALU_DEP_3) | instskip(NEXT) | instid1(VALU_DEP_1)
	v_min_u32_e32 v8, 32, v8
	v_sub_nc_u32_e64 v8, v8, 4 clamp
	s_delay_alu instid0(VALU_DEP_1) | instskip(SKIP_1) | instid1(VALU_DEP_2)
	v_lshlrev_b32_e32 v9, v8, v7
	v_lshlrev_b32_e32 v8, 23, v8
	v_lshrrev_b32_e32 v9, 4, v9
	s_delay_alu instid0(VALU_DEP_1) | instskip(SKIP_1) | instid1(VALU_DEP_2)
	v_sub_nc_u32_e32 v8, v9, v8
	v_ashrrev_i32_e32 v9, 8, v10
	v_add_nc_u32_e32 v8, 0x3c000000, v8
	s_delay_alu instid0(VALU_DEP_1) | instskip(NEXT) | instid1(VALU_DEP_1)
	v_and_or_b32 v8, 0x7f800000, v9, v8
	v_cndmask_b32_e32 v7, 0, v8, vcc_lo
	s_delay_alu instid0(VALU_DEP_1) | instskip(SKIP_1) | instid1(VALU_DEP_2)
	v_and_or_b32 v5, 0x80000000, v5, v7
	v_bfe_u32 v7, v7, 16, 1
	v_cmp_o_f32_e32 vcc_lo, v5, v5
	s_delay_alu instid0(VALU_DEP_2) | instskip(NEXT) | instid1(VALU_DEP_1)
	v_add3_u32 v7, v5, v7, 0x7fff
	v_lshrrev_b32_e32 v7, 16, v7
	s_delay_alu instid0(VALU_DEP_1)
	v_cndmask_b32_e32 v5, 0x7fc0, v7, vcc_lo
.LBB143_857:
	s_mov_b32 s2, 0
.LBB143_858:
	s_delay_alu instid0(SALU_CYCLE_1)
	s_and_not1_b32 vcc_lo, exec_lo, s2
	s_cbranch_vccnz .LBB143_860
; %bb.859:
	global_load_u8 v5, v[2:3], off
	s_waitcnt vmcnt(0)
	v_lshlrev_b32_e32 v7, 25, v5
	v_lshlrev_b16 v5, 8, v5
	s_delay_alu instid0(VALU_DEP_2) | instskip(NEXT) | instid1(VALU_DEP_2)
	v_lshrrev_b32_e32 v8, 4, v7
	v_and_or_b32 v9, 0x7f00, v5, 0.5
	v_bfe_i32 v5, v5, 0, 16
	s_delay_alu instid0(VALU_DEP_3) | instskip(NEXT) | instid1(VALU_DEP_1)
	v_or_b32_e32 v8, 0x70000000, v8
	v_dual_add_f32 v9, -0.5, v9 :: v_dual_mul_f32 v8, 0x7800000, v8
	v_cmp_gt_u32_e32 vcc_lo, 0x8000000, v7
	s_delay_alu instid0(VALU_DEP_2) | instskip(NEXT) | instid1(VALU_DEP_1)
	v_cndmask_b32_e32 v7, v8, v9, vcc_lo
	v_and_or_b32 v5, 0x80000000, v5, v7
	v_bfe_u32 v7, v7, 16, 1
	s_delay_alu instid0(VALU_DEP_2) | instskip(NEXT) | instid1(VALU_DEP_2)
	v_cmp_o_f32_e32 vcc_lo, v5, v5
	v_add3_u32 v7, v5, v7, 0x7fff
	s_delay_alu instid0(VALU_DEP_1) | instskip(NEXT) | instid1(VALU_DEP_1)
	v_lshrrev_b32_e32 v7, 16, v7
	v_cndmask_b32_e32 v5, 0x7fc0, v7, vcc_lo
.LBB143_860:
	s_mov_b32 s47, 0
	s_mov_b32 s2, -1
.LBB143_861:
	s_and_not1_b32 vcc_lo, exec_lo, s47
	s_cbranch_vccnz .LBB143_874
; %bb.862:
	v_cmp_lt_i16_e32 vcc_lo, 14, v6
	s_cbranch_vccz .LBB143_865
; %bb.863:
	v_cmp_eq_u16_e32 vcc_lo, 15, v6
	s_cbranch_vccz .LBB143_868
; %bb.864:
	global_load_u16 v5, v[2:3], off
	s_mov_b32 s2, -1
	s_mov_b32 s3, 0
	s_branch .LBB143_869
.LBB143_865:
	s_mov_b32 s47, -1
                                        ; implicit-def: $vgpr5
	s_branch .LBB143_870
.LBB143_866:
	s_or_saveexec_b32 s48, s48
	v_mov_b32_e32 v7, s47
	s_xor_b32 exec_lo, exec_lo, s48
	s_cbranch_execz .LBB143_847
.LBB143_867:
	v_cmp_ne_u16_e32 vcc_lo, 0, v5
	v_mov_b32_e32 v7, 0
	s_and_not1_b32 s2, s2, exec_lo
	s_and_b32 s47, vcc_lo, exec_lo
	s_delay_alu instid0(SALU_CYCLE_1)
	s_or_b32 s2, s2, s47
	s_or_b32 exec_lo, exec_lo, s48
	s_and_saveexec_b32 s47, s2
	s_cbranch_execnz .LBB143_848
	s_branch .LBB143_849
.LBB143_868:
	s_mov_b32 s3, -1
                                        ; implicit-def: $vgpr5
.LBB143_869:
	s_mov_b32 s47, 0
.LBB143_870:
	s_delay_alu instid0(SALU_CYCLE_1)
	s_and_b32 vcc_lo, exec_lo, s47
	s_cbranch_vccz .LBB143_874
; %bb.871:
	v_cmp_eq_u16_e32 vcc_lo, 11, v6
	s_cbranch_vccz .LBB143_873
; %bb.872:
	global_load_u8 v5, v[2:3], off
	s_mov_b32 s3, 0
	s_mov_b32 s2, -1
	s_waitcnt vmcnt(0)
	v_cmp_ne_u16_e32 vcc_lo, 0, v5
	v_cndmask_b32_e64 v5, 0, 1.0, vcc_lo
	s_delay_alu instid0(VALU_DEP_1)
	v_lshrrev_b32_e32 v5, 16, v5
	s_branch .LBB143_874
.LBB143_873:
	s_mov_b32 s3, -1
                                        ; implicit-def: $vgpr5
.LBB143_874:
	s_mov_b32 s47, 0
.LBB143_875:
	s_delay_alu instid0(SALU_CYCLE_1)
	s_and_b32 vcc_lo, exec_lo, s47
	s_cbranch_vccz .LBB143_924
; %bb.876:
	v_cmp_gt_i16_e32 vcc_lo, 5, v6
	s_cbranch_vccnz .LBB143_881
; %bb.877:
	v_cmp_gt_i16_e32 vcc_lo, 8, v6
	s_cbranch_vccnz .LBB143_882
	;; [unrolled: 3-line block ×3, first 2 shown]
; %bb.879:
	v_cmp_lt_i16_e32 vcc_lo, 9, v6
	s_cbranch_vccz .LBB143_884
; %bb.880:
	global_load_b64 v[7:8], v[2:3], off
	s_mov_b32 s2, 0
	s_waitcnt vmcnt(0)
	v_cvt_f32_f64_e32 v5, v[7:8]
	s_delay_alu instid0(VALU_DEP_1) | instskip(SKIP_1) | instid1(VALU_DEP_2)
	v_bfe_u32 v7, v5, 16, 1
	v_cmp_o_f32_e32 vcc_lo, v5, v5
	v_add3_u32 v7, v5, v7, 0x7fff
	s_delay_alu instid0(VALU_DEP_1) | instskip(NEXT) | instid1(VALU_DEP_1)
	v_lshrrev_b32_e32 v7, 16, v7
	v_cndmask_b32_e32 v5, 0x7fc0, v7, vcc_lo
	s_branch .LBB143_885
.LBB143_881:
	s_mov_b32 s2, -1
                                        ; implicit-def: $vgpr5
	s_branch .LBB143_903
.LBB143_882:
	s_mov_b32 s2, -1
                                        ; implicit-def: $vgpr5
	s_branch .LBB143_891
.LBB143_883:
	s_mov_b32 s2, -1
                                        ; implicit-def: $vgpr5
	s_branch .LBB143_888
.LBB143_884:
	s_mov_b32 s2, -1
                                        ; implicit-def: $vgpr5
.LBB143_885:
	s_delay_alu instid0(SALU_CYCLE_1)
	s_and_not1_b32 vcc_lo, exec_lo, s2
	s_cbranch_vccnz .LBB143_887
; %bb.886:
	global_load_b32 v5, v[2:3], off
	s_waitcnt vmcnt(0)
	v_bfe_u32 v7, v5, 16, 1
	v_cmp_o_f32_e32 vcc_lo, v5, v5
	s_delay_alu instid0(VALU_DEP_2) | instskip(NEXT) | instid1(VALU_DEP_1)
	v_add3_u32 v7, v5, v7, 0x7fff
	v_lshrrev_b32_e32 v7, 16, v7
	s_delay_alu instid0(VALU_DEP_1)
	v_cndmask_b32_e32 v5, 0x7fc0, v7, vcc_lo
.LBB143_887:
	s_mov_b32 s2, 0
.LBB143_888:
	s_delay_alu instid0(SALU_CYCLE_1)
	s_and_not1_b32 vcc_lo, exec_lo, s2
	s_cbranch_vccnz .LBB143_890
; %bb.889:
	global_load_b32 v5, v[2:3], off
	s_waitcnt vmcnt(0)
	v_cvt_f32_f16_e32 v7, v5
	v_cmp_o_f16_e32 vcc_lo, v5, v5
	s_delay_alu instid0(VALU_DEP_2) | instskip(NEXT) | instid1(VALU_DEP_1)
	v_bfe_u32 v8, v7, 16, 1
	v_add3_u32 v7, v7, v8, 0x7fff
	s_delay_alu instid0(VALU_DEP_1) | instskip(NEXT) | instid1(VALU_DEP_1)
	v_lshrrev_b32_e32 v7, 16, v7
	v_cndmask_b32_e32 v5, 0x7fc0, v7, vcc_lo
.LBB143_890:
	s_mov_b32 s2, 0
.LBB143_891:
	s_delay_alu instid0(SALU_CYCLE_1)
	s_and_not1_b32 vcc_lo, exec_lo, s2
	s_cbranch_vccnz .LBB143_902
; %bb.892:
	v_cmp_gt_i16_e32 vcc_lo, 6, v6
	s_cbranch_vccnz .LBB143_895
; %bb.893:
	v_cmp_lt_i16_e32 vcc_lo, 6, v6
	s_cbranch_vccz .LBB143_896
; %bb.894:
	global_load_b64 v[7:8], v[2:3], off
	s_mov_b32 s2, 0
	s_waitcnt vmcnt(0)
	v_cvt_f32_f64_e32 v5, v[7:8]
	s_delay_alu instid0(VALU_DEP_1) | instskip(SKIP_1) | instid1(VALU_DEP_2)
	v_bfe_u32 v7, v5, 16, 1
	v_cmp_o_f32_e32 vcc_lo, v5, v5
	v_add3_u32 v7, v5, v7, 0x7fff
	s_delay_alu instid0(VALU_DEP_1) | instskip(NEXT) | instid1(VALU_DEP_1)
	v_lshrrev_b32_e32 v7, 16, v7
	v_cndmask_b32_e32 v5, 0x7fc0, v7, vcc_lo
	s_branch .LBB143_897
.LBB143_895:
	s_mov_b32 s2, -1
                                        ; implicit-def: $vgpr5
	s_branch .LBB143_900
.LBB143_896:
	s_mov_b32 s2, -1
                                        ; implicit-def: $vgpr5
.LBB143_897:
	s_delay_alu instid0(SALU_CYCLE_1)
	s_and_not1_b32 vcc_lo, exec_lo, s2
	s_cbranch_vccnz .LBB143_899
; %bb.898:
	global_load_b32 v5, v[2:3], off
	s_waitcnt vmcnt(0)
	v_bfe_u32 v7, v5, 16, 1
	v_cmp_o_f32_e32 vcc_lo, v5, v5
	s_delay_alu instid0(VALU_DEP_2) | instskip(NEXT) | instid1(VALU_DEP_1)
	v_add3_u32 v7, v5, v7, 0x7fff
	v_lshrrev_b32_e32 v7, 16, v7
	s_delay_alu instid0(VALU_DEP_1)
	v_cndmask_b32_e32 v5, 0x7fc0, v7, vcc_lo
.LBB143_899:
	s_mov_b32 s2, 0
.LBB143_900:
	s_delay_alu instid0(SALU_CYCLE_1)
	s_and_not1_b32 vcc_lo, exec_lo, s2
	s_cbranch_vccnz .LBB143_902
; %bb.901:
	global_load_u16 v5, v[2:3], off
	s_waitcnt vmcnt(0)
	v_cvt_f32_f16_e32 v7, v5
	v_cmp_o_f16_e32 vcc_lo, v5, v5
	s_delay_alu instid0(VALU_DEP_2) | instskip(NEXT) | instid1(VALU_DEP_1)
	v_bfe_u32 v8, v7, 16, 1
	v_add3_u32 v7, v7, v8, 0x7fff
	s_delay_alu instid0(VALU_DEP_1) | instskip(NEXT) | instid1(VALU_DEP_1)
	v_lshrrev_b32_e32 v7, 16, v7
	v_cndmask_b32_e32 v5, 0x7fc0, v7, vcc_lo
.LBB143_902:
	s_mov_b32 s2, 0
.LBB143_903:
	s_delay_alu instid0(SALU_CYCLE_1)
	s_and_not1_b32 vcc_lo, exec_lo, s2
	s_cbranch_vccnz .LBB143_923
; %bb.904:
	v_cmp_gt_i16_e32 vcc_lo, 2, v6
	s_cbranch_vccnz .LBB143_908
; %bb.905:
	v_cmp_gt_i16_e32 vcc_lo, 3, v6
	s_cbranch_vccnz .LBB143_909
; %bb.906:
	v_cmp_lt_i16_e32 vcc_lo, 3, v6
	s_cbranch_vccz .LBB143_910
; %bb.907:
	global_load_b64 v[7:8], v[2:3], off
	s_mov_b32 s2, 0
	s_waitcnt vmcnt(0)
	v_xor_b32_e32 v5, v7, v8
	v_cls_i32_e32 v9, v8
	s_delay_alu instid0(VALU_DEP_2) | instskip(NEXT) | instid1(VALU_DEP_2)
	v_ashrrev_i32_e32 v5, 31, v5
	v_add_nc_u32_e32 v9, -1, v9
	s_delay_alu instid0(VALU_DEP_2) | instskip(NEXT) | instid1(VALU_DEP_1)
	v_add_nc_u32_e32 v5, 32, v5
	v_min_u32_e32 v5, v9, v5
	s_delay_alu instid0(VALU_DEP_1) | instskip(SKIP_1) | instid1(VALU_DEP_2)
	v_lshlrev_b64 v[7:8], v5, v[7:8]
	v_sub_nc_u32_e32 v5, 32, v5
	v_min_u32_e32 v7, 1, v7
	s_delay_alu instid0(VALU_DEP_1) | instskip(NEXT) | instid1(VALU_DEP_1)
	v_or_b32_e32 v7, v8, v7
	v_cvt_f32_i32_e32 v7, v7
	s_delay_alu instid0(VALU_DEP_1) | instskip(NEXT) | instid1(VALU_DEP_1)
	v_ldexp_f32 v5, v7, v5
	v_bfe_u32 v7, v5, 16, 1
	s_delay_alu instid0(VALU_DEP_1) | instskip(NEXT) | instid1(VALU_DEP_1)
	v_add3_u32 v5, v5, v7, 0x7fff
	v_lshrrev_b32_e32 v5, 16, v5
	s_branch .LBB143_911
.LBB143_908:
	s_mov_b32 s2, -1
                                        ; implicit-def: $vgpr5
	s_branch .LBB143_917
.LBB143_909:
	s_mov_b32 s2, -1
                                        ; implicit-def: $vgpr5
	s_branch .LBB143_914
.LBB143_910:
	s_mov_b32 s2, -1
                                        ; implicit-def: $vgpr5
.LBB143_911:
	s_delay_alu instid0(SALU_CYCLE_1)
	s_and_not1_b32 vcc_lo, exec_lo, s2
	s_cbranch_vccnz .LBB143_913
; %bb.912:
	global_load_b32 v5, v[2:3], off
	s_waitcnt vmcnt(0)
	v_cvt_f32_i32_e32 v5, v5
	s_delay_alu instid0(VALU_DEP_1) | instskip(NEXT) | instid1(VALU_DEP_1)
	v_bfe_u32 v7, v5, 16, 1
	v_add3_u32 v5, v5, v7, 0x7fff
	s_delay_alu instid0(VALU_DEP_1)
	v_lshrrev_b32_e32 v5, 16, v5
.LBB143_913:
	s_mov_b32 s2, 0
.LBB143_914:
	s_delay_alu instid0(SALU_CYCLE_1)
	s_and_not1_b32 vcc_lo, exec_lo, s2
	s_cbranch_vccnz .LBB143_916
; %bb.915:
	global_load_i16 v5, v[2:3], off
	s_waitcnt vmcnt(0)
	v_cvt_f32_i32_e32 v5, v5
	s_delay_alu instid0(VALU_DEP_1) | instskip(NEXT) | instid1(VALU_DEP_1)
	v_bfe_u32 v7, v5, 16, 1
	v_add3_u32 v5, v5, v7, 0x7fff
	s_delay_alu instid0(VALU_DEP_1)
	v_lshrrev_b32_e32 v5, 16, v5
.LBB143_916:
	s_mov_b32 s2, 0
.LBB143_917:
	s_delay_alu instid0(SALU_CYCLE_1)
	s_and_not1_b32 vcc_lo, exec_lo, s2
	s_cbranch_vccnz .LBB143_923
; %bb.918:
	v_cmp_lt_i16_e32 vcc_lo, 0, v6
	s_mov_b32 s2, 0
	s_cbranch_vccz .LBB143_920
; %bb.919:
	global_load_i8 v5, v[2:3], off
	s_waitcnt vmcnt(0)
	v_cvt_f32_i32_e32 v5, v5
	s_delay_alu instid0(VALU_DEP_1) | instskip(NEXT) | instid1(VALU_DEP_1)
	v_bfe_u32 v6, v5, 16, 1
	v_add3_u32 v5, v5, v6, 0x7fff
	s_delay_alu instid0(VALU_DEP_1)
	v_lshrrev_b32_e32 v5, 16, v5
	s_branch .LBB143_921
.LBB143_920:
	s_mov_b32 s2, -1
                                        ; implicit-def: $vgpr5
.LBB143_921:
	s_delay_alu instid0(SALU_CYCLE_1)
	s_and_not1_b32 vcc_lo, exec_lo, s2
	s_cbranch_vccnz .LBB143_923
; %bb.922:
	global_load_u8 v2, v[2:3], off
	s_waitcnt vmcnt(0)
	v_cvt_f32_ubyte0_e32 v2, v2
	s_delay_alu instid0(VALU_DEP_1) | instskip(NEXT) | instid1(VALU_DEP_1)
	v_bfe_u32 v3, v2, 16, 1
	v_add3_u32 v2, v2, v3, 0x7fff
	s_delay_alu instid0(VALU_DEP_1)
	v_lshrrev_b32_e32 v5, 16, v2
.LBB143_923:
	s_mov_b32 s2, -1
.LBB143_924:
	s_delay_alu instid0(SALU_CYCLE_1)
	s_and_not1_b32 vcc_lo, exec_lo, s2
	s_cbranch_vccnz .LBB143_932
; %bb.925:
	v_and_b32_e64 v3, 0xff, s31
	v_add_co_u32 v1, s2, s8, v1
	s_delay_alu instid0(VALU_DEP_1) | instskip(NEXT) | instid1(VALU_DEP_3)
	v_add_co_ci_u32_e64 v2, null, s9, 0, s2
	v_cmp_gt_i16_e32 vcc_lo, 11, v3
	s_mov_b32 s2, 0
	s_cbranch_vccnz .LBB143_933
; %bb.926:
	v_cmp_lt_i16_e32 vcc_lo, 25, v3
	s_cbranch_vccz .LBB143_934
; %bb.927:
	v_cmp_lt_i16_e32 vcc_lo, 28, v3
	s_cbranch_vccz .LBB143_935
	;; [unrolled: 3-line block ×4, first 2 shown]
; %bb.930:
	v_cmp_eq_u16_e32 vcc_lo, 46, v3
	s_mov_b32 s49, 0
	s_cbranch_vccz .LBB143_940
; %bb.931:
	global_load_b32 v6, v[1:2], off
	s_mov_b32 s47, 0
	s_mov_b32 s2, -1
	s_waitcnt vmcnt(0)
	v_and_b32_e32 v6, 0x7fff7fff, v6
	s_delay_alu instid0(VALU_DEP_1)
	v_cmp_ne_u32_e32 vcc_lo, 0, v6
	s_and_b32 s48, vcc_lo, exec_lo
	s_branch .LBB143_942
.LBB143_932:
	s_mov_b32 s50, 0
	s_mov_b32 s2, s43
	;; [unrolled: 1-line block ×3, first 2 shown]
	s_branch .LBB143_1103
.LBB143_933:
	s_mov_b32 s49, -1
	s_mov_b32 s47, s44
                                        ; implicit-def: $sgpr48
	s_branch .LBB143_1005
.LBB143_934:
	s_mov_b32 s49, -1
	s_mov_b32 s47, s44
                                        ; implicit-def: $sgpr48
	s_branch .LBB143_969
.LBB143_935:
	s_mov_b32 s49, -1
	s_mov_b32 s47, s44
                                        ; implicit-def: $sgpr48
	s_branch .LBB143_950
.LBB143_936:
	s_mov_b32 s49, -1
	s_mov_b32 s47, s44
                                        ; implicit-def: $sgpr48
	s_branch .LBB143_945
.LBB143_937:
	s_mov_b32 s49, -1
	s_mov_b32 s47, s44
	s_branch .LBB143_941
.LBB143_938:
	s_or_saveexec_b32 s44, s44
                                        ; implicit-def: $sgpr46
	s_delay_alu instid0(SALU_CYCLE_1)
	s_xor_b32 exec_lo, exec_lo, s44
	s_cbranch_execz .LBB143_769
.LBB143_939:
	v_add_f32_e64 v6, 0x42800000, |v7|
	s_and_not1_b32 s43, s43, exec_lo
	s_mov_b32 s46, 0
	s_delay_alu instid0(VALU_DEP_1) | instskip(NEXT) | instid1(VALU_DEP_1)
	v_and_b32_e32 v6, 0xff, v6
	v_cmp_ne_u32_e32 vcc_lo, 0, v6
	s_and_b32 s47, vcc_lo, exec_lo
	s_delay_alu instid0(SALU_CYCLE_1)
	s_or_b32 s43, s43, s47
	s_or_b32 exec_lo, exec_lo, s44
	v_mov_b32_e32 v8, s46
	s_and_saveexec_b32 s44, s43
	s_cbranch_execnz .LBB143_770
	s_branch .LBB143_771
.LBB143_940:
	s_mov_b32 s47, -1
.LBB143_941:
                                        ; implicit-def: $sgpr48
.LBB143_942:
	s_and_b32 vcc_lo, exec_lo, s49
	s_cbranch_vccz .LBB143_944
; %bb.943:
	v_cmp_eq_u16_e64 s2, 44, v3
	s_or_b32 s48, s48, exec_lo
	s_or_b32 s47, s47, exec_lo
.LBB143_944:
	s_mov_b32 s49, 0
.LBB143_945:
	s_delay_alu instid0(SALU_CYCLE_1)
	s_and_b32 vcc_lo, exec_lo, s49
	s_cbranch_vccz .LBB143_949
; %bb.946:
	v_cmp_eq_u16_e32 vcc_lo, 29, v3
	s_cbranch_vccz .LBB143_948
; %bb.947:
	global_load_b64 v[6:7], v[1:2], off
	s_mov_b32 s2, -1
	s_mov_b32 s47, 0
	s_mov_b32 s49, 0
	s_waitcnt vmcnt(0)
	v_cmp_ne_u64_e32 vcc_lo, 0, v[6:7]
	s_and_b32 s48, vcc_lo, exec_lo
	s_branch .LBB143_950
.LBB143_948:
	s_mov_b32 s47, -1
                                        ; implicit-def: $sgpr48
.LBB143_949:
	s_mov_b32 s49, 0
.LBB143_950:
	s_delay_alu instid0(SALU_CYCLE_1)
	s_and_b32 vcc_lo, exec_lo, s49
	s_cbranch_vccz .LBB143_968
; %bb.951:
	v_cmp_gt_i16_e32 vcc_lo, 27, v3
	s_cbranch_vccnz .LBB143_954
; %bb.952:
	v_cmp_lt_i16_e32 vcc_lo, 27, v3
	s_cbranch_vccz .LBB143_955
; %bb.953:
	global_load_b32 v6, v[1:2], off
	s_mov_b32 s2, 0
	s_waitcnt vmcnt(0)
	v_cmp_ne_u32_e32 vcc_lo, 0, v6
	s_and_b32 s48, vcc_lo, exec_lo
	s_branch .LBB143_956
.LBB143_954:
	s_mov_b32 s2, -1
                                        ; implicit-def: $sgpr48
	s_branch .LBB143_959
.LBB143_955:
	s_mov_b32 s2, -1
                                        ; implicit-def: $sgpr48
.LBB143_956:
	s_delay_alu instid0(SALU_CYCLE_1)
	s_and_not1_b32 vcc_lo, exec_lo, s2
	s_cbranch_vccnz .LBB143_958
; %bb.957:
	global_load_u16 v6, v[1:2], off
	s_and_not1_b32 s2, s48, exec_lo
	s_waitcnt vmcnt(0)
	v_cmp_ne_u16_e32 vcc_lo, 0, v6
	s_and_b32 s48, vcc_lo, exec_lo
	s_delay_alu instid0(SALU_CYCLE_1)
	s_or_b32 s48, s2, s48
.LBB143_958:
	s_mov_b32 s2, 0
.LBB143_959:
	s_delay_alu instid0(SALU_CYCLE_1)
	s_and_not1_b32 vcc_lo, exec_lo, s2
	s_cbranch_vccnz .LBB143_967
; %bb.960:
	global_load_u8 v6, v[1:2], off
	s_mov_b32 s2, 0
	s_mov_b32 s49, exec_lo
                                        ; implicit-def: $sgpr48
	s_waitcnt vmcnt(0)
	v_cmpx_lt_i16_e32 0x7f, v6
	s_xor_b32 s49, exec_lo, s49
	s_cbranch_execz .LBB143_981
; %bb.961:
	s_mov_b32 s2, -1
	s_mov_b32 s50, exec_lo
                                        ; implicit-def: $sgpr48
	v_cmpx_eq_u16_e32 0x80, v6
; %bb.962:
	s_mov_b32 s48, -1
	s_xor_b32 s2, exec_lo, -1
; %bb.963:
	s_or_b32 exec_lo, exec_lo, s50
	s_delay_alu instid0(SALU_CYCLE_1)
	s_and_b32 s2, s2, exec_lo
	s_and_not1_saveexec_b32 s49, s49
	s_cbranch_execnz .LBB143_982
.LBB143_964:
	s_or_b32 exec_lo, exec_lo, s49
	s_and_saveexec_b32 s49, s2
	s_cbranch_execz .LBB143_966
.LBB143_965:
	v_and_b32_e32 v6, 0xffff, v6
	s_and_not1_b32 s2, s48, exec_lo
	s_delay_alu instid0(VALU_DEP_1) | instskip(NEXT) | instid1(VALU_DEP_1)
	v_and_b32_e32 v7, 7, v6
	v_clz_i32_u32_e32 v8, v7
	s_delay_alu instid0(VALU_DEP_1) | instskip(NEXT) | instid1(VALU_DEP_1)
	v_min_u32_e32 v8, 32, v8
	v_subrev_nc_u32_e32 v9, 28, v8
	v_sub_nc_u32_e32 v8, 29, v8
	s_delay_alu instid0(VALU_DEP_2) | instskip(SKIP_1) | instid1(VALU_DEP_2)
	v_lshlrev_b32_e32 v9, v9, v6
	v_bfe_u32 v6, v6, 3, 4
	v_and_b32_e32 v9, 7, v9
	s_delay_alu instid0(VALU_DEP_2) | instskip(NEXT) | instid1(VALU_DEP_2)
	v_cmp_eq_u32_e32 vcc_lo, 0, v6
	v_dual_cndmask_b32 v6, v6, v8 :: v_dual_cndmask_b32 v7, v7, v9
	s_delay_alu instid0(VALU_DEP_1) | instskip(NEXT) | instid1(VALU_DEP_2)
	v_lshl_add_u32 v6, v6, 23, 0x3b800000
	v_lshlrev_b32_e32 v7, 20, v7
	s_delay_alu instid0(VALU_DEP_1) | instskip(NEXT) | instid1(VALU_DEP_1)
	v_and_or_b32 v6, 0x7f800000, v6, v7
	v_cmp_ne_u32_e32 vcc_lo, 0, v6
	s_and_b32 s48, vcc_lo, exec_lo
	s_delay_alu instid0(SALU_CYCLE_1)
	s_or_b32 s48, s2, s48
.LBB143_966:
	s_or_b32 exec_lo, exec_lo, s49
.LBB143_967:
	s_mov_b32 s2, -1
.LBB143_968:
	s_mov_b32 s49, 0
.LBB143_969:
	s_delay_alu instid0(SALU_CYCLE_1)
	s_and_b32 vcc_lo, exec_lo, s49
	s_cbranch_vccz .LBB143_1004
; %bb.970:
	v_cmp_lt_i16_e32 vcc_lo, 22, v3
	s_cbranch_vccz .LBB143_980
; %bb.971:
	v_cmp_gt_i16_e32 vcc_lo, 24, v3
	s_cbranch_vccnz .LBB143_983
; %bb.972:
	v_cmp_lt_i16_e32 vcc_lo, 24, v3
	s_cbranch_vccz .LBB143_984
; %bb.973:
	global_load_u8 v6, v[1:2], off
	s_mov_b32 s2, 0
	s_mov_b32 s49, exec_lo
                                        ; implicit-def: $sgpr48
	s_waitcnt vmcnt(0)
	v_cmpx_lt_i16_e32 0x7f, v6
	s_xor_b32 s49, exec_lo, s49
	s_cbranch_execz .LBB143_996
; %bb.974:
	s_mov_b32 s2, -1
	s_mov_b32 s50, exec_lo
                                        ; implicit-def: $sgpr48
	v_cmpx_eq_u16_e32 0x80, v6
; %bb.975:
	s_mov_b32 s48, -1
	s_xor_b32 s2, exec_lo, -1
; %bb.976:
	s_or_b32 exec_lo, exec_lo, s50
	s_delay_alu instid0(SALU_CYCLE_1)
	s_and_b32 s2, s2, exec_lo
	s_and_not1_saveexec_b32 s49, s49
	s_cbranch_execnz .LBB143_997
.LBB143_977:
	s_or_b32 exec_lo, exec_lo, s49
	s_and_saveexec_b32 s49, s2
	s_cbranch_execz .LBB143_979
.LBB143_978:
	v_and_b32_e32 v6, 0xffff, v6
	s_and_not1_b32 s2, s48, exec_lo
	s_delay_alu instid0(VALU_DEP_1) | instskip(NEXT) | instid1(VALU_DEP_1)
	v_and_b32_e32 v7, 3, v6
	v_clz_i32_u32_e32 v8, v7
	s_delay_alu instid0(VALU_DEP_1) | instskip(NEXT) | instid1(VALU_DEP_1)
	v_min_u32_e32 v8, 32, v8
	v_subrev_nc_u32_e32 v9, 29, v8
	v_sub_nc_u32_e32 v8, 30, v8
	s_delay_alu instid0(VALU_DEP_2) | instskip(SKIP_1) | instid1(VALU_DEP_2)
	v_lshlrev_b32_e32 v9, v9, v6
	v_bfe_u32 v6, v6, 2, 5
	v_and_b32_e32 v9, 3, v9
	s_delay_alu instid0(VALU_DEP_2) | instskip(NEXT) | instid1(VALU_DEP_2)
	v_cmp_eq_u32_e32 vcc_lo, 0, v6
	v_dual_cndmask_b32 v6, v6, v8 :: v_dual_cndmask_b32 v7, v7, v9
	s_delay_alu instid0(VALU_DEP_1) | instskip(NEXT) | instid1(VALU_DEP_2)
	v_lshl_add_u32 v6, v6, 23, 0x37800000
	v_lshlrev_b32_e32 v7, 21, v7
	s_delay_alu instid0(VALU_DEP_1) | instskip(NEXT) | instid1(VALU_DEP_1)
	v_and_or_b32 v6, 0x7f800000, v6, v7
	v_cmp_ne_u32_e32 vcc_lo, 0, v6
	s_and_b32 s48, vcc_lo, exec_lo
	s_delay_alu instid0(SALU_CYCLE_1)
	s_or_b32 s48, s2, s48
.LBB143_979:
	s_or_b32 exec_lo, exec_lo, s49
	s_mov_b32 s2, 0
	s_branch .LBB143_985
.LBB143_980:
	s_mov_b32 s49, -1
                                        ; implicit-def: $sgpr48
	s_branch .LBB143_991
.LBB143_981:
	s_and_not1_saveexec_b32 s49, s49
	s_cbranch_execz .LBB143_964
.LBB143_982:
	v_cmp_ne_u16_e32 vcc_lo, 0, v6
	s_and_not1_b32 s2, s2, exec_lo
	s_and_not1_b32 s48, s48, exec_lo
	s_and_b32 s50, vcc_lo, exec_lo
	s_delay_alu instid0(SALU_CYCLE_1)
	s_or_b32 s2, s2, s50
	s_or_b32 exec_lo, exec_lo, s49
	s_and_saveexec_b32 s49, s2
	s_cbranch_execnz .LBB143_965
	s_branch .LBB143_966
.LBB143_983:
	s_mov_b32 s2, -1
                                        ; implicit-def: $sgpr48
	s_branch .LBB143_988
.LBB143_984:
	s_mov_b32 s2, -1
                                        ; implicit-def: $sgpr48
.LBB143_985:
	s_delay_alu instid0(SALU_CYCLE_1)
	s_and_b32 vcc_lo, exec_lo, s2
	s_cbranch_vccz .LBB143_987
; %bb.986:
	global_load_u8 v6, v[1:2], off
	s_and_not1_b32 s48, s48, exec_lo
	s_waitcnt vmcnt(0)
	v_lshlrev_b32_e32 v6, 24, v6
	s_delay_alu instid0(VALU_DEP_1) | instskip(NEXT) | instid1(VALU_DEP_1)
	v_and_b32_e32 v6, 0x7f000000, v6
	v_clz_i32_u32_e32 v7, v6
	v_add_nc_u32_e32 v9, 0x1000000, v6
	v_cmp_ne_u32_e32 vcc_lo, 0, v6
	s_delay_alu instid0(VALU_DEP_3) | instskip(NEXT) | instid1(VALU_DEP_3)
	v_min_u32_e32 v7, 32, v7
	v_ashrrev_i32_e32 v9, 8, v9
	s_delay_alu instid0(VALU_DEP_2) | instskip(NEXT) | instid1(VALU_DEP_1)
	v_sub_nc_u32_e64 v7, v7, 4 clamp
	v_lshlrev_b32_e32 v8, v7, v6
	v_lshlrev_b32_e32 v7, 23, v7
	s_delay_alu instid0(VALU_DEP_2) | instskip(NEXT) | instid1(VALU_DEP_1)
	v_lshrrev_b32_e32 v8, 4, v8
	v_sub_nc_u32_e32 v7, v8, v7
	v_and_b32_e32 v8, 0x7f800000, v9
	s_delay_alu instid0(VALU_DEP_2) | instskip(NEXT) | instid1(VALU_DEP_1)
	v_add_nc_u32_e32 v7, 0x3c000000, v7
	v_and_or_b32 v7, 0x7ff00000, v7, v8
	s_delay_alu instid0(VALU_DEP_1) | instskip(NEXT) | instid1(VALU_DEP_1)
	v_cmp_ne_u32_e64 s2, 0, v7
	s_and_b32 s2, vcc_lo, s2
	s_delay_alu instid0(SALU_CYCLE_1) | instskip(NEXT) | instid1(SALU_CYCLE_1)
	s_and_b32 s2, s2, exec_lo
	s_or_b32 s48, s48, s2
.LBB143_987:
	s_mov_b32 s2, 0
.LBB143_988:
	s_delay_alu instid0(SALU_CYCLE_1)
	s_and_not1_b32 vcc_lo, exec_lo, s2
	s_cbranch_vccnz .LBB143_990
; %bb.989:
	global_load_u8 v6, v[1:2], off
	s_and_not1_b32 s2, s48, exec_lo
	s_waitcnt vmcnt(0)
	v_lshlrev_b32_e32 v7, 25, v6
	v_lshlrev_b32_e32 v6, 8, v6
	s_delay_alu instid0(VALU_DEP_2) | instskip(NEXT) | instid1(VALU_DEP_2)
	v_lshrrev_b32_e32 v8, 4, v7
	v_and_or_b32 v6, 0x7f00, v6, 0.5
	s_delay_alu instid0(VALU_DEP_2) | instskip(NEXT) | instid1(VALU_DEP_2)
	v_or_b32_e32 v8, 0x70000000, v8
	v_add_f32_e32 v6, -0.5, v6
	s_delay_alu instid0(VALU_DEP_2) | instskip(SKIP_1) | instid1(VALU_DEP_2)
	v_mul_f32_e32 v8, 0x7800000, v8
	v_cmp_gt_u32_e32 vcc_lo, 0x8000000, v7
	v_cndmask_b32_e32 v6, v8, v6, vcc_lo
	s_delay_alu instid0(VALU_DEP_1) | instskip(SKIP_1) | instid1(SALU_CYCLE_1)
	v_cmp_neq_f32_e32 vcc_lo, 0, v6
	s_and_b32 s48, vcc_lo, exec_lo
	s_or_b32 s48, s2, s48
.LBB143_990:
	s_mov_b32 s49, 0
	s_mov_b32 s2, -1
.LBB143_991:
	s_and_not1_b32 vcc_lo, exec_lo, s49
	s_cbranch_vccnz .LBB143_1004
; %bb.992:
	v_cmp_lt_i16_e32 vcc_lo, 14, v3
	s_cbranch_vccz .LBB143_995
; %bb.993:
	v_cmp_eq_u16_e32 vcc_lo, 15, v3
	s_cbranch_vccz .LBB143_998
; %bb.994:
	global_load_u16 v6, v[1:2], off
	s_mov_b32 s47, 0
	s_mov_b32 s2, -1
	s_waitcnt vmcnt(0)
	v_and_b32_e32 v6, 0x7fff, v6
	s_delay_alu instid0(VALU_DEP_1)
	v_cmp_ne_u16_e32 vcc_lo, 0, v6
	s_and_b32 s48, vcc_lo, exec_lo
	s_branch .LBB143_999
.LBB143_995:
	s_mov_b32 s49, -1
                                        ; implicit-def: $sgpr48
	s_branch .LBB143_1000
.LBB143_996:
	s_and_not1_saveexec_b32 s49, s49
	s_cbranch_execz .LBB143_977
.LBB143_997:
	v_cmp_ne_u16_e32 vcc_lo, 0, v6
	s_and_not1_b32 s2, s2, exec_lo
	s_and_not1_b32 s48, s48, exec_lo
	s_and_b32 s50, vcc_lo, exec_lo
	s_delay_alu instid0(SALU_CYCLE_1)
	s_or_b32 s2, s2, s50
	s_or_b32 exec_lo, exec_lo, s49
	s_and_saveexec_b32 s49, s2
	s_cbranch_execnz .LBB143_978
	s_branch .LBB143_979
.LBB143_998:
	s_mov_b32 s47, -1
                                        ; implicit-def: $sgpr48
.LBB143_999:
	s_mov_b32 s49, 0
.LBB143_1000:
	s_delay_alu instid0(SALU_CYCLE_1)
	s_and_b32 vcc_lo, exec_lo, s49
	s_cbranch_vccz .LBB143_1004
; %bb.1001:
	v_cmp_eq_u16_e32 vcc_lo, 11, v3
	s_cbranch_vccz .LBB143_1003
; %bb.1002:
	global_load_u8 v6, v[1:2], off
	s_mov_b32 s47, 0
	s_mov_b32 s2, -1
	s_waitcnt vmcnt(0)
	v_cmp_ne_u16_e32 vcc_lo, 0, v6
	s_and_b32 s48, vcc_lo, exec_lo
	s_branch .LBB143_1004
.LBB143_1003:
	s_mov_b32 s47, -1
                                        ; implicit-def: $sgpr48
.LBB143_1004:
	s_mov_b32 s49, 0
.LBB143_1005:
	s_delay_alu instid0(SALU_CYCLE_1)
	s_and_b32 vcc_lo, exec_lo, s49
	s_cbranch_vccz .LBB143_1054
; %bb.1006:
	v_cmp_gt_i16_e32 vcc_lo, 5, v3
	s_cbranch_vccnz .LBB143_1011
; %bb.1007:
	v_cmp_gt_i16_e32 vcc_lo, 8, v3
	s_cbranch_vccnz .LBB143_1012
; %bb.1008:
	v_cmp_gt_i16_e32 vcc_lo, 9, v3
	s_cbranch_vccnz .LBB143_1013
; %bb.1009:
	v_cmp_lt_i16_e32 vcc_lo, 9, v3
	s_cbranch_vccz .LBB143_1014
; %bb.1010:
	global_load_b128 v[6:9], v[1:2], off
	s_waitcnt vmcnt(0)
	v_cmp_neq_f64_e32 vcc_lo, 0, v[6:7]
	v_cmp_neq_f64_e64 s2, 0, v[8:9]
	s_delay_alu instid0(VALU_DEP_1)
	s_or_b32 s48, vcc_lo, s2
	s_mov_b32 s2, 0
	s_and_b32 s48, s48, exec_lo
	s_branch .LBB143_1015
.LBB143_1011:
	s_mov_b32 s2, -1
                                        ; implicit-def: $sgpr48
	s_branch .LBB143_1033
.LBB143_1012:
	s_mov_b32 s2, -1
                                        ; implicit-def: $sgpr48
	s_branch .LBB143_1021
.LBB143_1013:
	s_mov_b32 s2, -1
                                        ; implicit-def: $sgpr48
	s_branch .LBB143_1018
.LBB143_1014:
	s_mov_b32 s2, -1
                                        ; implicit-def: $sgpr48
.LBB143_1015:
	s_delay_alu instid0(SALU_CYCLE_1)
	s_and_not1_b32 vcc_lo, exec_lo, s2
	s_cbranch_vccnz .LBB143_1017
; %bb.1016:
	global_load_b64 v[6:7], v[1:2], off
	s_and_not1_b32 s2, s48, exec_lo
	s_waitcnt vmcnt(0)
	v_or_b32_e32 v6, v6, v7
	s_delay_alu instid0(VALU_DEP_1) | instskip(NEXT) | instid1(VALU_DEP_1)
	v_and_b32_e32 v6, 0x7fffffff, v6
	v_cmp_ne_u32_e32 vcc_lo, 0, v6
	s_and_b32 s48, vcc_lo, exec_lo
	s_delay_alu instid0(SALU_CYCLE_1)
	s_or_b32 s48, s2, s48
.LBB143_1017:
	s_mov_b32 s2, 0
.LBB143_1018:
	s_delay_alu instid0(SALU_CYCLE_1)
	s_and_not1_b32 vcc_lo, exec_lo, s2
	s_cbranch_vccnz .LBB143_1020
; %bb.1019:
	global_load_b32 v6, v[1:2], off
	s_and_not1_b32 s2, s48, exec_lo
	s_waitcnt vmcnt(0)
	v_and_b32_e32 v6, 0x7fff7fff, v6
	s_delay_alu instid0(VALU_DEP_1) | instskip(SKIP_1) | instid1(SALU_CYCLE_1)
	v_cmp_ne_u32_e32 vcc_lo, 0, v6
	s_and_b32 s48, vcc_lo, exec_lo
	s_or_b32 s48, s2, s48
.LBB143_1020:
	s_mov_b32 s2, 0
.LBB143_1021:
	s_delay_alu instid0(SALU_CYCLE_1)
	s_and_not1_b32 vcc_lo, exec_lo, s2
	s_cbranch_vccnz .LBB143_1032
; %bb.1022:
	v_cmp_gt_i16_e32 vcc_lo, 6, v3
	s_cbranch_vccnz .LBB143_1025
; %bb.1023:
	v_cmp_lt_i16_e32 vcc_lo, 6, v3
	s_cbranch_vccz .LBB143_1026
; %bb.1024:
	global_load_b64 v[6:7], v[1:2], off
	s_mov_b32 s2, 0
	s_waitcnt vmcnt(0)
	v_cmp_neq_f64_e32 vcc_lo, 0, v[6:7]
	s_and_b32 s48, vcc_lo, exec_lo
	s_branch .LBB143_1027
.LBB143_1025:
	s_mov_b32 s2, -1
                                        ; implicit-def: $sgpr48
	s_branch .LBB143_1030
.LBB143_1026:
	s_mov_b32 s2, -1
                                        ; implicit-def: $sgpr48
.LBB143_1027:
	s_delay_alu instid0(SALU_CYCLE_1)
	s_and_not1_b32 vcc_lo, exec_lo, s2
	s_cbranch_vccnz .LBB143_1029
; %bb.1028:
	global_load_b32 v6, v[1:2], off
	s_and_not1_b32 s2, s48, exec_lo
	s_waitcnt vmcnt(0)
	v_cmp_neq_f32_e32 vcc_lo, 0, v6
	s_and_b32 s48, vcc_lo, exec_lo
	s_delay_alu instid0(SALU_CYCLE_1)
	s_or_b32 s48, s2, s48
.LBB143_1029:
	s_mov_b32 s2, 0
.LBB143_1030:
	s_delay_alu instid0(SALU_CYCLE_1)
	s_and_not1_b32 vcc_lo, exec_lo, s2
	s_cbranch_vccnz .LBB143_1032
; %bb.1031:
	global_load_u16 v6, v[1:2], off
	s_and_not1_b32 s2, s48, exec_lo
	s_waitcnt vmcnt(0)
	v_and_b32_e32 v6, 0x7fff, v6
	s_delay_alu instid0(VALU_DEP_1) | instskip(SKIP_1) | instid1(SALU_CYCLE_1)
	v_cmp_ne_u16_e32 vcc_lo, 0, v6
	s_and_b32 s48, vcc_lo, exec_lo
	s_or_b32 s48, s2, s48
.LBB143_1032:
	s_mov_b32 s2, 0
.LBB143_1033:
	s_delay_alu instid0(SALU_CYCLE_1)
	s_and_not1_b32 vcc_lo, exec_lo, s2
	s_cbranch_vccnz .LBB143_1053
; %bb.1034:
	v_cmp_gt_i16_e32 vcc_lo, 2, v3
	s_cbranch_vccnz .LBB143_1038
; %bb.1035:
	v_cmp_gt_i16_e32 vcc_lo, 3, v3
	s_cbranch_vccnz .LBB143_1039
; %bb.1036:
	v_cmp_lt_i16_e32 vcc_lo, 3, v3
	s_cbranch_vccz .LBB143_1040
; %bb.1037:
	global_load_b64 v[6:7], v[1:2], off
	s_mov_b32 s2, 0
	s_waitcnt vmcnt(0)
	v_cmp_ne_u64_e32 vcc_lo, 0, v[6:7]
	s_and_b32 s48, vcc_lo, exec_lo
	s_branch .LBB143_1041
.LBB143_1038:
	s_mov_b32 s2, -1
                                        ; implicit-def: $sgpr48
	s_branch .LBB143_1047
.LBB143_1039:
	s_mov_b32 s2, -1
                                        ; implicit-def: $sgpr48
	s_branch .LBB143_1044
.LBB143_1040:
	s_mov_b32 s2, -1
                                        ; implicit-def: $sgpr48
.LBB143_1041:
	s_delay_alu instid0(SALU_CYCLE_1)
	s_and_not1_b32 vcc_lo, exec_lo, s2
	s_cbranch_vccnz .LBB143_1043
; %bb.1042:
	global_load_b32 v6, v[1:2], off
	s_and_not1_b32 s2, s48, exec_lo
	s_waitcnt vmcnt(0)
	v_cmp_ne_u32_e32 vcc_lo, 0, v6
	s_and_b32 s48, vcc_lo, exec_lo
	s_delay_alu instid0(SALU_CYCLE_1)
	s_or_b32 s48, s2, s48
.LBB143_1043:
	s_mov_b32 s2, 0
.LBB143_1044:
	s_delay_alu instid0(SALU_CYCLE_1)
	s_and_not1_b32 vcc_lo, exec_lo, s2
	s_cbranch_vccnz .LBB143_1046
; %bb.1045:
	global_load_u16 v6, v[1:2], off
	s_and_not1_b32 s2, s48, exec_lo
	s_waitcnt vmcnt(0)
	v_cmp_ne_u16_e32 vcc_lo, 0, v6
	s_and_b32 s48, vcc_lo, exec_lo
	s_delay_alu instid0(SALU_CYCLE_1)
	s_or_b32 s48, s2, s48
.LBB143_1046:
	s_mov_b32 s2, 0
.LBB143_1047:
	s_delay_alu instid0(SALU_CYCLE_1)
	s_and_not1_b32 vcc_lo, exec_lo, s2
	s_cbranch_vccnz .LBB143_1053
; %bb.1048:
	v_cmp_lt_i16_e32 vcc_lo, 0, v3
	s_mov_b32 s2, 0
	s_cbranch_vccz .LBB143_1050
; %bb.1049:
	global_load_u8 v3, v[1:2], off
	s_waitcnt vmcnt(0)
	v_cmp_ne_u16_e32 vcc_lo, 0, v3
	s_and_b32 s48, vcc_lo, exec_lo
	s_branch .LBB143_1051
.LBB143_1050:
	s_mov_b32 s2, -1
                                        ; implicit-def: $sgpr48
.LBB143_1051:
	s_delay_alu instid0(SALU_CYCLE_1)
	s_and_not1_b32 vcc_lo, exec_lo, s2
	s_cbranch_vccnz .LBB143_1053
; %bb.1052:
	global_load_u8 v1, v[1:2], off
	s_and_not1_b32 s2, s48, exec_lo
	s_waitcnt vmcnt(0)
	v_cmp_ne_u16_e32 vcc_lo, 0, v1
	s_and_b32 s48, vcc_lo, exec_lo
	s_delay_alu instid0(SALU_CYCLE_1)
	s_or_b32 s48, s2, s48
.LBB143_1053:
	s_mov_b32 s2, -1
.LBB143_1054:
	s_delay_alu instid0(SALU_CYCLE_1)
	s_and_not1_b32 vcc_lo, exec_lo, s2
	s_cbranch_vccnz .LBB143_1062
; %bb.1055:
	v_cndmask_b32_e64 v1, 0, 1.0, s48
	s_waitcnt vmcnt(0)
	v_lshlrev_b32_e32 v2, 16, v5
	v_and_b32_e64 v3, 0xff, s11
	v_add_co_u32 v0, s2, s4, v0
	s_mov_b32 s47, 0
	s_delay_alu instid0(VALU_DEP_3) | instskip(NEXT) | instid1(VALU_DEP_3)
	v_mul_f32_e32 v1, v2, v1
	v_cmp_gt_i16_e32 vcc_lo, 11, v3
	s_mov_b32 s48, -1
	s_delay_alu instid0(VALU_DEP_2) | instskip(SKIP_1) | instid1(VALU_DEP_1)
	v_mul_f32_e32 v2, s10, v1
	s_and_b32 vcc_lo, exec_lo, vcc_lo
	v_bfe_u32 v1, v2, 16, 1
	s_delay_alu instid0(VALU_DEP_1) | instskip(NEXT) | instid1(VALU_DEP_1)
	v_add3_u32 v1, v2, v1, 0x7fff
	v_lshrrev_b32_e32 v5, 16, v1
	v_add_co_ci_u32_e64 v1, null, s5, 0, s2
	v_cmp_o_f32_e64 s2, v2, v2
	s_delay_alu instid0(VALU_DEP_1)
	v_cndmask_b32_e64 v2, 0x7fc0, v5, s2
	s_mov_b32 s2, s43
	s_cbranch_vccnz .LBB143_1063
; %bb.1056:
	v_cmp_lt_i16_e32 vcc_lo, 25, v3
	s_cbranch_vccz .LBB143_1126
; %bb.1057:
	v_cmp_lt_i16_e32 vcc_lo, 28, v3
	s_cbranch_vccz .LBB143_1128
	;; [unrolled: 3-line block ×4, first 2 shown]
; %bb.1060:
	v_cmp_eq_u16_e32 vcc_lo, 46, v3
	s_mov_b32 s48, 0
	s_mov_b32 s2, -1
	s_cbranch_vccz .LBB143_1133
; %bb.1061:
	v_and_b32_e32 v5, 0xffff, v2
	s_mov_b32 s47, -1
	s_mov_b32 s2, 0
	global_store_b32 v[0:1], v5, off
	s_branch .LBB143_1133
.LBB143_1062:
	s_mov_b32 s50, 0
	s_mov_b32 s2, s43
	s_branch .LBB143_1103
.LBB143_1063:
	s_and_b32 vcc_lo, exec_lo, s48
	s_cbranch_vccz .LBB143_1202
; %bb.1064:
	v_cmp_gt_i16_e32 vcc_lo, 5, v3
	s_mov_b32 s47, -1
	s_cbranch_vccnz .LBB143_1085
; %bb.1065:
	v_cmp_gt_i16_e32 vcc_lo, 8, v3
	s_cbranch_vccnz .LBB143_1075
; %bb.1066:
	v_cmp_gt_i16_e32 vcc_lo, 9, v3
	s_cbranch_vccnz .LBB143_1072
; %bb.1067:
	v_cmp_lt_i16_e32 vcc_lo, 9, v3
	s_cbranch_vccz .LBB143_1069
; %bb.1068:
	v_mov_b32_e32 v7, 0
	v_lshlrev_b32_e32 v5, 16, v2
	s_mov_b32 s47, 0
	s_delay_alu instid0(VALU_DEP_2) | instskip(NEXT) | instid1(VALU_DEP_2)
	v_mov_b32_e32 v8, v7
	v_cvt_f64_f32_e32 v[5:6], v5
	global_store_b128 v[0:1], v[5:8], off
.LBB143_1069:
	s_and_not1_b32 vcc_lo, exec_lo, s47
	s_cbranch_vccnz .LBB143_1071
; %bb.1070:
	v_dual_mov_b32 v6, 0 :: v_dual_lshlrev_b32 v5, 16, v2
	global_store_b64 v[0:1], v[5:6], off
.LBB143_1071:
	s_mov_b32 s47, 0
.LBB143_1072:
	s_delay_alu instid0(SALU_CYCLE_1)
	s_and_not1_b32 vcc_lo, exec_lo, s47
	s_cbranch_vccnz .LBB143_1074
; %bb.1073:
	v_lshlrev_b32_e32 v5, 16, v2
	s_delay_alu instid0(VALU_DEP_1) | instskip(NEXT) | instid1(VALU_DEP_1)
	v_cvt_f16_f32_e32 v5, v5
	v_and_b32_e32 v5, 0xffff, v5
	global_store_b32 v[0:1], v5, off
.LBB143_1074:
	s_mov_b32 s47, 0
.LBB143_1075:
	s_delay_alu instid0(SALU_CYCLE_1)
	s_and_not1_b32 vcc_lo, exec_lo, s47
	s_cbranch_vccnz .LBB143_1084
; %bb.1076:
	v_cmp_gt_i16_e32 vcc_lo, 6, v3
	s_mov_b32 s47, -1
	s_cbranch_vccnz .LBB143_1082
; %bb.1077:
	v_cmp_lt_i16_e32 vcc_lo, 6, v3
	s_cbranch_vccz .LBB143_1079
; %bb.1078:
	v_lshlrev_b32_e32 v5, 16, v2
	s_mov_b32 s47, 0
	s_delay_alu instid0(VALU_DEP_1)
	v_cvt_f64_f32_e32 v[5:6], v5
	global_store_b64 v[0:1], v[5:6], off
.LBB143_1079:
	s_and_not1_b32 vcc_lo, exec_lo, s47
	s_cbranch_vccnz .LBB143_1081
; %bb.1080:
	v_lshlrev_b32_e32 v5, 16, v2
	global_store_b32 v[0:1], v5, off
.LBB143_1081:
	s_mov_b32 s47, 0
.LBB143_1082:
	s_delay_alu instid0(SALU_CYCLE_1)
	s_and_not1_b32 vcc_lo, exec_lo, s47
	s_cbranch_vccnz .LBB143_1084
; %bb.1083:
	v_lshlrev_b32_e32 v5, 16, v2
	s_delay_alu instid0(VALU_DEP_1)
	v_cvt_f16_f32_e32 v5, v5
	global_store_b16 v[0:1], v5, off
.LBB143_1084:
	s_mov_b32 s47, 0
.LBB143_1085:
	s_delay_alu instid0(SALU_CYCLE_1)
	s_and_not1_b32 vcc_lo, exec_lo, s47
	s_cbranch_vccnz .LBB143_1101
; %bb.1086:
	v_cmp_gt_i16_e32 vcc_lo, 2, v3
	s_mov_b32 s47, -1
	s_cbranch_vccnz .LBB143_1096
; %bb.1087:
	v_cmp_gt_i16_e32 vcc_lo, 3, v3
	s_cbranch_vccnz .LBB143_1093
; %bb.1088:
	v_cmp_lt_i16_e32 vcc_lo, 3, v3
	s_cbranch_vccz .LBB143_1090
; %bb.1089:
	v_lshlrev_b32_e32 v5, 16, v2
	s_mov_b32 s47, 0
	s_delay_alu instid0(VALU_DEP_1) | instskip(NEXT) | instid1(VALU_DEP_1)
	v_trunc_f32_e32 v5, v5
	v_mul_f32_e64 v6, 0x2f800000, |v5|
	v_ashrrev_i32_e32 v8, 31, v5
	s_delay_alu instid0(VALU_DEP_2) | instskip(NEXT) | instid1(VALU_DEP_1)
	v_floor_f32_e32 v6, v6
	v_fma_f32 v7, 0xcf800000, v6, |v5|
	v_cvt_u32_f32_e32 v6, v6
	s_delay_alu instid0(VALU_DEP_2) | instskip(NEXT) | instid1(VALU_DEP_2)
	v_cvt_u32_f32_e32 v5, v7
	v_xor_b32_e32 v6, v6, v8
	s_delay_alu instid0(VALU_DEP_2) | instskip(NEXT) | instid1(VALU_DEP_1)
	v_xor_b32_e32 v5, v5, v8
	v_sub_co_u32 v5, vcc_lo, v5, v8
	s_delay_alu instid0(VALU_DEP_3)
	v_sub_co_ci_u32_e32 v6, vcc_lo, v6, v8, vcc_lo
	global_store_b64 v[0:1], v[5:6], off
.LBB143_1090:
	s_and_not1_b32 vcc_lo, exec_lo, s47
	s_cbranch_vccnz .LBB143_1092
; %bb.1091:
	v_lshlrev_b32_e32 v5, 16, v2
	s_delay_alu instid0(VALU_DEP_1)
	v_cvt_i32_f32_e32 v5, v5
	global_store_b32 v[0:1], v5, off
.LBB143_1092:
	s_mov_b32 s47, 0
.LBB143_1093:
	s_delay_alu instid0(SALU_CYCLE_1)
	s_and_not1_b32 vcc_lo, exec_lo, s47
	s_cbranch_vccnz .LBB143_1095
; %bb.1094:
	v_lshlrev_b32_e32 v5, 16, v2
	s_delay_alu instid0(VALU_DEP_1)
	v_cvt_i32_f32_e32 v5, v5
	global_store_b16 v[0:1], v5, off
.LBB143_1095:
	s_mov_b32 s47, 0
.LBB143_1096:
	s_delay_alu instid0(SALU_CYCLE_1)
	s_and_not1_b32 vcc_lo, exec_lo, s47
	s_cbranch_vccnz .LBB143_1101
; %bb.1097:
	v_cmp_lt_i16_e32 vcc_lo, 0, v3
	s_mov_b32 s47, -1
	s_cbranch_vccz .LBB143_1099
; %bb.1098:
	v_lshlrev_b32_e32 v3, 16, v2
	s_mov_b32 s47, 0
	s_delay_alu instid0(VALU_DEP_1)
	v_cvt_i32_f32_e32 v3, v3
	global_store_b8 v[0:1], v3, off
.LBB143_1099:
	s_and_not1_b32 vcc_lo, exec_lo, s47
	s_cbranch_vccnz .LBB143_1101
; %bb.1100:
	v_lshlrev_b32_e32 v2, 16, v2
	s_delay_alu instid0(VALU_DEP_1) | instskip(NEXT) | instid1(VALU_DEP_1)
	v_trunc_f32_e32 v2, v2
	v_mul_f32_e64 v3, 0x2f800000, |v2|
	s_delay_alu instid0(VALU_DEP_1) | instskip(NEXT) | instid1(VALU_DEP_1)
	v_floor_f32_e32 v3, v3
	v_fma_f32 v3, 0xcf800000, v3, |v2|
	v_ashrrev_i32_e32 v2, 31, v2
	s_delay_alu instid0(VALU_DEP_2) | instskip(NEXT) | instid1(VALU_DEP_1)
	v_cvt_u32_f32_e32 v3, v3
	v_xor_b32_e32 v3, v3, v2
	s_delay_alu instid0(VALU_DEP_1)
	v_sub_nc_u32_e32 v2, v3, v2
	global_store_b8 v[0:1], v2, off
.LBB143_1101:
	s_mov_b32 s47, 0
	s_branch .LBB143_1203
.LBB143_1102:
	s_mov_b32 s50, 0
.LBB143_1103:
                                        ; implicit-def: $vgpr4
.LBB143_1104:
	s_and_not1_b32 s48, s43, exec_lo
	s_and_b32 s2, s2, exec_lo
	s_and_b32 s47, s47, exec_lo
	s_or_b32 s48, s48, s2
	s_and_not1_b32 s2, s44, exec_lo
	s_and_not1_b32 s51, s42, exec_lo
	s_and_b32 s3, s3, exec_lo
	s_or_b32 s49, s2, s47
	s_or_b32 s47, s51, s3
	s_or_not1_b32 s51, s50, exec_lo
.LBB143_1105:
	s_or_b32 exec_lo, exec_lo, s46
	s_mov_b32 s3, 0
	s_mov_b32 s50, 0
	s_mov_b32 s2, 0
                                        ; implicit-def: $vgpr6
                                        ; implicit-def: $vgpr2_vgpr3
                                        ; implicit-def: $vgpr0
                                        ; implicit-def: $vgpr1
                                        ; implicit-def: $vgpr5
	s_and_saveexec_b32 s46, s51
	s_cbranch_execz .LBB143_1273
; %bb.1106:
	v_cmp_gt_i32_e32 vcc_lo, s36, v4
	s_mov_b32 s51, s47
	s_mov_b32 s52, 0
                                        ; implicit-def: $vgpr6
                                        ; implicit-def: $vgpr2_vgpr3
                                        ; implicit-def: $vgpr0
                                        ; implicit-def: $vgpr1
                                        ; implicit-def: $vgpr5
	s_and_saveexec_b32 s36, vcc_lo
	s_cbranch_execz .LBB143_1272
; %bb.1107:
	s_and_not1_b32 vcc_lo, exec_lo, s29
	s_cbranch_vccnz .LBB143_1113
; %bb.1108:
	v_dual_mov_b32 v0, 0 :: v_dual_mov_b32 v1, 0
	v_mov_b32_e32 v2, 0
	s_and_not1_b32 vcc_lo, exec_lo, s37
	s_mov_b32 s37, 0
	s_cbranch_vccnz .LBB143_1114
; %bb.1109:
	s_add_i32 s2, s35, 1
	v_dual_mov_b32 v1, 0 :: v_dual_mov_b32 v2, 0
	v_dual_mov_b32 v0, 0 :: v_dual_mov_b32 v3, v4
	s_and_b32 s50, s2, 30
	s_add_u32 s2, s20, 0xffffffec
	s_addc_u32 s3, s21, -1
	s_set_inst_prefetch_distance 0x1
	.p2align	6
.LBB143_1110:                           ; =>This Inner Loop Header: Depth=1
	s_clause 0x2
	s_load_b128 s[52:55], s[2:3], 0x18
	s_load_b64 s[60:61], s[2:3], 0x28
	s_load_b128 s[56:59], s[2:3], 0xd8
	s_waitcnt vmcnt(0) lgkmcnt(0)
	v_mul_hi_u32 v5, s53, v3
	s_delay_alu instid0(VALU_DEP_1) | instskip(NEXT) | instid1(VALU_DEP_1)
	v_add_nc_u32_e32 v5, v3, v5
	v_lshrrev_b32_e32 v5, s54, v5
	s_delay_alu instid0(VALU_DEP_1)
	v_mul_hi_u32 v6, s60, v5
	v_mul_lo_u32 v7, v5, s52
	s_load_b64 s[52:53], s[2:3], 0xe8
	s_add_u32 s2, s2, 24
	s_addc_u32 s3, s3, 0
	s_add_i32 s50, s50, -2
	s_delay_alu instid0(SALU_CYCLE_1) | instskip(NEXT) | instid1(VALU_DEP_2)
	s_cmp_eq_u32 s50, 0
	v_add_nc_u32_e32 v6, v5, v6
	s_delay_alu instid0(VALU_DEP_2) | instskip(NEXT) | instid1(VALU_DEP_2)
	v_sub_nc_u32_e32 v7, v3, v7
	v_lshrrev_b32_e32 v3, s61, v6
	s_delay_alu instid0(VALU_DEP_2) | instskip(NEXT) | instid1(VALU_DEP_2)
	v_mul_lo_u32 v8, v7, s56
	v_mul_lo_u32 v6, v3, s55
	s_delay_alu instid0(VALU_DEP_1) | instskip(SKIP_2) | instid1(VALU_DEP_3)
	v_sub_nc_u32_e32 v5, v5, v6
	v_mul_lo_u32 v6, v7, s57
	v_mul_lo_u32 v7, v7, s58
	;; [unrolled: 1-line block ×3, first 2 shown]
	s_waitcnt lgkmcnt(0)
	v_mul_lo_u32 v10, v5, s52
	v_mul_lo_u32 v5, v5, s53
	s_delay_alu instid0(VALU_DEP_3) | instskip(NEXT) | instid1(VALU_DEP_3)
	v_add3_u32 v0, v8, v0, v9
	v_add3_u32 v2, v6, v2, v10
	s_delay_alu instid0(VALU_DEP_3)
	v_add3_u32 v1, v7, v1, v5
	s_cbranch_scc0 .LBB143_1110
; %bb.1111:
	s_set_inst_prefetch_distance 0x2
	s_bitcmp1_b32 s35, 0
	s_cselect_b32 s35, -1, 0
	s_delay_alu instid0(SALU_CYCLE_1)
	s_and_b32 vcc_lo, exec_lo, s35
	s_cbranch_vccnz .LBB143_1114
; %bb.1112:
	s_clause 0x3
	s_load_b64 s[50:51], s[2:3], 0x18
	s_load_b32 s35, s[2:3], 0x20
	s_load_b64 s[52:53], s[2:3], 0xd8
	s_load_b32 s2, s[2:3], 0xe0
	s_waitcnt lgkmcnt(0)
	v_mul_hi_u32 v5, s51, v3
	s_delay_alu instid0(VALU_DEP_1) | instskip(NEXT) | instid1(VALU_DEP_1)
	v_add_nc_u32_e32 v5, v3, v5
	v_lshrrev_b32_e32 v5, s35, v5
	s_delay_alu instid0(VALU_DEP_1) | instskip(NEXT) | instid1(VALU_DEP_1)
	v_mul_lo_u32 v5, v5, s50
	v_sub_nc_u32_e32 v3, v3, v5
	s_delay_alu instid0(VALU_DEP_1) | instskip(SKIP_2) | instid1(VALU_DEP_3)
	v_mad_u64_u32 v[5:6], null, v3, s52, v[0:1]
	v_mad_u64_u32 v[6:7], null, v3, s53, v[2:3]
	;; [unrolled: 1-line block ×3, first 2 shown]
	v_mov_b32_e32 v0, v5
	s_delay_alu instid0(VALU_DEP_2)
	v_dual_mov_b32 v2, v6 :: v_dual_mov_b32 v1, v7
	s_branch .LBB143_1114
.LBB143_1113:
	s_mov_b32 s37, -1
                                        ; implicit-def: $vgpr0
                                        ; implicit-def: $vgpr2
                                        ; implicit-def: $vgpr1
.LBB143_1114:
	s_delay_alu instid0(SALU_CYCLE_1)
	s_and_not1_b32 vcc_lo, exec_lo, s37
	s_cbranch_vccnz .LBB143_1117
; %bb.1115:
	v_mul_hi_u32 v0, s17, v4
	s_and_not1_b32 vcc_lo, exec_lo, s34
	s_delay_alu instid0(VALU_DEP_1) | instskip(NEXT) | instid1(VALU_DEP_1)
	v_add_nc_u32_e32 v0, v4, v0
	v_lshrrev_b32_e32 v3, s18, v0
	s_delay_alu instid0(VALU_DEP_1) | instskip(NEXT) | instid1(VALU_DEP_1)
	v_mul_lo_u32 v0, v3, s16
	v_sub_nc_u32_e32 v1, v4, v0
	s_delay_alu instid0(VALU_DEP_1)
	v_mul_lo_u32 v0, v1, s12
	v_mul_lo_u32 v2, v1, s13
	;; [unrolled: 1-line block ×3, first 2 shown]
	s_cbranch_vccnz .LBB143_1117
; %bb.1116:
	v_mul_hi_u32 v4, s24, v3
	s_delay_alu instid0(VALU_DEP_1) | instskip(NEXT) | instid1(VALU_DEP_1)
	v_add_nc_u32_e32 v4, v3, v4
	v_lshrrev_b32_e32 v4, s25, v4
	s_delay_alu instid0(VALU_DEP_1) | instskip(NEXT) | instid1(VALU_DEP_1)
	v_mul_lo_u32 v4, v4, s19
	v_sub_nc_u32_e32 v7, v3, v4
	s_delay_alu instid0(VALU_DEP_1) | instskip(SKIP_1) | instid1(VALU_DEP_1)
	v_mad_u64_u32 v[3:4], null, v7, s15, v[0:1]
	s_waitcnt vmcnt(0)
	v_mad_u64_u32 v[4:5], null, v7, s22, v[2:3]
	v_mad_u64_u32 v[5:6], null, v7, s23, v[1:2]
	v_mov_b32_e32 v0, v3
	s_delay_alu instid0(VALU_DEP_2)
	v_dual_mov_b32 v2, v4 :: v_dual_mov_b32 v1, v5
.LBB143_1117:
	v_and_b32_e64 v6, 0xff, s33
	s_delay_alu instid0(VALU_DEP_2) | instskip(NEXT) | instid1(VALU_DEP_1)
	v_add_co_u32 v2, s2, s6, v2
	v_add_co_ci_u32_e64 v3, null, s7, 0, s2
	s_delay_alu instid0(VALU_DEP_3)
	v_cmp_gt_i16_e32 vcc_lo, 11, v6
	s_mov_b32 s6, 0
	s_cbranch_vccnz .LBB143_1124
; %bb.1118:
	v_cmp_lt_i16_e32 vcc_lo, 25, v6
	s_mov_b32 s3, 0
	s_cbranch_vccz .LBB143_1125
; %bb.1119:
	v_cmp_lt_i16_e32 vcc_lo, 28, v6
	s_cbranch_vccz .LBB143_1127
; %bb.1120:
	v_cmp_lt_i16_e32 vcc_lo, 43, v6
	;; [unrolled: 3-line block ×3, first 2 shown]
	s_cbranch_vccz .LBB143_1131
; %bb.1122:
	v_cmp_eq_u16_e32 vcc_lo, 46, v6
	s_mov_b32 s7, 0
	s_cbranch_vccz .LBB143_1204
; %bb.1123:
	global_load_b32 v5, v[2:3], off
	s_mov_b32 s2, 0
	s_mov_b32 s6, -1
	s_branch .LBB143_1206
.LBB143_1124:
	s_mov_b32 s7, -1
	s_mov_b32 s3, 0
	s_mov_b32 s2, s47
                                        ; implicit-def: $vgpr5
	s_branch .LBB143_1271
.LBB143_1125:
	s_mov_b32 s7, -1
	s_mov_b32 s2, s47
                                        ; implicit-def: $vgpr5
	s_branch .LBB143_1237
.LBB143_1126:
	s_mov_b32 s2, s43
	s_branch .LBB143_1160
.LBB143_1127:
	s_mov_b32 s7, -1
	s_mov_b32 s2, s47
                                        ; implicit-def: $vgpr5
	s_branch .LBB143_1218
.LBB143_1128:
	s_mov_b32 s2, s43
	s_branch .LBB143_1143
.LBB143_1129:
	s_mov_b32 s7, -1
	s_mov_b32 s2, s47
                                        ; implicit-def: $vgpr5
	s_branch .LBB143_1213
.LBB143_1130:
	s_mov_b32 s2, s43
	s_branch .LBB143_1139
.LBB143_1131:
	s_mov_b32 s7, -1
	s_mov_b32 s2, s47
	s_branch .LBB143_1205
.LBB143_1132:
	s_mov_b32 s2, s43
.LBB143_1133:
	s_and_b32 vcc_lo, exec_lo, s48
	s_cbranch_vccz .LBB143_1138
; %bb.1134:
	v_cmp_eq_u16_e32 vcc_lo, 44, v3
	s_mov_b32 s2, -1
	s_cbranch_vccz .LBB143_1138
; %bb.1135:
	v_and_b32_e32 v5, 0xffff, v2
	v_mov_b32_e32 v6, 0xff
	s_mov_b32 s47, exec_lo
	s_delay_alu instid0(VALU_DEP_2) | instskip(NEXT) | instid1(VALU_DEP_1)
	v_bfe_u32 v7, v5, 7, 8
	v_cmpx_ne_u32_e32 0xff, v7
; %bb.1136:
	v_lshlrev_b32_e32 v6, 16, v5
	v_and_b32_e32 v8, 64, v5
	v_lshrrev_b32_e32 v5, 7, v5
	s_delay_alu instid0(VALU_DEP_3) | instskip(NEXT) | instid1(VALU_DEP_3)
	v_and_or_b32 v6, 0x3f0000, v6, v7
	v_cmp_ne_u32_e32 vcc_lo, 0, v8
	s_delay_alu instid0(VALU_DEP_2) | instskip(NEXT) | instid1(VALU_DEP_1)
	v_cmp_ne_u32_e64 s2, 0, v6
	s_and_b32 s2, vcc_lo, s2
	s_delay_alu instid0(SALU_CYCLE_1) | instskip(NEXT) | instid1(VALU_DEP_1)
	v_cndmask_b32_e64 v6, 0, 1, s2
	v_add_nc_u32_e32 v6, v5, v6
; %bb.1137:
	s_or_b32 exec_lo, exec_lo, s47
	s_mov_b32 s47, -1
	s_mov_b32 s2, 0
	global_store_b8 v[0:1], v6, off
.LBB143_1138:
	s_mov_b32 s48, 0
.LBB143_1139:
	s_delay_alu instid0(SALU_CYCLE_1)
	s_and_b32 vcc_lo, exec_lo, s48
	s_cbranch_vccz .LBB143_1142
; %bb.1140:
	v_cmp_eq_u16_e32 vcc_lo, 29, v3
	s_mov_b32 s2, -1
	s_cbranch_vccz .LBB143_1142
; %bb.1141:
	v_lshlrev_b32_e32 v5, 16, v2
	s_mov_b32 s47, -1
	s_mov_b32 s2, 0
	s_mov_b32 s48, 0
	s_delay_alu instid0(VALU_DEP_1) | instskip(NEXT) | instid1(VALU_DEP_1)
	v_trunc_f32_e32 v5, v5
	v_mul_f32_e32 v6, 0x2f800000, v5
	s_delay_alu instid0(VALU_DEP_1) | instskip(NEXT) | instid1(VALU_DEP_1)
	v_floor_f32_e32 v6, v6
	v_fmamk_f32 v5, v6, 0xcf800000, v5
	v_cvt_u32_f32_e32 v6, v6
	s_delay_alu instid0(VALU_DEP_2)
	v_cvt_u32_f32_e32 v5, v5
	global_store_b64 v[0:1], v[5:6], off
	s_branch .LBB143_1143
.LBB143_1142:
	s_mov_b32 s48, 0
.LBB143_1143:
	s_delay_alu instid0(SALU_CYCLE_1)
	s_and_b32 vcc_lo, exec_lo, s48
	s_cbranch_vccz .LBB143_1159
; %bb.1144:
	v_cmp_gt_i16_e32 vcc_lo, 27, v3
	s_mov_b32 s47, -1
	s_cbranch_vccnz .LBB143_1150
; %bb.1145:
	v_cmp_lt_i16_e32 vcc_lo, 27, v3
	s_cbranch_vccz .LBB143_1147
; %bb.1146:
	v_lshlrev_b32_e32 v5, 16, v2
	s_mov_b32 s47, 0
	s_delay_alu instid0(VALU_DEP_1)
	v_cvt_u32_f32_e32 v5, v5
	global_store_b32 v[0:1], v5, off
.LBB143_1147:
	s_and_not1_b32 vcc_lo, exec_lo, s47
	s_cbranch_vccnz .LBB143_1149
; %bb.1148:
	v_lshlrev_b32_e32 v5, 16, v2
	s_delay_alu instid0(VALU_DEP_1)
	v_cvt_u32_f32_e32 v5, v5
	global_store_b16 v[0:1], v5, off
.LBB143_1149:
	s_mov_b32 s47, 0
.LBB143_1150:
	s_delay_alu instid0(SALU_CYCLE_1)
	s_and_not1_b32 vcc_lo, exec_lo, s47
	s_cbranch_vccnz .LBB143_1158
; %bb.1151:
	v_dual_mov_b32 v8, 0x80 :: v_dual_lshlrev_b32 v7, 16, v2
	s_mov_b32 s47, exec_lo
	s_delay_alu instid0(VALU_DEP_1) | instskip(NEXT) | instid1(VALU_DEP_1)
	v_and_b32_e32 v6, 0x7fffffff, v7
	v_cmpx_gt_u32_e32 0x43800000, v6
	s_cbranch_execz .LBB143_1157
; %bb.1152:
	v_and_b32_e32 v5, 0xffff, v2
	v_cmp_lt_u32_e32 vcc_lo, 0x3bffffff, v6
	s_mov_b32 s48, 0
                                        ; implicit-def: $vgpr6
	s_and_saveexec_b32 s49, vcc_lo
	s_delay_alu instid0(SALU_CYCLE_1)
	s_xor_b32 s49, exec_lo, s49
	s_cbranch_execz .LBB143_1209
; %bb.1153:
	v_bfe_u32 v6, v5, 4, 1
	s_mov_b32 s48, exec_lo
	s_delay_alu instid0(VALU_DEP_1) | instskip(NEXT) | instid1(VALU_DEP_1)
	v_add3_u32 v6, v7, v6, 0x487ffff
                                        ; implicit-def: $vgpr7
	v_lshrrev_b32_e32 v6, 20, v6
	s_or_saveexec_b32 s49, s49
                                        ; implicit-def: $sgpr50
	s_delay_alu instid0(SALU_CYCLE_1)
	s_xor_b32 exec_lo, exec_lo, s49
	s_cbranch_execnz .LBB143_1210
.LBB143_1154:
	s_or_b32 exec_lo, exec_lo, s49
	v_mov_b32_e32 v8, s50
	s_and_saveexec_b32 s49, s48
.LBB143_1155:
	v_lshrrev_b32_e32 v5, 8, v5
	s_delay_alu instid0(VALU_DEP_1)
	v_and_or_b32 v8, 0x80, v5, v6
.LBB143_1156:
	s_or_b32 exec_lo, exec_lo, s49
.LBB143_1157:
	s_delay_alu instid0(SALU_CYCLE_1)
	s_or_b32 exec_lo, exec_lo, s47
	global_store_b8 v[0:1], v8, off
.LBB143_1158:
	s_mov_b32 s47, -1
.LBB143_1159:
	s_mov_b32 s48, 0
.LBB143_1160:
	s_delay_alu instid0(SALU_CYCLE_1)
	s_and_b32 vcc_lo, exec_lo, s48
	s_cbranch_vccz .LBB143_1201
; %bb.1161:
	v_cmp_lt_i16_e32 vcc_lo, 22, v3
	s_mov_b32 s48, -1
	s_cbranch_vccz .LBB143_1193
; %bb.1162:
	v_cmp_gt_i16_e32 vcc_lo, 24, v3
	s_mov_b32 s47, -1
	s_cbranch_vccnz .LBB143_1182
; %bb.1163:
	v_cmp_lt_i16_e32 vcc_lo, 24, v3
	s_cbranch_vccz .LBB143_1171
; %bb.1164:
	v_dual_mov_b32 v8, 0x80 :: v_dual_lshlrev_b32 v7, 16, v2
	s_mov_b32 s47, exec_lo
	s_delay_alu instid0(VALU_DEP_1) | instskip(NEXT) | instid1(VALU_DEP_1)
	v_and_b32_e32 v6, 0x7fffffff, v7
	v_cmpx_gt_u32_e32 0x47800000, v6
	s_cbranch_execz .LBB143_1170
; %bb.1165:
	v_and_b32_e32 v5, 0xffff, v2
	v_cmp_lt_u32_e32 vcc_lo, 0x37ffffff, v6
	s_mov_b32 s48, 0
                                        ; implicit-def: $vgpr6
	s_and_saveexec_b32 s49, vcc_lo
	s_delay_alu instid0(SALU_CYCLE_1)
	s_xor_b32 s49, exec_lo, s49
	s_cbranch_execz .LBB143_2291
; %bb.1166:
	v_bfe_u32 v6, v5, 5, 1
	s_mov_b32 s48, exec_lo
	s_delay_alu instid0(VALU_DEP_1) | instskip(NEXT) | instid1(VALU_DEP_1)
	v_add3_u32 v6, v7, v6, 0x88fffff
                                        ; implicit-def: $vgpr7
	v_lshrrev_b32_e32 v6, 21, v6
	s_or_saveexec_b32 s49, s49
                                        ; implicit-def: $sgpr50
	s_delay_alu instid0(SALU_CYCLE_1)
	s_xor_b32 exec_lo, exec_lo, s49
	s_cbranch_execnz .LBB143_2292
.LBB143_1167:
	s_or_b32 exec_lo, exec_lo, s49
	v_mov_b32_e32 v8, s50
	s_and_saveexec_b32 s49, s48
.LBB143_1168:
	v_lshrrev_b32_e32 v5, 8, v5
	s_delay_alu instid0(VALU_DEP_1)
	v_and_or_b32 v8, 0x80, v5, v6
.LBB143_1169:
	s_or_b32 exec_lo, exec_lo, s49
.LBB143_1170:
	s_delay_alu instid0(SALU_CYCLE_1)
	s_or_b32 exec_lo, exec_lo, s47
	s_mov_b32 s47, 0
	global_store_b8 v[0:1], v8, off
.LBB143_1171:
	s_and_b32 vcc_lo, exec_lo, s47
	s_cbranch_vccz .LBB143_1181
; %bb.1172:
	v_lshlrev_b32_e32 v7, 16, v2
	v_and_b32_e32 v5, 0xffff, v2
	s_mov_b32 s47, exec_lo
                                        ; implicit-def: $vgpr6
	s_delay_alu instid0(VALU_DEP_2) | instskip(NEXT) | instid1(VALU_DEP_1)
	v_and_b32_e32 v8, 0x7fffffff, v7
	v_cmpx_gt_u32_e32 0x43f00000, v8
	s_xor_b32 s47, exec_lo, s47
	s_cbranch_execz .LBB143_1178
; %bb.1173:
	s_mov_b32 s48, exec_lo
                                        ; implicit-def: $vgpr6
	v_cmpx_lt_u32_e32 0x3c7fffff, v8
	s_xor_b32 s48, exec_lo, s48
; %bb.1174:
	v_bfe_u32 v6, v5, 4, 1
	s_delay_alu instid0(VALU_DEP_1) | instskip(NEXT) | instid1(VALU_DEP_1)
	v_add3_u32 v6, v7, v6, 0x407ffff
	v_and_b32_e32 v7, 0xff00000, v6
	v_lshrrev_b32_e32 v6, 20, v6
	s_delay_alu instid0(VALU_DEP_2) | instskip(NEXT) | instid1(VALU_DEP_2)
	v_cmp_ne_u32_e32 vcc_lo, 0x7f00000, v7
                                        ; implicit-def: $vgpr7
	v_cndmask_b32_e32 v6, 0x7e, v6, vcc_lo
; %bb.1175:
	s_and_not1_saveexec_b32 s48, s48
; %bb.1176:
	v_add_f32_e64 v6, 0x46800000, |v7|
; %bb.1177:
	s_or_b32 exec_lo, exec_lo, s48
                                        ; implicit-def: $vgpr8
.LBB143_1178:
	s_and_not1_saveexec_b32 s47, s47
; %bb.1179:
	v_mov_b32_e32 v6, 0x7f
	v_cmp_lt_u32_e32 vcc_lo, 0x7f800000, v8
	s_delay_alu instid0(VALU_DEP_2)
	v_cndmask_b32_e32 v6, 0x7e, v6, vcc_lo
; %bb.1180:
	s_or_b32 exec_lo, exec_lo, s47
	v_lshrrev_b32_e32 v5, 8, v5
	s_delay_alu instid0(VALU_DEP_1)
	v_and_or_b32 v5, 0x80, v5, v6
	global_store_b8 v[0:1], v5, off
.LBB143_1181:
	s_mov_b32 s47, 0
.LBB143_1182:
	s_delay_alu instid0(SALU_CYCLE_1)
	s_and_not1_b32 vcc_lo, exec_lo, s47
	s_cbranch_vccnz .LBB143_1192
; %bb.1183:
	v_lshlrev_b32_e32 v7, 16, v2
	v_and_b32_e32 v5, 0xffff, v2
	s_mov_b32 s47, exec_lo
                                        ; implicit-def: $vgpr6
	s_delay_alu instid0(VALU_DEP_2) | instskip(NEXT) | instid1(VALU_DEP_1)
	v_and_b32_e32 v8, 0x7fffffff, v7
	v_cmpx_gt_u32_e32 0x47800000, v8
	s_xor_b32 s47, exec_lo, s47
	s_cbranch_execz .LBB143_1189
; %bb.1184:
	s_mov_b32 s48, exec_lo
                                        ; implicit-def: $vgpr6
	v_cmpx_lt_u32_e32 0x387fffff, v8
	s_xor_b32 s48, exec_lo, s48
; %bb.1185:
	v_bfe_u32 v6, v5, 5, 1
	s_delay_alu instid0(VALU_DEP_1) | instskip(NEXT) | instid1(VALU_DEP_1)
	v_add3_u32 v6, v7, v6, 0x80fffff
                                        ; implicit-def: $vgpr7
	v_lshrrev_b32_e32 v6, 21, v6
; %bb.1186:
	s_and_not1_saveexec_b32 s48, s48
; %bb.1187:
	v_add_f32_e64 v6, 0x43000000, |v7|
; %bb.1188:
	s_or_b32 exec_lo, exec_lo, s48
                                        ; implicit-def: $vgpr8
.LBB143_1189:
	s_and_not1_saveexec_b32 s47, s47
; %bb.1190:
	v_mov_b32_e32 v6, 0x7f
	v_cmp_lt_u32_e32 vcc_lo, 0x7f800000, v8
	s_delay_alu instid0(VALU_DEP_2)
	v_cndmask_b32_e32 v6, 0x7c, v6, vcc_lo
; %bb.1191:
	s_or_b32 exec_lo, exec_lo, s47
	v_lshrrev_b32_e32 v5, 8, v5
	s_delay_alu instid0(VALU_DEP_1)
	v_and_or_b32 v5, 0x80, v5, v6
	global_store_b8 v[0:1], v5, off
.LBB143_1192:
	s_mov_b32 s48, 0
	s_mov_b32 s47, -1
.LBB143_1193:
	s_and_not1_b32 vcc_lo, exec_lo, s48
	s_cbranch_vccnz .LBB143_1201
; %bb.1194:
	v_cmp_lt_i16_e32 vcc_lo, 14, v3
	s_mov_b32 s48, -1
	s_cbranch_vccz .LBB143_1198
; %bb.1195:
	v_cmp_eq_u16_e32 vcc_lo, 15, v3
	s_mov_b32 s2, -1
	s_cbranch_vccz .LBB143_1197
; %bb.1196:
	s_mov_b32 s47, -1
	s_mov_b32 s2, 0
	global_store_b16 v[0:1], v2, off
.LBB143_1197:
	s_mov_b32 s48, 0
.LBB143_1198:
	s_delay_alu instid0(SALU_CYCLE_1)
	s_and_b32 vcc_lo, exec_lo, s48
	s_cbranch_vccz .LBB143_1201
; %bb.1199:
	v_cmp_eq_u16_e32 vcc_lo, 11, v3
	s_mov_b32 s2, -1
	s_cbranch_vccz .LBB143_1201
; %bb.1200:
	v_and_b32_e32 v5, 0x7fff, v2
	s_mov_b32 s2, 0
	s_mov_b32 s47, -1
	s_delay_alu instid0(VALU_DEP_1)
	v_cmp_ne_u16_e32 vcc_lo, 0, v5
	v_cndmask_b32_e64 v5, 0, 1, vcc_lo
	global_store_b8 v[0:1], v5, off
.LBB143_1201:
.LBB143_1202:
	s_and_not1_b32 vcc_lo, exec_lo, s47
	s_mov_b32 s47, 0
	s_cbranch_vccnz .LBB143_1102
.LBB143_1203:
	v_add_nc_u32_e32 v4, 0x80, v4
	s_mov_b32 s50, -1
	s_branch .LBB143_1104
.LBB143_1204:
	s_mov_b32 s2, -1
.LBB143_1205:
                                        ; implicit-def: $vgpr5
.LBB143_1206:
	s_and_b32 vcc_lo, exec_lo, s7
	s_cbranch_vccz .LBB143_1212
; %bb.1207:
	v_cmp_eq_u16_e32 vcc_lo, 44, v6
	s_cbranch_vccz .LBB143_1211
; %bb.1208:
	global_load_u8 v4, v[2:3], off
	s_mov_b32 s2, 0
	s_mov_b32 s6, -1
	s_waitcnt vmcnt(0)
	v_lshlrev_b32_e32 v5, 23, v4
	v_cmp_ne_u32_e32 vcc_lo, 0xff, v4
	s_delay_alu instid0(VALU_DEP_2) | instskip(SKIP_1) | instid1(VALU_DEP_2)
	v_cndmask_b32_e32 v5, 0x7f800001, v5, vcc_lo
	v_cmp_ne_u32_e32 vcc_lo, 0, v4
	v_cndmask_b32_e32 v4, 0x400000, v5, vcc_lo
	s_delay_alu instid0(VALU_DEP_1) | instskip(SKIP_1) | instid1(VALU_DEP_2)
	v_add_nc_u32_e32 v5, 0x7fff, v4
	v_cmp_o_f32_e32 vcc_lo, v4, v4
	v_lshrrev_b32_e32 v5, 16, v5
	s_delay_alu instid0(VALU_DEP_1)
	v_cndmask_b32_e32 v5, 0x7fc0, v5, vcc_lo
	s_branch .LBB143_1212
.LBB143_1209:
	s_or_saveexec_b32 s49, s49
                                        ; implicit-def: $sgpr50
	s_delay_alu instid0(SALU_CYCLE_1)
	s_xor_b32 exec_lo, exec_lo, s49
	s_cbranch_execz .LBB143_1154
.LBB143_1210:
	v_add_f32_e64 v6, 0x46000000, |v7|
	s_and_not1_b32 s48, s48, exec_lo
	s_mov_b32 s50, 0
	s_delay_alu instid0(VALU_DEP_1) | instskip(NEXT) | instid1(VALU_DEP_1)
	v_and_b32_e32 v6, 0xff, v6
	v_cmp_ne_u32_e32 vcc_lo, 0, v6
	s_and_b32 s51, vcc_lo, exec_lo
	s_delay_alu instid0(SALU_CYCLE_1)
	s_or_b32 s48, s48, s51
	s_or_b32 exec_lo, exec_lo, s49
	v_mov_b32_e32 v8, s50
	s_and_saveexec_b32 s49, s48
	s_cbranch_execnz .LBB143_1155
	s_branch .LBB143_1156
.LBB143_1211:
	s_mov_b32 s2, -1
                                        ; implicit-def: $vgpr5
.LBB143_1212:
	s_mov_b32 s7, 0
.LBB143_1213:
	s_delay_alu instid0(SALU_CYCLE_1)
	s_and_b32 vcc_lo, exec_lo, s7
	s_cbranch_vccz .LBB143_1217
; %bb.1214:
	v_cmp_eq_u16_e32 vcc_lo, 29, v6
	s_cbranch_vccz .LBB143_1216
; %bb.1215:
	global_load_b64 v[4:5], v[2:3], off
	s_mov_b32 s2, 0
	s_mov_b32 s6, -1
	s_mov_b32 s7, 0
	s_waitcnt vmcnt(0)
	v_clz_i32_u32_e32 v7, v5
	s_delay_alu instid0(VALU_DEP_1) | instskip(NEXT) | instid1(VALU_DEP_1)
	v_min_u32_e32 v7, 32, v7
	v_lshlrev_b64 v[4:5], v7, v[4:5]
	s_delay_alu instid0(VALU_DEP_1) | instskip(NEXT) | instid1(VALU_DEP_1)
	v_min_u32_e32 v4, 1, v4
	v_or_b32_e32 v4, v5, v4
	v_sub_nc_u32_e32 v5, 32, v7
	s_delay_alu instid0(VALU_DEP_2) | instskip(NEXT) | instid1(VALU_DEP_1)
	v_cvt_f32_u32_e32 v4, v4
	v_ldexp_f32 v4, v4, v5
	s_delay_alu instid0(VALU_DEP_1) | instskip(NEXT) | instid1(VALU_DEP_1)
	v_bfe_u32 v5, v4, 16, 1
	v_add3_u32 v4, v4, v5, 0x7fff
	s_delay_alu instid0(VALU_DEP_1)
	v_lshrrev_b32_e32 v5, 16, v4
	s_branch .LBB143_1218
.LBB143_1216:
	s_mov_b32 s2, -1
                                        ; implicit-def: $vgpr5
.LBB143_1217:
	s_mov_b32 s7, 0
.LBB143_1218:
	s_delay_alu instid0(SALU_CYCLE_1)
	s_and_b32 vcc_lo, exec_lo, s7
	s_cbranch_vccz .LBB143_1236
; %bb.1219:
	v_cmp_gt_i16_e32 vcc_lo, 27, v6
	s_cbranch_vccnz .LBB143_1222
; %bb.1220:
	v_cmp_lt_i16_e32 vcc_lo, 27, v6
	s_cbranch_vccz .LBB143_1223
; %bb.1221:
	global_load_b32 v4, v[2:3], off
	s_mov_b32 s6, 0
	s_waitcnt vmcnt(0)
	v_cvt_f32_u32_e32 v4, v4
	s_delay_alu instid0(VALU_DEP_1) | instskip(NEXT) | instid1(VALU_DEP_1)
	v_bfe_u32 v5, v4, 16, 1
	v_add3_u32 v4, v4, v5, 0x7fff
	s_delay_alu instid0(VALU_DEP_1)
	v_lshrrev_b32_e32 v5, 16, v4
	s_branch .LBB143_1224
.LBB143_1222:
	s_mov_b32 s6, -1
                                        ; implicit-def: $vgpr5
	s_branch .LBB143_1227
.LBB143_1223:
	s_mov_b32 s6, -1
                                        ; implicit-def: $vgpr5
.LBB143_1224:
	s_delay_alu instid0(SALU_CYCLE_1)
	s_and_not1_b32 vcc_lo, exec_lo, s6
	s_cbranch_vccnz .LBB143_1226
; %bb.1225:
	global_load_u16 v4, v[2:3], off
	s_waitcnt vmcnt(0)
	v_cvt_f32_u32_e32 v4, v4
	s_delay_alu instid0(VALU_DEP_1) | instskip(NEXT) | instid1(VALU_DEP_1)
	v_bfe_u32 v5, v4, 16, 1
	v_add3_u32 v4, v4, v5, 0x7fff
	s_delay_alu instid0(VALU_DEP_1)
	v_lshrrev_b32_e32 v5, 16, v4
.LBB143_1226:
	s_mov_b32 s6, 0
.LBB143_1227:
	s_delay_alu instid0(SALU_CYCLE_1)
	s_and_not1_b32 vcc_lo, exec_lo, s6
	s_cbranch_vccnz .LBB143_1235
; %bb.1228:
	global_load_u8 v4, v[2:3], off
	s_mov_b32 s6, 0
	s_mov_b32 s12, exec_lo
                                        ; implicit-def: $sgpr7
	s_waitcnt vmcnt(0)
	v_cmpx_lt_i16_e32 0x7f, v4
	s_xor_b32 s12, exec_lo, s12
	s_cbranch_execz .LBB143_1249
; %bb.1229:
	s_mov_b32 s6, -1
	s_mov_b32 s13, exec_lo
                                        ; implicit-def: $sgpr7
	v_cmpx_eq_u16_e32 0x80, v4
; %bb.1230:
	s_mov_b32 s7, 0x7f800001
	s_xor_b32 s6, exec_lo, -1
; %bb.1231:
	s_or_b32 exec_lo, exec_lo, s13
	s_delay_alu instid0(SALU_CYCLE_1)
	s_and_b32 s6, s6, exec_lo
	s_or_saveexec_b32 s12, s12
	v_mov_b32_e32 v5, s7
	s_xor_b32 exec_lo, exec_lo, s12
	s_cbranch_execnz .LBB143_1250
.LBB143_1232:
	s_or_b32 exec_lo, exec_lo, s12
	s_and_saveexec_b32 s7, s6
	s_cbranch_execz .LBB143_1234
.LBB143_1233:
	v_and_b32_e32 v5, 0xffff, v4
	s_delay_alu instid0(VALU_DEP_1) | instskip(NEXT) | instid1(VALU_DEP_1)
	v_and_b32_e32 v7, 7, v5
	v_clz_i32_u32_e32 v8, v7
	s_delay_alu instid0(VALU_DEP_1) | instskip(NEXT) | instid1(VALU_DEP_1)
	v_min_u32_e32 v8, 32, v8
	v_subrev_nc_u32_e32 v9, 28, v8
	v_sub_nc_u32_e32 v8, 29, v8
	s_delay_alu instid0(VALU_DEP_2) | instskip(SKIP_1) | instid1(VALU_DEP_2)
	v_lshlrev_b32_e32 v9, v9, v5
	v_bfe_u32 v5, v5, 3, 4
	v_and_b32_e32 v9, 7, v9
	s_delay_alu instid0(VALU_DEP_2) | instskip(NEXT) | instid1(VALU_DEP_2)
	v_cmp_eq_u32_e32 vcc_lo, 0, v5
	v_dual_cndmask_b32 v7, v7, v9 :: v_dual_lshlrev_b32 v4, 24, v4
	v_cndmask_b32_e32 v5, v5, v8, vcc_lo
	s_delay_alu instid0(VALU_DEP_2) | instskip(NEXT) | instid1(VALU_DEP_3)
	v_and_b32_e32 v4, 0x80000000, v4
	v_lshlrev_b32_e32 v7, 20, v7
	s_delay_alu instid0(VALU_DEP_3) | instskip(NEXT) | instid1(VALU_DEP_1)
	v_lshl_add_u32 v5, v5, 23, 0x3b800000
	v_or3_b32 v5, v4, v5, v7
.LBB143_1234:
	s_or_b32 exec_lo, exec_lo, s7
	s_delay_alu instid0(VALU_DEP_1) | instskip(SKIP_1) | instid1(VALU_DEP_2)
	v_bfe_u32 v4, v5, 16, 1
	v_cmp_o_f32_e32 vcc_lo, v5, v5
	v_add3_u32 v4, v5, v4, 0x7fff
	s_delay_alu instid0(VALU_DEP_1) | instskip(NEXT) | instid1(VALU_DEP_1)
	v_lshrrev_b32_e32 v4, 16, v4
	v_cndmask_b32_e32 v5, 0x7fc0, v4, vcc_lo
.LBB143_1235:
	s_mov_b32 s6, -1
.LBB143_1236:
	s_mov_b32 s7, 0
.LBB143_1237:
	s_delay_alu instid0(SALU_CYCLE_1)
	s_and_b32 vcc_lo, exec_lo, s7
	s_cbranch_vccz .LBB143_1270
; %bb.1238:
	v_cmp_lt_i16_e32 vcc_lo, 22, v6
	s_cbranch_vccz .LBB143_1248
; %bb.1239:
	v_cmp_gt_i16_e32 vcc_lo, 24, v6
	s_cbranch_vccnz .LBB143_1251
; %bb.1240:
	v_cmp_lt_i16_e32 vcc_lo, 24, v6
	s_cbranch_vccz .LBB143_1252
; %bb.1241:
	global_load_u8 v4, v[2:3], off
	s_mov_b32 s7, exec_lo
                                        ; implicit-def: $sgpr6
	s_waitcnt vmcnt(0)
	v_cmpx_lt_i16_e32 0x7f, v4
	s_xor_b32 s7, exec_lo, s7
	s_cbranch_execz .LBB143_1264
; %bb.1242:
	s_mov_b32 s3, -1
	s_mov_b32 s12, exec_lo
                                        ; implicit-def: $sgpr6
	v_cmpx_eq_u16_e32 0x80, v4
; %bb.1243:
	s_mov_b32 s6, 0x7f800001
	s_xor_b32 s3, exec_lo, -1
; %bb.1244:
	s_or_b32 exec_lo, exec_lo, s12
	s_delay_alu instid0(SALU_CYCLE_1)
	s_and_b32 s3, s3, exec_lo
	s_or_saveexec_b32 s7, s7
	v_mov_b32_e32 v5, s6
	s_xor_b32 exec_lo, exec_lo, s7
	s_cbranch_execnz .LBB143_1265
.LBB143_1245:
	s_or_b32 exec_lo, exec_lo, s7
	s_and_saveexec_b32 s6, s3
	s_cbranch_execz .LBB143_1247
.LBB143_1246:
	v_and_b32_e32 v5, 0xffff, v4
	s_delay_alu instid0(VALU_DEP_1) | instskip(NEXT) | instid1(VALU_DEP_1)
	v_and_b32_e32 v7, 3, v5
	v_clz_i32_u32_e32 v8, v7
	s_delay_alu instid0(VALU_DEP_1) | instskip(NEXT) | instid1(VALU_DEP_1)
	v_min_u32_e32 v8, 32, v8
	v_subrev_nc_u32_e32 v9, 29, v8
	v_sub_nc_u32_e32 v8, 30, v8
	s_delay_alu instid0(VALU_DEP_2) | instskip(SKIP_1) | instid1(VALU_DEP_2)
	v_lshlrev_b32_e32 v9, v9, v5
	v_bfe_u32 v5, v5, 2, 5
	v_and_b32_e32 v9, 3, v9
	s_delay_alu instid0(VALU_DEP_2) | instskip(NEXT) | instid1(VALU_DEP_2)
	v_cmp_eq_u32_e32 vcc_lo, 0, v5
	v_dual_cndmask_b32 v7, v7, v9 :: v_dual_lshlrev_b32 v4, 24, v4
	v_cndmask_b32_e32 v5, v5, v8, vcc_lo
	s_delay_alu instid0(VALU_DEP_2) | instskip(NEXT) | instid1(VALU_DEP_3)
	v_and_b32_e32 v4, 0x80000000, v4
	v_lshlrev_b32_e32 v7, 21, v7
	s_delay_alu instid0(VALU_DEP_3) | instskip(NEXT) | instid1(VALU_DEP_1)
	v_lshl_add_u32 v5, v5, 23, 0x37800000
	v_or3_b32 v5, v4, v5, v7
.LBB143_1247:
	s_or_b32 exec_lo, exec_lo, s6
	s_delay_alu instid0(VALU_DEP_1) | instskip(SKIP_2) | instid1(VALU_DEP_2)
	v_bfe_u32 v4, v5, 16, 1
	v_cmp_o_f32_e32 vcc_lo, v5, v5
	s_mov_b32 s3, 0
	v_add3_u32 v4, v5, v4, 0x7fff
	s_delay_alu instid0(VALU_DEP_1) | instskip(NEXT) | instid1(VALU_DEP_1)
	v_lshrrev_b32_e32 v4, 16, v4
	v_cndmask_b32_e32 v5, 0x7fc0, v4, vcc_lo
	s_branch .LBB143_1253
.LBB143_1248:
	s_mov_b32 s3, -1
                                        ; implicit-def: $vgpr5
	s_branch .LBB143_1259
.LBB143_1249:
	s_or_saveexec_b32 s12, s12
	v_mov_b32_e32 v5, s7
	s_xor_b32 exec_lo, exec_lo, s12
	s_cbranch_execz .LBB143_1232
.LBB143_1250:
	v_cmp_ne_u16_e32 vcc_lo, 0, v4
	v_mov_b32_e32 v5, 0
	s_and_not1_b32 s6, s6, exec_lo
	s_and_b32 s7, vcc_lo, exec_lo
	s_delay_alu instid0(SALU_CYCLE_1)
	s_or_b32 s6, s6, s7
	s_or_b32 exec_lo, exec_lo, s12
	s_and_saveexec_b32 s7, s6
	s_cbranch_execnz .LBB143_1233
	s_branch .LBB143_1234
.LBB143_1251:
	s_mov_b32 s3, -1
                                        ; implicit-def: $vgpr5
	s_branch .LBB143_1256
.LBB143_1252:
	s_mov_b32 s3, -1
                                        ; implicit-def: $vgpr5
.LBB143_1253:
	s_delay_alu instid0(SALU_CYCLE_1)
	s_and_b32 vcc_lo, exec_lo, s3
	s_cbranch_vccz .LBB143_1255
; %bb.1254:
	global_load_u8 v4, v[2:3], off
	s_waitcnt vmcnt(0)
	v_lshlrev_b32_e32 v4, 24, v4
	s_delay_alu instid0(VALU_DEP_1) | instskip(NEXT) | instid1(VALU_DEP_1)
	v_and_b32_e32 v5, 0x7f000000, v4
	v_clz_i32_u32_e32 v7, v5
	v_add_nc_u32_e32 v9, 0x1000000, v5
	v_cmp_ne_u32_e32 vcc_lo, 0, v5
	s_delay_alu instid0(VALU_DEP_3) | instskip(NEXT) | instid1(VALU_DEP_1)
	v_min_u32_e32 v7, 32, v7
	v_sub_nc_u32_e64 v7, v7, 4 clamp
	s_delay_alu instid0(VALU_DEP_1) | instskip(SKIP_1) | instid1(VALU_DEP_2)
	v_lshlrev_b32_e32 v8, v7, v5
	v_lshlrev_b32_e32 v7, 23, v7
	v_lshrrev_b32_e32 v8, 4, v8
	s_delay_alu instid0(VALU_DEP_1) | instskip(SKIP_1) | instid1(VALU_DEP_2)
	v_sub_nc_u32_e32 v7, v8, v7
	v_ashrrev_i32_e32 v8, 8, v9
	v_add_nc_u32_e32 v7, 0x3c000000, v7
	s_delay_alu instid0(VALU_DEP_1) | instskip(NEXT) | instid1(VALU_DEP_1)
	v_and_or_b32 v7, 0x7f800000, v8, v7
	v_cndmask_b32_e32 v5, 0, v7, vcc_lo
	s_delay_alu instid0(VALU_DEP_1) | instskip(SKIP_1) | instid1(VALU_DEP_2)
	v_and_or_b32 v4, 0x80000000, v4, v5
	v_bfe_u32 v5, v5, 16, 1
	v_cmp_o_f32_e32 vcc_lo, v4, v4
	s_delay_alu instid0(VALU_DEP_2) | instskip(NEXT) | instid1(VALU_DEP_1)
	v_add3_u32 v5, v4, v5, 0x7fff
	v_lshrrev_b32_e32 v5, 16, v5
	s_delay_alu instid0(VALU_DEP_1)
	v_cndmask_b32_e32 v5, 0x7fc0, v5, vcc_lo
.LBB143_1255:
	s_mov_b32 s3, 0
.LBB143_1256:
	s_delay_alu instid0(SALU_CYCLE_1)
	s_and_not1_b32 vcc_lo, exec_lo, s3
	s_cbranch_vccnz .LBB143_1258
; %bb.1257:
	global_load_u8 v4, v[2:3], off
	s_waitcnt vmcnt(0)
	v_lshlrev_b32_e32 v5, 25, v4
	v_lshlrev_b16 v4, 8, v4
	s_delay_alu instid0(VALU_DEP_2) | instskip(NEXT) | instid1(VALU_DEP_2)
	v_lshrrev_b32_e32 v7, 4, v5
	v_and_or_b32 v8, 0x7f00, v4, 0.5
	v_cmp_gt_u32_e32 vcc_lo, 0x8000000, v5
	v_bfe_i32 v4, v4, 0, 16
	s_delay_alu instid0(VALU_DEP_4) | instskip(NEXT) | instid1(VALU_DEP_1)
	v_or_b32_e32 v7, 0x70000000, v7
	v_dual_add_f32 v8, -0.5, v8 :: v_dual_mul_f32 v7, 0x7800000, v7
	s_delay_alu instid0(VALU_DEP_1) | instskip(NEXT) | instid1(VALU_DEP_1)
	v_cndmask_b32_e32 v5, v7, v8, vcc_lo
	v_and_or_b32 v4, 0x80000000, v4, v5
	v_bfe_u32 v5, v5, 16, 1
	s_delay_alu instid0(VALU_DEP_2) | instskip(NEXT) | instid1(VALU_DEP_2)
	v_cmp_o_f32_e32 vcc_lo, v4, v4
	v_add3_u32 v5, v4, v5, 0x7fff
	s_delay_alu instid0(VALU_DEP_1) | instskip(NEXT) | instid1(VALU_DEP_1)
	v_lshrrev_b32_e32 v5, 16, v5
	v_cndmask_b32_e32 v5, 0x7fc0, v5, vcc_lo
.LBB143_1258:
	s_mov_b32 s3, 0
	s_mov_b32 s6, -1
.LBB143_1259:
	s_and_not1_b32 vcc_lo, exec_lo, s3
	s_mov_b32 s3, 0
	s_cbranch_vccnz .LBB143_1270
; %bb.1260:
	v_cmp_lt_i16_e32 vcc_lo, 14, v6
	s_cbranch_vccz .LBB143_1263
; %bb.1261:
	v_cmp_eq_u16_e32 vcc_lo, 15, v6
	s_cbranch_vccz .LBB143_1266
; %bb.1262:
	global_load_u16 v5, v[2:3], off
	s_mov_b32 s2, 0
	s_mov_b32 s6, -1
	s_branch .LBB143_1268
.LBB143_1263:
	s_mov_b32 s3, -1
	s_branch .LBB143_1267
.LBB143_1264:
	s_or_saveexec_b32 s7, s7
	v_mov_b32_e32 v5, s6
	s_xor_b32 exec_lo, exec_lo, s7
	s_cbranch_execz .LBB143_1245
.LBB143_1265:
	v_cmp_ne_u16_e32 vcc_lo, 0, v4
	v_mov_b32_e32 v5, 0
	s_and_not1_b32 s3, s3, exec_lo
	s_and_b32 s6, vcc_lo, exec_lo
	s_delay_alu instid0(SALU_CYCLE_1)
	s_or_b32 s3, s3, s6
	s_or_b32 exec_lo, exec_lo, s7
	s_and_saveexec_b32 s6, s3
	s_cbranch_execnz .LBB143_1246
	s_branch .LBB143_1247
.LBB143_1266:
	s_mov_b32 s2, -1
.LBB143_1267:
                                        ; implicit-def: $vgpr5
.LBB143_1268:
	s_and_b32 vcc_lo, exec_lo, s3
	s_mov_b32 s3, 0
	s_cbranch_vccz .LBB143_1270
; %bb.1269:
	v_cmp_ne_u16_e32 vcc_lo, 11, v6
	s_and_not1_b32 s2, s2, exec_lo
	s_mov_b32 s3, -1
                                        ; implicit-def: $vgpr5
	s_and_b32 s7, vcc_lo, exec_lo
	s_delay_alu instid0(SALU_CYCLE_1)
	s_or_b32 s2, s2, s7
.LBB143_1270:
	s_mov_b32 s7, 0
.LBB143_1271:
	s_and_b32 s52, s6, exec_lo
	s_and_not1_b32 s6, s47, exec_lo
	s_and_b32 s2, s2, exec_lo
	s_and_b32 s50, s7, exec_lo
	;; [unrolled: 1-line block ×3, first 2 shown]
	s_or_b32 s51, s6, s2
.LBB143_1272:
	s_or_b32 exec_lo, exec_lo, s36
	s_delay_alu instid0(SALU_CYCLE_1)
	s_and_not1_b32 s6, s47, exec_lo
	s_and_b32 s7, s51, exec_lo
	s_and_b32 s2, s52, exec_lo
	s_and_b32 s50, s50, exec_lo
	s_and_b32 s3, s3, exec_lo
	s_or_b32 s47, s6, s7
.LBB143_1273:
	s_or_b32 exec_lo, exec_lo, s46
	s_delay_alu instid0(SALU_CYCLE_1)
	s_and_not1_b32 s6, s43, exec_lo
	s_and_b32 s7, s48, exec_lo
	s_and_not1_b32 s12, s44, exec_lo
	s_and_b32 s13, s49, exec_lo
	s_or_b32 s43, s6, s7
	s_and_not1_b32 s6, s42, exec_lo
	s_and_b32 s7, s47, exec_lo
	s_or_b32 s44, s12, s13
	s_and_b32 s2, s2, exec_lo
	s_and_b32 s46, s50, exec_lo
	;; [unrolled: 1-line block ×3, first 2 shown]
	s_or_b32 s42, s6, s7
.LBB143_1274:
	s_or_b32 exec_lo, exec_lo, s45
	s_delay_alu instid0(SALU_CYCLE_1)
	s_and_not1_b32 s6, s38, exec_lo
	s_and_b32 s7, s43, exec_lo
	s_and_not1_b32 s12, s39, exec_lo
	s_and_b32 s13, s44, exec_lo
	s_or_b32 s38, s6, s7
	s_and_not1_b32 s6, s40, exec_lo
	s_and_b32 s7, s42, exec_lo
	s_or_b32 s39, s12, s13
	s_and_b32 s2, s2, exec_lo
	s_and_b32 s43, s46, exec_lo
	;; [unrolled: 1-line block ×3, first 2 shown]
	s_or_b32 s40, s6, s7
.LBB143_1275:
	s_or_b32 exec_lo, exec_lo, s41
	s_mov_b32 s3, 0
	s_and_saveexec_b32 s6, s40
	s_cbranch_execnz .LBB143_1287
; %bb.1276:
	s_or_b32 exec_lo, exec_lo, s6
	s_and_saveexec_b32 s6, s42
	s_delay_alu instid0(SALU_CYCLE_1)
	s_xor_b32 s6, exec_lo, s6
	s_cbranch_execz .LBB143_1278
.LBB143_1277:
	global_load_u8 v4, v[2:3], off
	s_or_b32 s2, s2, exec_lo
	s_waitcnt vmcnt(0)
	v_cmp_ne_u16_e32 vcc_lo, 0, v4
	v_cndmask_b32_e64 v4, 0, 1.0, vcc_lo
	s_delay_alu instid0(VALU_DEP_1)
	v_lshrrev_b32_e32 v5, 16, v4
.LBB143_1278:
	s_or_b32 exec_lo, exec_lo, s6
	s_and_saveexec_b32 s6, s43
	s_cbranch_execz .LBB143_1326
; %bb.1279:
	v_cmp_gt_i16_e32 vcc_lo, 5, v6
	s_cbranch_vccnz .LBB143_1284
; %bb.1280:
	v_cmp_gt_i16_e32 vcc_lo, 8, v6
	s_cbranch_vccnz .LBB143_1285
	;; [unrolled: 3-line block ×3, first 2 shown]
; %bb.1282:
	v_cmp_lt_i16_e32 vcc_lo, 9, v6
	s_cbranch_vccz .LBB143_1289
; %bb.1283:
	global_load_b64 v[4:5], v[2:3], off
	s_mov_b32 s7, 0
	s_waitcnt vmcnt(0)
	v_cvt_f32_f64_e32 v4, v[4:5]
	s_delay_alu instid0(VALU_DEP_1) | instskip(SKIP_1) | instid1(VALU_DEP_2)
	v_bfe_u32 v5, v4, 16, 1
	v_cmp_o_f32_e32 vcc_lo, v4, v4
	v_add3_u32 v5, v4, v5, 0x7fff
	s_delay_alu instid0(VALU_DEP_1) | instskip(NEXT) | instid1(VALU_DEP_1)
	v_lshrrev_b32_e32 v5, 16, v5
	v_cndmask_b32_e32 v5, 0x7fc0, v5, vcc_lo
	s_branch .LBB143_1290
.LBB143_1284:
                                        ; implicit-def: $vgpr5
	s_branch .LBB143_1307
.LBB143_1285:
                                        ; implicit-def: $vgpr5
	s_branch .LBB143_1296
.LBB143_1286:
	s_mov_b32 s7, -1
                                        ; implicit-def: $vgpr5
	s_branch .LBB143_1293
.LBB143_1287:
	s_cbranch_execnz .LBB143_1609
; %bb.1288:
	s_mov_b32 s3, exec_lo
	s_and_not1_b32 s42, s42, exec_lo
                                        ; implicit-def: $vgpr5
	s_or_b32 exec_lo, exec_lo, s6
	s_and_saveexec_b32 s6, s42
	s_delay_alu instid0(SALU_CYCLE_1)
	s_xor_b32 s6, exec_lo, s6
	s_cbranch_execnz .LBB143_1277
	s_branch .LBB143_1278
.LBB143_1289:
	s_mov_b32 s7, -1
                                        ; implicit-def: $vgpr5
.LBB143_1290:
	s_delay_alu instid0(SALU_CYCLE_1)
	s_and_not1_b32 vcc_lo, exec_lo, s7
	s_cbranch_vccnz .LBB143_1292
; %bb.1291:
	global_load_b32 v4, v[2:3], off
	s_waitcnt vmcnt(0)
	v_bfe_u32 v5, v4, 16, 1
	v_cmp_o_f32_e32 vcc_lo, v4, v4
	s_delay_alu instid0(VALU_DEP_2) | instskip(NEXT) | instid1(VALU_DEP_1)
	v_add3_u32 v5, v4, v5, 0x7fff
	v_lshrrev_b32_e32 v5, 16, v5
	s_delay_alu instid0(VALU_DEP_1)
	v_cndmask_b32_e32 v5, 0x7fc0, v5, vcc_lo
.LBB143_1292:
	s_mov_b32 s7, 0
.LBB143_1293:
	s_delay_alu instid0(SALU_CYCLE_1)
	s_and_not1_b32 vcc_lo, exec_lo, s7
	s_cbranch_vccnz .LBB143_1295
; %bb.1294:
	global_load_b32 v4, v[2:3], off
	s_waitcnt vmcnt(0)
	v_cvt_f32_f16_e32 v5, v4
	v_cmp_o_f16_e32 vcc_lo, v4, v4
	s_delay_alu instid0(VALU_DEP_2) | instskip(NEXT) | instid1(VALU_DEP_1)
	v_bfe_u32 v7, v5, 16, 1
	v_add3_u32 v5, v5, v7, 0x7fff
	s_delay_alu instid0(VALU_DEP_1) | instskip(NEXT) | instid1(VALU_DEP_1)
	v_lshrrev_b32_e32 v5, 16, v5
	v_cndmask_b32_e32 v5, 0x7fc0, v5, vcc_lo
.LBB143_1295:
	s_cbranch_execnz .LBB143_1306
.LBB143_1296:
	v_cmp_gt_i16_e32 vcc_lo, 6, v6
	s_cbranch_vccnz .LBB143_1299
; %bb.1297:
	v_cmp_lt_i16_e32 vcc_lo, 6, v6
	s_cbranch_vccz .LBB143_1300
; %bb.1298:
	global_load_b64 v[4:5], v[2:3], off
	s_mov_b32 s7, 0
	s_waitcnt vmcnt(0)
	v_cvt_f32_f64_e32 v4, v[4:5]
	s_delay_alu instid0(VALU_DEP_1) | instskip(SKIP_1) | instid1(VALU_DEP_2)
	v_bfe_u32 v5, v4, 16, 1
	v_cmp_o_f32_e32 vcc_lo, v4, v4
	v_add3_u32 v5, v4, v5, 0x7fff
	s_delay_alu instid0(VALU_DEP_1) | instskip(NEXT) | instid1(VALU_DEP_1)
	v_lshrrev_b32_e32 v5, 16, v5
	v_cndmask_b32_e32 v5, 0x7fc0, v5, vcc_lo
	s_branch .LBB143_1301
.LBB143_1299:
	s_mov_b32 s7, -1
                                        ; implicit-def: $vgpr5
	s_branch .LBB143_1304
.LBB143_1300:
	s_mov_b32 s7, -1
                                        ; implicit-def: $vgpr5
.LBB143_1301:
	s_delay_alu instid0(SALU_CYCLE_1)
	s_and_not1_b32 vcc_lo, exec_lo, s7
	s_cbranch_vccnz .LBB143_1303
; %bb.1302:
	global_load_b32 v4, v[2:3], off
	s_waitcnt vmcnt(0)
	v_bfe_u32 v5, v4, 16, 1
	v_cmp_o_f32_e32 vcc_lo, v4, v4
	s_delay_alu instid0(VALU_DEP_2) | instskip(NEXT) | instid1(VALU_DEP_1)
	v_add3_u32 v5, v4, v5, 0x7fff
	v_lshrrev_b32_e32 v5, 16, v5
	s_delay_alu instid0(VALU_DEP_1)
	v_cndmask_b32_e32 v5, 0x7fc0, v5, vcc_lo
.LBB143_1303:
	s_mov_b32 s7, 0
.LBB143_1304:
	s_delay_alu instid0(SALU_CYCLE_1)
	s_and_not1_b32 vcc_lo, exec_lo, s7
	s_cbranch_vccnz .LBB143_1306
; %bb.1305:
	global_load_u16 v4, v[2:3], off
	s_waitcnt vmcnt(0)
	v_cvt_f32_f16_e32 v5, v4
	v_cmp_o_f16_e32 vcc_lo, v4, v4
	s_delay_alu instid0(VALU_DEP_2) | instskip(NEXT) | instid1(VALU_DEP_1)
	v_bfe_u32 v7, v5, 16, 1
	v_add3_u32 v5, v5, v7, 0x7fff
	s_delay_alu instid0(VALU_DEP_1) | instskip(NEXT) | instid1(VALU_DEP_1)
	v_lshrrev_b32_e32 v5, 16, v5
	v_cndmask_b32_e32 v5, 0x7fc0, v5, vcc_lo
.LBB143_1306:
	s_cbranch_execnz .LBB143_1325
.LBB143_1307:
	v_cmp_gt_i16_e32 vcc_lo, 2, v6
	s_cbranch_vccnz .LBB143_1311
; %bb.1308:
	v_cmp_gt_i16_e32 vcc_lo, 3, v6
	s_cbranch_vccnz .LBB143_1312
; %bb.1309:
	v_cmp_lt_i16_e32 vcc_lo, 3, v6
	s_cbranch_vccz .LBB143_1313
; %bb.1310:
	global_load_b64 v[4:5], v[2:3], off
	s_mov_b32 s7, 0
	s_waitcnt vmcnt(0)
	v_xor_b32_e32 v7, v4, v5
	v_cls_i32_e32 v8, v5
	s_delay_alu instid0(VALU_DEP_2) | instskip(NEXT) | instid1(VALU_DEP_2)
	v_ashrrev_i32_e32 v7, 31, v7
	v_add_nc_u32_e32 v8, -1, v8
	s_delay_alu instid0(VALU_DEP_2) | instskip(NEXT) | instid1(VALU_DEP_1)
	v_add_nc_u32_e32 v7, 32, v7
	v_min_u32_e32 v7, v8, v7
	s_delay_alu instid0(VALU_DEP_1) | instskip(NEXT) | instid1(VALU_DEP_1)
	v_lshlrev_b64 v[4:5], v7, v[4:5]
	v_min_u32_e32 v4, 1, v4
	s_delay_alu instid0(VALU_DEP_1) | instskip(SKIP_1) | instid1(VALU_DEP_2)
	v_or_b32_e32 v4, v5, v4
	v_sub_nc_u32_e32 v5, 32, v7
	v_cvt_f32_i32_e32 v4, v4
	s_delay_alu instid0(VALU_DEP_1) | instskip(NEXT) | instid1(VALU_DEP_1)
	v_ldexp_f32 v4, v4, v5
	v_bfe_u32 v5, v4, 16, 1
	s_delay_alu instid0(VALU_DEP_1) | instskip(NEXT) | instid1(VALU_DEP_1)
	v_add3_u32 v4, v4, v5, 0x7fff
	v_lshrrev_b32_e32 v5, 16, v4
	s_branch .LBB143_1314
.LBB143_1311:
                                        ; implicit-def: $vgpr5
	s_branch .LBB143_1320
.LBB143_1312:
	s_mov_b32 s7, -1
                                        ; implicit-def: $vgpr5
	s_branch .LBB143_1317
.LBB143_1313:
	s_mov_b32 s7, -1
                                        ; implicit-def: $vgpr5
.LBB143_1314:
	s_delay_alu instid0(SALU_CYCLE_1)
	s_and_not1_b32 vcc_lo, exec_lo, s7
	s_cbranch_vccnz .LBB143_1316
; %bb.1315:
	global_load_b32 v4, v[2:3], off
	s_waitcnt vmcnt(0)
	v_cvt_f32_i32_e32 v4, v4
	s_delay_alu instid0(VALU_DEP_1) | instskip(NEXT) | instid1(VALU_DEP_1)
	v_bfe_u32 v5, v4, 16, 1
	v_add3_u32 v4, v4, v5, 0x7fff
	s_delay_alu instid0(VALU_DEP_1)
	v_lshrrev_b32_e32 v5, 16, v4
.LBB143_1316:
	s_mov_b32 s7, 0
.LBB143_1317:
	s_delay_alu instid0(SALU_CYCLE_1)
	s_and_not1_b32 vcc_lo, exec_lo, s7
	s_cbranch_vccnz .LBB143_1319
; %bb.1318:
	global_load_i16 v4, v[2:3], off
	s_waitcnt vmcnt(0)
	v_cvt_f32_i32_e32 v4, v4
	s_delay_alu instid0(VALU_DEP_1) | instskip(NEXT) | instid1(VALU_DEP_1)
	v_bfe_u32 v5, v4, 16, 1
	v_add3_u32 v4, v4, v5, 0x7fff
	s_delay_alu instid0(VALU_DEP_1)
	v_lshrrev_b32_e32 v5, 16, v4
.LBB143_1319:
	s_cbranch_execnz .LBB143_1325
.LBB143_1320:
	v_cmp_lt_i16_e32 vcc_lo, 0, v6
	s_mov_b32 s7, 0
	s_cbranch_vccz .LBB143_1322
; %bb.1321:
	global_load_i8 v4, v[2:3], off
	s_waitcnt vmcnt(0)
	v_cvt_f32_i32_e32 v4, v4
	s_delay_alu instid0(VALU_DEP_1) | instskip(NEXT) | instid1(VALU_DEP_1)
	v_bfe_u32 v5, v4, 16, 1
	v_add3_u32 v4, v4, v5, 0x7fff
	s_delay_alu instid0(VALU_DEP_1)
	v_lshrrev_b32_e32 v5, 16, v4
	s_branch .LBB143_1323
.LBB143_1322:
	s_mov_b32 s7, -1
                                        ; implicit-def: $vgpr5
.LBB143_1323:
	s_delay_alu instid0(SALU_CYCLE_1)
	s_and_not1_b32 vcc_lo, exec_lo, s7
	s_cbranch_vccnz .LBB143_1325
; %bb.1324:
	global_load_u8 v2, v[2:3], off
	s_waitcnt vmcnt(0)
	v_cvt_f32_ubyte0_e32 v2, v2
	s_delay_alu instid0(VALU_DEP_1) | instskip(NEXT) | instid1(VALU_DEP_1)
	v_bfe_u32 v3, v2, 16, 1
	v_add3_u32 v2, v2, v3, 0x7fff
	s_delay_alu instid0(VALU_DEP_1)
	v_lshrrev_b32_e32 v5, 16, v2
.LBB143_1325:
	s_or_b32 s2, s2, exec_lo
.LBB143_1326:
	s_or_b32 exec_lo, exec_lo, s6
	s_mov_b32 s7, 0
	s_mov_b32 s14, 0
	s_mov_b32 s13, 0
                                        ; implicit-def: $sgpr12
                                        ; implicit-def: $vgpr4
                                        ; implicit-def: $vgpr2_vgpr3
	s_and_saveexec_b32 s6, s2
	s_cbranch_execz .LBB143_1336
; %bb.1327:
	v_and_b32_e64 v4, 0xff, s31
	v_add_co_u32 v2, s2, s8, v1
	s_delay_alu instid0(VALU_DEP_1) | instskip(NEXT) | instid1(VALU_DEP_3)
	v_add_co_ci_u32_e64 v3, null, s9, 0, s2
	v_cmp_gt_i16_e32 vcc_lo, 11, v4
	s_mov_b32 s9, 0
	s_cbranch_vccnz .LBB143_1334
; %bb.1328:
	v_cmp_lt_i16_e32 vcc_lo, 25, v4
	s_mov_b32 s2, 0
	s_cbranch_vccz .LBB143_1346
; %bb.1329:
	v_cmp_lt_i16_e32 vcc_lo, 28, v4
	s_cbranch_vccz .LBB143_1348
; %bb.1330:
	v_cmp_lt_i16_e32 vcc_lo, 43, v4
	s_cbranch_vccz .LBB143_1352
; %bb.1331:
	v_cmp_lt_i16_e32 vcc_lo, 45, v4
	s_cbranch_vccz .LBB143_1615
; %bb.1332:
	v_cmp_eq_u16_e32 vcc_lo, 46, v4
	s_mov_b32 s12, 0
	s_cbranch_vccz .LBB143_1747
; %bb.1333:
	global_load_b32 v1, v[2:3], off
	s_mov_b32 s9, -1
	s_waitcnt vmcnt(0)
	v_and_b32_e32 v1, 0x7fff7fff, v1
	s_delay_alu instid0(VALU_DEP_1)
	v_cmp_ne_u32_e32 vcc_lo, 0, v1
	s_and_b32 s8, vcc_lo, exec_lo
	s_branch .LBB143_1749
.LBB143_1334:
	s_mov_b32 s14, -1
	s_mov_b32 s2, 0
	s_mov_b32 s7, s39
                                        ; implicit-def: $sgpr8
.LBB143_1335:
	s_and_b32 s12, s8, exec_lo
	s_and_b32 s13, s9, exec_lo
	s_and_not1_b32 s8, s39, exec_lo
	s_and_b32 s9, s7, exec_lo
	s_and_b32 s14, s14, exec_lo
	;; [unrolled: 1-line block ×3, first 2 shown]
	s_or_b32 s39, s8, s9
.LBB143_1336:
	s_or_b32 exec_lo, exec_lo, s6
	s_and_saveexec_b32 s2, s39
	s_cbranch_execnz .LBB143_1350
; %bb.1337:
	s_or_b32 exec_lo, exec_lo, s2
	s_and_saveexec_b32 s2, s7
	s_delay_alu instid0(SALU_CYCLE_1)
	s_xor_b32 s2, exec_lo, s2
	s_cbranch_execz .LBB143_1339
.LBB143_1338:
	global_load_u8 v1, v[2:3], off
	s_and_not1_b32 s6, s12, exec_lo
	s_or_b32 s13, s13, exec_lo
	s_waitcnt vmcnt(0)
	v_cmp_ne_u16_e32 vcc_lo, 0, v1
	s_and_b32 s7, vcc_lo, exec_lo
	s_delay_alu instid0(SALU_CYCLE_1)
	s_or_b32 s12, s6, s7
.LBB143_1339:
	s_or_b32 exec_lo, exec_lo, s2
	s_and_saveexec_b32 s6, s14
	s_cbranch_execz .LBB143_1390
; %bb.1340:
	v_cmp_gt_i16_e32 vcc_lo, 5, v4
	s_cbranch_vccnz .LBB143_1345
; %bb.1341:
	v_cmp_gt_i16_e32 vcc_lo, 8, v4
	s_cbranch_vccnz .LBB143_1347
	;; [unrolled: 3-line block ×3, first 2 shown]
; %bb.1343:
	v_cmp_lt_i16_e32 vcc_lo, 9, v4
	s_cbranch_vccz .LBB143_1353
; %bb.1344:
	global_load_b128 v[6:9], v[2:3], off
	s_mov_b32 s7, 0
	s_waitcnt vmcnt(0)
	v_cmp_neq_f64_e32 vcc_lo, 0, v[6:7]
	v_cmp_neq_f64_e64 s2, 0, v[8:9]
	s_delay_alu instid0(VALU_DEP_1) | instskip(NEXT) | instid1(SALU_CYCLE_1)
	s_or_b32 s2, vcc_lo, s2
	s_and_b32 s2, s2, exec_lo
	s_branch .LBB143_1354
.LBB143_1345:
                                        ; implicit-def: $sgpr2
	s_branch .LBB143_1371
.LBB143_1346:
	s_mov_b32 s7, s39
                                        ; implicit-def: $sgpr8
	s_cbranch_execnz .LBB143_1776
	s_branch .LBB143_1335
.LBB143_1347:
                                        ; implicit-def: $sgpr2
	s_branch .LBB143_1360
.LBB143_1348:
	s_mov_b32 s12, -1
	s_mov_b32 s7, s39
                                        ; implicit-def: $sgpr8
	s_branch .LBB143_1757
.LBB143_1349:
	s_mov_b32 s7, -1
                                        ; implicit-def: $sgpr2
	s_branch .LBB143_1357
.LBB143_1350:
	s_cbranch_execnz .LBB143_1611
; %bb.1351:
	s_and_not1_b32 s12, s12, exec_lo
	s_or_b32 s3, s3, exec_lo
	s_and_not1_b32 s13, s13, exec_lo
	s_and_not1_b32 s7, s7, exec_lo
	s_or_b32 exec_lo, exec_lo, s2
	s_and_saveexec_b32 s2, s7
	s_delay_alu instid0(SALU_CYCLE_1)
	s_xor_b32 s2, exec_lo, s2
	s_cbranch_execnz .LBB143_1338
	s_branch .LBB143_1339
.LBB143_1352:
	s_mov_b32 s12, -1
	s_mov_b32 s7, s39
                                        ; implicit-def: $sgpr8
	s_branch .LBB143_1752
.LBB143_1353:
	s_mov_b32 s7, -1
                                        ; implicit-def: $sgpr2
.LBB143_1354:
	s_delay_alu instid0(SALU_CYCLE_1)
	s_and_not1_b32 vcc_lo, exec_lo, s7
	s_cbranch_vccnz .LBB143_1356
; %bb.1355:
	global_load_b64 v[6:7], v[2:3], off
	s_and_not1_b32 s2, s2, exec_lo
	s_waitcnt vmcnt(0)
	v_or_b32_e32 v1, v6, v7
	s_delay_alu instid0(VALU_DEP_1) | instskip(NEXT) | instid1(VALU_DEP_1)
	v_and_b32_e32 v1, 0x7fffffff, v1
	v_cmp_ne_u32_e32 vcc_lo, 0, v1
	s_and_b32 s7, vcc_lo, exec_lo
	s_delay_alu instid0(SALU_CYCLE_1)
	s_or_b32 s2, s2, s7
.LBB143_1356:
	s_mov_b32 s7, 0
.LBB143_1357:
	s_delay_alu instid0(SALU_CYCLE_1)
	s_and_not1_b32 vcc_lo, exec_lo, s7
	s_cbranch_vccnz .LBB143_1359
; %bb.1358:
	global_load_b32 v1, v[2:3], off
	s_and_not1_b32 s2, s2, exec_lo
	s_waitcnt vmcnt(0)
	v_and_b32_e32 v1, 0x7fff7fff, v1
	s_delay_alu instid0(VALU_DEP_1) | instskip(SKIP_1) | instid1(SALU_CYCLE_1)
	v_cmp_ne_u32_e32 vcc_lo, 0, v1
	s_and_b32 s7, vcc_lo, exec_lo
	s_or_b32 s2, s2, s7
.LBB143_1359:
	s_cbranch_execnz .LBB143_1370
.LBB143_1360:
	v_cmp_gt_i16_e32 vcc_lo, 6, v4
	s_cbranch_vccnz .LBB143_1363
; %bb.1361:
	v_cmp_lt_i16_e32 vcc_lo, 6, v4
	s_cbranch_vccz .LBB143_1364
; %bb.1362:
	global_load_b64 v[6:7], v[2:3], off
	s_mov_b32 s7, 0
	s_waitcnt vmcnt(0)
	v_cmp_neq_f64_e32 vcc_lo, 0, v[6:7]
	s_and_b32 s2, vcc_lo, exec_lo
	s_branch .LBB143_1365
.LBB143_1363:
	s_mov_b32 s7, -1
                                        ; implicit-def: $sgpr2
	s_branch .LBB143_1368
.LBB143_1364:
	s_mov_b32 s7, -1
                                        ; implicit-def: $sgpr2
.LBB143_1365:
	s_delay_alu instid0(SALU_CYCLE_1)
	s_and_not1_b32 vcc_lo, exec_lo, s7
	s_cbranch_vccnz .LBB143_1367
; %bb.1366:
	global_load_b32 v1, v[2:3], off
	s_and_not1_b32 s2, s2, exec_lo
	s_waitcnt vmcnt(0)
	v_cmp_neq_f32_e32 vcc_lo, 0, v1
	s_and_b32 s7, vcc_lo, exec_lo
	s_delay_alu instid0(SALU_CYCLE_1)
	s_or_b32 s2, s2, s7
.LBB143_1367:
	s_mov_b32 s7, 0
.LBB143_1368:
	s_delay_alu instid0(SALU_CYCLE_1)
	s_and_not1_b32 vcc_lo, exec_lo, s7
	s_cbranch_vccnz .LBB143_1370
; %bb.1369:
	global_load_u16 v1, v[2:3], off
	s_and_not1_b32 s2, s2, exec_lo
	s_waitcnt vmcnt(0)
	v_and_b32_e32 v1, 0x7fff, v1
	s_delay_alu instid0(VALU_DEP_1) | instskip(SKIP_1) | instid1(SALU_CYCLE_1)
	v_cmp_ne_u16_e32 vcc_lo, 0, v1
	s_and_b32 s7, vcc_lo, exec_lo
	s_or_b32 s2, s2, s7
.LBB143_1370:
	s_cbranch_execnz .LBB143_1389
.LBB143_1371:
	v_cmp_gt_i16_e32 vcc_lo, 2, v4
	s_cbranch_vccnz .LBB143_1375
; %bb.1372:
	v_cmp_gt_i16_e32 vcc_lo, 3, v4
	s_cbranch_vccnz .LBB143_1376
; %bb.1373:
	v_cmp_lt_i16_e32 vcc_lo, 3, v4
	s_cbranch_vccz .LBB143_1377
; %bb.1374:
	global_load_b64 v[6:7], v[2:3], off
	s_mov_b32 s7, 0
	s_waitcnt vmcnt(0)
	v_cmp_ne_u64_e32 vcc_lo, 0, v[6:7]
	s_and_b32 s2, vcc_lo, exec_lo
	s_branch .LBB143_1378
.LBB143_1375:
                                        ; implicit-def: $sgpr2
	s_branch .LBB143_1384
.LBB143_1376:
	s_mov_b32 s7, -1
                                        ; implicit-def: $sgpr2
	s_branch .LBB143_1381
.LBB143_1377:
	s_mov_b32 s7, -1
                                        ; implicit-def: $sgpr2
.LBB143_1378:
	s_delay_alu instid0(SALU_CYCLE_1)
	s_and_not1_b32 vcc_lo, exec_lo, s7
	s_cbranch_vccnz .LBB143_1380
; %bb.1379:
	global_load_b32 v1, v[2:3], off
	s_and_not1_b32 s2, s2, exec_lo
	s_waitcnt vmcnt(0)
	v_cmp_ne_u32_e32 vcc_lo, 0, v1
	s_and_b32 s7, vcc_lo, exec_lo
	s_delay_alu instid0(SALU_CYCLE_1)
	s_or_b32 s2, s2, s7
.LBB143_1380:
	s_mov_b32 s7, 0
.LBB143_1381:
	s_delay_alu instid0(SALU_CYCLE_1)
	s_and_not1_b32 vcc_lo, exec_lo, s7
	s_cbranch_vccnz .LBB143_1383
; %bb.1382:
	global_load_u16 v1, v[2:3], off
	s_and_not1_b32 s2, s2, exec_lo
	s_waitcnt vmcnt(0)
	v_cmp_ne_u16_e32 vcc_lo, 0, v1
	s_and_b32 s7, vcc_lo, exec_lo
	s_delay_alu instid0(SALU_CYCLE_1)
	s_or_b32 s2, s2, s7
.LBB143_1383:
	s_cbranch_execnz .LBB143_1389
.LBB143_1384:
	v_cmp_lt_i16_e32 vcc_lo, 0, v4
	s_mov_b32 s7, 0
	s_cbranch_vccz .LBB143_1386
; %bb.1385:
	global_load_u8 v1, v[2:3], off
	s_waitcnt vmcnt(0)
	v_cmp_ne_u16_e32 vcc_lo, 0, v1
	s_and_b32 s2, vcc_lo, exec_lo
	s_branch .LBB143_1387
.LBB143_1386:
	s_mov_b32 s7, -1
                                        ; implicit-def: $sgpr2
.LBB143_1387:
	s_delay_alu instid0(SALU_CYCLE_1)
	s_and_not1_b32 vcc_lo, exec_lo, s7
	s_cbranch_vccnz .LBB143_1389
; %bb.1388:
	global_load_u8 v1, v[2:3], off
	s_and_not1_b32 s2, s2, exec_lo
	s_waitcnt vmcnt(0)
	v_cmp_ne_u16_e32 vcc_lo, 0, v1
	s_and_b32 s7, vcc_lo, exec_lo
	s_delay_alu instid0(SALU_CYCLE_1)
	s_or_b32 s2, s2, s7
.LBB143_1389:
	s_and_not1_b32 s7, s12, exec_lo
	s_and_b32 s2, s2, exec_lo
	s_or_b32 s13, s13, exec_lo
	s_or_b32 s12, s7, s2
.LBB143_1390:
	s_or_b32 exec_lo, exec_lo, s6
	s_mov_b32 s2, 0
	s_mov_b32 s7, 0
                                        ; implicit-def: $vgpr3
                                        ; implicit-def: $vgpr1_vgpr2
                                        ; implicit-def: $vgpr4
	s_and_saveexec_b32 s6, s13
	s_cbranch_execz .LBB143_1467
; %bb.1391:
	v_cndmask_b32_e64 v1, 0, 1.0, s12
	s_waitcnt vmcnt(0)
	v_lshlrev_b32_e32 v2, 16, v5
	v_and_b32_e64 v3, 0xff, s11
	s_mov_b32 s8, 0
	s_delay_alu instid0(VALU_DEP_2) | instskip(NEXT) | instid1(VALU_DEP_2)
	v_mul_f32_e32 v1, v2, v1
	v_cmp_gt_i16_e32 vcc_lo, 11, v3
	s_delay_alu instid0(VALU_DEP_2) | instskip(SKIP_1) | instid1(VALU_DEP_1)
	v_mul_f32_e32 v4, s10, v1
	s_and_b32 vcc_lo, exec_lo, vcc_lo
	v_bfe_u32 v1, v4, 16, 1
	s_delay_alu instid0(VALU_DEP_1) | instskip(NEXT) | instid1(VALU_DEP_1)
	v_add3_u32 v1, v4, v1, 0x7fff
	v_lshrrev_b32_e32 v5, 16, v1
	v_add_co_u32 v1, s2, s4, v0
	s_delay_alu instid0(VALU_DEP_1) | instskip(SKIP_2) | instid1(VALU_DEP_1)
	v_add_co_ci_u32_e64 v2, null, s5, 0, s2
	v_cmp_o_f32_e64 s2, v4, v4
	s_mov_b32 s4, -1
	v_cndmask_b32_e64 v4, 0x7fc0, v5, s2
	s_mov_b32 s2, s38
	s_cbranch_vccnz .LBB143_1466
; %bb.1392:
	v_cmp_lt_i16_e32 vcc_lo, 25, v3
	s_mov_b32 s2, s38
	s_cbranch_vccz .LBB143_1425
; %bb.1393:
	v_cmp_lt_i16_e32 vcc_lo, 28, v3
	s_mov_b32 s2, s38
	s_cbranch_vccz .LBB143_1409
	;; [unrolled: 4-line block ×4, first 2 shown]
; %bb.1396:
	v_cmp_eq_u16_e32 vcc_lo, 46, v3
	s_mov_b32 s2, -1
	s_cbranch_vccz .LBB143_1398
; %bb.1397:
	v_and_b32_e32 v0, 0xffff, v4
	s_mov_b32 s2, 0
	global_store_b32 v[1:2], v0, off
.LBB143_1398:
	s_mov_b32 s4, 0
.LBB143_1399:
	s_delay_alu instid0(SALU_CYCLE_1)
	s_and_b32 vcc_lo, exec_lo, s4
	s_cbranch_vccz .LBB143_1404
; %bb.1400:
	v_cmp_eq_u16_e32 vcc_lo, 44, v3
	s_mov_b32 s2, -1
	s_cbranch_vccz .LBB143_1404
; %bb.1401:
	v_and_b32_e32 v0, 0xffff, v4
	v_mov_b32_e32 v5, 0xff
	s_mov_b32 s4, exec_lo
	s_delay_alu instid0(VALU_DEP_2) | instskip(NEXT) | instid1(VALU_DEP_1)
	v_bfe_u32 v6, v0, 7, 8
	v_cmpx_ne_u32_e32 0xff, v6
; %bb.1402:
	v_lshlrev_b32_e32 v5, 16, v0
	v_and_b32_e32 v7, 64, v0
	v_lshrrev_b32_e32 v0, 7, v0
	s_delay_alu instid0(VALU_DEP_3) | instskip(NEXT) | instid1(VALU_DEP_3)
	v_and_or_b32 v5, 0x3f0000, v5, v6
	v_cmp_ne_u32_e32 vcc_lo, 0, v7
	s_delay_alu instid0(VALU_DEP_2) | instskip(NEXT) | instid1(VALU_DEP_1)
	v_cmp_ne_u32_e64 s2, 0, v5
	s_and_b32 s2, vcc_lo, s2
	s_delay_alu instid0(SALU_CYCLE_1) | instskip(NEXT) | instid1(VALU_DEP_1)
	v_cndmask_b32_e64 v5, 0, 1, s2
	v_add_nc_u32_e32 v5, v0, v5
; %bb.1403:
	s_or_b32 exec_lo, exec_lo, s4
	s_mov_b32 s2, 0
	global_store_b8 v[1:2], v5, off
.LBB143_1404:
	s_mov_b32 s4, 0
.LBB143_1405:
	s_delay_alu instid0(SALU_CYCLE_1)
	s_and_b32 vcc_lo, exec_lo, s4
	s_cbranch_vccz .LBB143_1408
; %bb.1406:
	v_cmp_eq_u16_e32 vcc_lo, 29, v3
	s_mov_b32 s2, -1
	s_cbranch_vccz .LBB143_1408
; %bb.1407:
	v_lshlrev_b32_e32 v0, 16, v4
	s_mov_b32 s2, 0
	s_delay_alu instid0(VALU_DEP_1) | instskip(NEXT) | instid1(VALU_DEP_1)
	v_trunc_f32_e32 v0, v0
	v_mul_f32_e32 v5, 0x2f800000, v0
	s_delay_alu instid0(VALU_DEP_1) | instskip(NEXT) | instid1(VALU_DEP_1)
	v_floor_f32_e32 v5, v5
	v_fmamk_f32 v0, v5, 0xcf800000, v0
	v_cvt_u32_f32_e32 v6, v5
	s_delay_alu instid0(VALU_DEP_2)
	v_cvt_u32_f32_e32 v5, v0
	global_store_b64 v[1:2], v[5:6], off
.LBB143_1408:
	s_mov_b32 s4, 0
.LBB143_1409:
	s_delay_alu instid0(SALU_CYCLE_1)
	s_and_b32 vcc_lo, exec_lo, s4
	s_cbranch_vccz .LBB143_1424
; %bb.1410:
	v_cmp_gt_i16_e32 vcc_lo, 27, v3
	s_mov_b32 s4, -1
	s_cbranch_vccnz .LBB143_1416
; %bb.1411:
	v_cmp_lt_i16_e32 vcc_lo, 27, v3
	s_cbranch_vccz .LBB143_1413
; %bb.1412:
	v_lshlrev_b32_e32 v0, 16, v4
	s_mov_b32 s4, 0
	s_delay_alu instid0(VALU_DEP_1)
	v_cvt_u32_f32_e32 v0, v0
	global_store_b32 v[1:2], v0, off
.LBB143_1413:
	s_and_not1_b32 vcc_lo, exec_lo, s4
	s_cbranch_vccnz .LBB143_1415
; %bb.1414:
	v_lshlrev_b32_e32 v0, 16, v4
	s_delay_alu instid0(VALU_DEP_1)
	v_cvt_u32_f32_e32 v0, v0
	global_store_b16 v[1:2], v0, off
.LBB143_1415:
	s_mov_b32 s4, 0
.LBB143_1416:
	s_delay_alu instid0(SALU_CYCLE_1)
	s_and_not1_b32 vcc_lo, exec_lo, s4
	s_cbranch_vccnz .LBB143_1424
; %bb.1417:
	v_dual_mov_b32 v7, 0x80 :: v_dual_lshlrev_b32 v6, 16, v4
	s_mov_b32 s4, exec_lo
	s_delay_alu instid0(VALU_DEP_1) | instskip(NEXT) | instid1(VALU_DEP_1)
	v_and_b32_e32 v5, 0x7fffffff, v6
	v_cmpx_gt_u32_e32 0x43800000, v5
	s_cbranch_execz .LBB143_1423
; %bb.1418:
	v_and_b32_e32 v0, 0xffff, v4
	v_cmp_lt_u32_e32 vcc_lo, 0x3bffffff, v5
	s_mov_b32 s5, 0
                                        ; implicit-def: $vgpr5
	s_and_saveexec_b32 s7, vcc_lo
	s_delay_alu instid0(SALU_CYCLE_1)
	s_xor_b32 s7, exec_lo, s7
	s_cbranch_execz .LBB143_1704
; %bb.1419:
	v_bfe_u32 v5, v0, 4, 1
	s_mov_b32 s5, exec_lo
	s_delay_alu instid0(VALU_DEP_1) | instskip(NEXT) | instid1(VALU_DEP_1)
	v_add3_u32 v5, v6, v5, 0x487ffff
                                        ; implicit-def: $vgpr6
	v_lshrrev_b32_e32 v5, 20, v5
	s_or_saveexec_b32 s7, s7
                                        ; implicit-def: $sgpr8
	s_delay_alu instid0(SALU_CYCLE_1)
	s_xor_b32 exec_lo, exec_lo, s7
	s_cbranch_execnz .LBB143_1705
.LBB143_1420:
	s_or_b32 exec_lo, exec_lo, s7
	v_mov_b32_e32 v7, s8
	s_and_saveexec_b32 s7, s5
.LBB143_1421:
	v_lshrrev_b32_e32 v0, 8, v0
	s_delay_alu instid0(VALU_DEP_1)
	v_and_or_b32 v7, 0x80, v0, v5
.LBB143_1422:
	s_or_b32 exec_lo, exec_lo, s7
.LBB143_1423:
	s_delay_alu instid0(SALU_CYCLE_1)
	s_or_b32 exec_lo, exec_lo, s4
	global_store_b8 v[1:2], v7, off
.LBB143_1424:
	s_mov_b32 s4, 0
.LBB143_1425:
	s_delay_alu instid0(SALU_CYCLE_1)
	s_and_b32 vcc_lo, exec_lo, s4
	s_mov_b32 s4, 0
	s_cbranch_vccz .LBB143_1465
; %bb.1426:
	v_cmp_lt_i16_e32 vcc_lo, 22, v3
	s_mov_b32 s5, -1
	s_cbranch_vccz .LBB143_1458
; %bb.1427:
	v_cmp_gt_i16_e32 vcc_lo, 24, v3
	s_cbranch_vccnz .LBB143_1447
; %bb.1428:
	v_cmp_lt_i16_e32 vcc_lo, 24, v3
	s_cbranch_vccz .LBB143_1436
; %bb.1429:
	v_dual_mov_b32 v7, 0x80 :: v_dual_lshlrev_b32 v6, 16, v4
	s_mov_b32 s5, exec_lo
	s_delay_alu instid0(VALU_DEP_1) | instskip(NEXT) | instid1(VALU_DEP_1)
	v_and_b32_e32 v5, 0x7fffffff, v6
	v_cmpx_gt_u32_e32 0x47800000, v5
	s_cbranch_execz .LBB143_1435
; %bb.1430:
	v_and_b32_e32 v0, 0xffff, v4
	v_cmp_lt_u32_e32 vcc_lo, 0x37ffffff, v5
	s_mov_b32 s7, 0
                                        ; implicit-def: $vgpr5
	s_and_saveexec_b32 s8, vcc_lo
	s_delay_alu instid0(SALU_CYCLE_1)
	s_xor_b32 s8, exec_lo, s8
	s_cbranch_execz .LBB143_1895
; %bb.1431:
	v_bfe_u32 v5, v0, 5, 1
	s_mov_b32 s7, exec_lo
	s_delay_alu instid0(VALU_DEP_1) | instskip(NEXT) | instid1(VALU_DEP_1)
	v_add3_u32 v5, v6, v5, 0x88fffff
                                        ; implicit-def: $vgpr6
	v_lshrrev_b32_e32 v5, 21, v5
	s_or_saveexec_b32 s8, s8
                                        ; implicit-def: $sgpr9
	s_delay_alu instid0(SALU_CYCLE_1)
	s_xor_b32 exec_lo, exec_lo, s8
	s_cbranch_execnz .LBB143_1896
.LBB143_1432:
	s_or_b32 exec_lo, exec_lo, s8
	v_mov_b32_e32 v7, s9
	s_and_saveexec_b32 s8, s7
.LBB143_1433:
	v_lshrrev_b32_e32 v0, 8, v0
	s_delay_alu instid0(VALU_DEP_1)
	v_and_or_b32 v7, 0x80, v0, v5
.LBB143_1434:
	s_or_b32 exec_lo, exec_lo, s8
.LBB143_1435:
	s_delay_alu instid0(SALU_CYCLE_1)
	s_or_b32 exec_lo, exec_lo, s5
	s_mov_b32 s5, 0
	global_store_b8 v[1:2], v7, off
.LBB143_1436:
	s_and_b32 vcc_lo, exec_lo, s5
	s_cbranch_vccz .LBB143_1446
; %bb.1437:
	v_lshlrev_b32_e32 v6, 16, v4
	v_and_b32_e32 v0, 0xffff, v4
	s_mov_b32 s5, exec_lo
                                        ; implicit-def: $vgpr5
	s_delay_alu instid0(VALU_DEP_2) | instskip(NEXT) | instid1(VALU_DEP_1)
	v_and_b32_e32 v7, 0x7fffffff, v6
	v_cmpx_gt_u32_e32 0x43f00000, v7
	s_xor_b32 s5, exec_lo, s5
	s_cbranch_execz .LBB143_1443
; %bb.1438:
	s_mov_b32 s7, exec_lo
                                        ; implicit-def: $vgpr5
	v_cmpx_lt_u32_e32 0x3c7fffff, v7
	s_xor_b32 s7, exec_lo, s7
; %bb.1439:
	v_bfe_u32 v5, v0, 4, 1
	s_delay_alu instid0(VALU_DEP_1) | instskip(NEXT) | instid1(VALU_DEP_1)
	v_add3_u32 v5, v6, v5, 0x407ffff
	v_and_b32_e32 v6, 0xff00000, v5
	v_lshrrev_b32_e32 v5, 20, v5
	s_delay_alu instid0(VALU_DEP_2) | instskip(NEXT) | instid1(VALU_DEP_2)
	v_cmp_ne_u32_e32 vcc_lo, 0x7f00000, v6
                                        ; implicit-def: $vgpr6
	v_cndmask_b32_e32 v5, 0x7e, v5, vcc_lo
; %bb.1440:
	s_and_not1_saveexec_b32 s7, s7
; %bb.1441:
	v_add_f32_e64 v5, 0x46800000, |v6|
; %bb.1442:
	s_or_b32 exec_lo, exec_lo, s7
                                        ; implicit-def: $vgpr7
.LBB143_1443:
	s_and_not1_saveexec_b32 s5, s5
; %bb.1444:
	v_mov_b32_e32 v5, 0x7f
	v_cmp_lt_u32_e32 vcc_lo, 0x7f800000, v7
	s_delay_alu instid0(VALU_DEP_2)
	v_cndmask_b32_e32 v5, 0x7e, v5, vcc_lo
; %bb.1445:
	s_or_b32 exec_lo, exec_lo, s5
	v_lshrrev_b32_e32 v0, 8, v0
	s_delay_alu instid0(VALU_DEP_1)
	v_and_or_b32 v0, 0x80, v0, v5
	global_store_b8 v[1:2], v0, off
.LBB143_1446:
	s_mov_b32 s5, 0
.LBB143_1447:
	s_delay_alu instid0(SALU_CYCLE_1)
	s_and_not1_b32 vcc_lo, exec_lo, s5
	s_cbranch_vccnz .LBB143_1457
; %bb.1448:
	v_lshlrev_b32_e32 v6, 16, v4
	v_and_b32_e32 v0, 0xffff, v4
	s_mov_b32 s5, exec_lo
                                        ; implicit-def: $vgpr5
	s_delay_alu instid0(VALU_DEP_2) | instskip(NEXT) | instid1(VALU_DEP_1)
	v_and_b32_e32 v7, 0x7fffffff, v6
	v_cmpx_gt_u32_e32 0x47800000, v7
	s_xor_b32 s5, exec_lo, s5
	s_cbranch_execz .LBB143_1454
; %bb.1449:
	s_mov_b32 s7, exec_lo
                                        ; implicit-def: $vgpr5
	v_cmpx_lt_u32_e32 0x387fffff, v7
	s_xor_b32 s7, exec_lo, s7
; %bb.1450:
	v_bfe_u32 v5, v0, 5, 1
	s_delay_alu instid0(VALU_DEP_1) | instskip(NEXT) | instid1(VALU_DEP_1)
	v_add3_u32 v5, v6, v5, 0x80fffff
                                        ; implicit-def: $vgpr6
	v_lshrrev_b32_e32 v5, 21, v5
; %bb.1451:
	s_and_not1_saveexec_b32 s7, s7
; %bb.1452:
	v_add_f32_e64 v5, 0x43000000, |v6|
; %bb.1453:
	s_or_b32 exec_lo, exec_lo, s7
                                        ; implicit-def: $vgpr7
.LBB143_1454:
	s_and_not1_saveexec_b32 s5, s5
; %bb.1455:
	v_mov_b32_e32 v5, 0x7f
	v_cmp_lt_u32_e32 vcc_lo, 0x7f800000, v7
	s_delay_alu instid0(VALU_DEP_2)
	v_cndmask_b32_e32 v5, 0x7c, v5, vcc_lo
; %bb.1456:
	s_or_b32 exec_lo, exec_lo, s5
	v_lshrrev_b32_e32 v0, 8, v0
	s_delay_alu instid0(VALU_DEP_1)
	v_and_or_b32 v0, 0x80, v0, v5
	global_store_b8 v[1:2], v0, off
.LBB143_1457:
	s_mov_b32 s5, 0
.LBB143_1458:
	s_delay_alu instid0(SALU_CYCLE_1)
	s_and_not1_b32 vcc_lo, exec_lo, s5
	s_mov_b32 s8, 0
	s_cbranch_vccnz .LBB143_1466
; %bb.1459:
	v_cmp_lt_i16_e32 vcc_lo, 14, v3
	s_mov_b32 s5, -1
	s_cbranch_vccz .LBB143_1463
; %bb.1460:
	v_cmp_eq_u16_e32 vcc_lo, 15, v3
	s_mov_b32 s2, -1
	s_cbranch_vccz .LBB143_1462
; %bb.1461:
	s_mov_b32 s2, 0
	global_store_b16 v[1:2], v4, off
.LBB143_1462:
	s_mov_b32 s5, 0
.LBB143_1463:
	s_delay_alu instid0(SALU_CYCLE_1)
	s_and_b32 vcc_lo, exec_lo, s5
	s_cbranch_vccz .LBB143_1466
; %bb.1464:
	v_cmp_ne_u16_e32 vcc_lo, 11, v3
	s_and_not1_b32 s2, s2, exec_lo
	s_mov_b32 s8, -1
	s_and_b32 s5, vcc_lo, exec_lo
	s_delay_alu instid0(SALU_CYCLE_1)
	s_or_b32 s2, s2, s5
	s_branch .LBB143_1466
.LBB143_1465:
	s_mov_b32 s8, 0
.LBB143_1466:
	s_and_b32 s7, s4, exec_lo
	s_and_not1_b32 s4, s38, exec_lo
	s_and_b32 s5, s2, exec_lo
	s_and_b32 s2, s8, exec_lo
	s_or_b32 s38, s4, s5
.LBB143_1467:
	s_or_b32 exec_lo, exec_lo, s6
	s_and_saveexec_b32 s4, s38
	s_cbranch_execnz .LBB143_1569
; %bb.1468:
	s_or_b32 exec_lo, exec_lo, s4
	s_and_saveexec_b32 s4, s2
	s_delay_alu instid0(SALU_CYCLE_1)
	s_xor_b32 s2, exec_lo, s4
	s_cbranch_execz .LBB143_1470
.LBB143_1469:
	v_and_b32_e32 v0, 0x7fff, v4
	s_delay_alu instid0(VALU_DEP_1)
	v_cmp_ne_u16_e32 vcc_lo, 0, v0
	v_cndmask_b32_e64 v0, 0, 1, vcc_lo
	global_store_b8 v[1:2], v0, off
.LBB143_1470:
	s_or_b32 exec_lo, exec_lo, s2
	s_and_saveexec_b32 s2, s7
	s_delay_alu instid0(SALU_CYCLE_1)
	s_xor_b32 s2, exec_lo, s2
	s_cbranch_execz .LBB143_1508
; %bb.1471:
	v_cmp_gt_i16_e32 vcc_lo, 5, v3
	s_mov_b32 s4, -1
	s_cbranch_vccnz .LBB143_1492
; %bb.1472:
	v_cmp_gt_i16_e32 vcc_lo, 8, v3
	s_cbranch_vccnz .LBB143_1482
; %bb.1473:
	v_cmp_gt_i16_e32 vcc_lo, 9, v3
	s_cbranch_vccnz .LBB143_1479
; %bb.1474:
	v_cmp_lt_i16_e32 vcc_lo, 9, v3
	s_cbranch_vccz .LBB143_1476
; %bb.1475:
	v_dual_mov_b32 v7, 0 :: v_dual_lshlrev_b32 v0, 16, v4
	s_mov_b32 s4, 0
	s_waitcnt vmcnt(0)
	s_delay_alu instid0(VALU_DEP_1) | instskip(NEXT) | instid1(VALU_DEP_2)
	v_cvt_f64_f32_e32 v[5:6], v0
	v_mov_b32_e32 v8, v7
	global_store_b128 v[1:2], v[5:8], off
.LBB143_1476:
	s_and_not1_b32 vcc_lo, exec_lo, s4
	s_cbranch_vccnz .LBB143_1478
; %bb.1477:
	s_waitcnt vmcnt(0)
	v_dual_mov_b32 v6, 0 :: v_dual_lshlrev_b32 v5, 16, v4
	global_store_b64 v[1:2], v[5:6], off
.LBB143_1478:
	s_mov_b32 s4, 0
.LBB143_1479:
	s_delay_alu instid0(SALU_CYCLE_1)
	s_and_not1_b32 vcc_lo, exec_lo, s4
	s_cbranch_vccnz .LBB143_1481
; %bb.1480:
	v_lshlrev_b32_e32 v0, 16, v4
	s_delay_alu instid0(VALU_DEP_1) | instskip(NEXT) | instid1(VALU_DEP_1)
	v_cvt_f16_f32_e32 v0, v0
	v_and_b32_e32 v0, 0xffff, v0
	global_store_b32 v[1:2], v0, off
.LBB143_1481:
	s_mov_b32 s4, 0
.LBB143_1482:
	s_delay_alu instid0(SALU_CYCLE_1)
	s_and_not1_b32 vcc_lo, exec_lo, s4
	s_cbranch_vccnz .LBB143_1491
; %bb.1483:
	v_cmp_gt_i16_e32 vcc_lo, 6, v3
	s_mov_b32 s4, -1
	s_cbranch_vccnz .LBB143_1489
; %bb.1484:
	v_cmp_lt_i16_e32 vcc_lo, 6, v3
	s_cbranch_vccz .LBB143_1486
; %bb.1485:
	v_lshlrev_b32_e32 v0, 16, v4
	s_mov_b32 s4, 0
	s_waitcnt vmcnt(0)
	s_delay_alu instid0(VALU_DEP_1)
	v_cvt_f64_f32_e32 v[5:6], v0
	global_store_b64 v[1:2], v[5:6], off
.LBB143_1486:
	s_and_not1_b32 vcc_lo, exec_lo, s4
	s_cbranch_vccnz .LBB143_1488
; %bb.1487:
	v_lshlrev_b32_e32 v0, 16, v4
	global_store_b32 v[1:2], v0, off
.LBB143_1488:
	s_mov_b32 s4, 0
.LBB143_1489:
	s_delay_alu instid0(SALU_CYCLE_1)
	s_and_not1_b32 vcc_lo, exec_lo, s4
	s_cbranch_vccnz .LBB143_1491
; %bb.1490:
	v_lshlrev_b32_e32 v0, 16, v4
	s_delay_alu instid0(VALU_DEP_1)
	v_cvt_f16_f32_e32 v0, v0
	global_store_b16 v[1:2], v0, off
.LBB143_1491:
	s_mov_b32 s4, 0
.LBB143_1492:
	s_delay_alu instid0(SALU_CYCLE_1)
	s_and_not1_b32 vcc_lo, exec_lo, s4
	s_cbranch_vccnz .LBB143_1508
; %bb.1493:
	v_cmp_gt_i16_e32 vcc_lo, 2, v3
	s_mov_b32 s4, -1
	s_cbranch_vccnz .LBB143_1503
; %bb.1494:
	v_cmp_gt_i16_e32 vcc_lo, 3, v3
	s_cbranch_vccnz .LBB143_1500
; %bb.1495:
	v_cmp_lt_i16_e32 vcc_lo, 3, v3
	s_cbranch_vccz .LBB143_1497
; %bb.1496:
	v_lshlrev_b32_e32 v0, 16, v4
	s_mov_b32 s4, 0
	s_delay_alu instid0(VALU_DEP_1) | instskip(SKIP_1) | instid1(VALU_DEP_1)
	v_trunc_f32_e32 v0, v0
	s_waitcnt vmcnt(0)
	v_mul_f32_e64 v5, 0x2f800000, |v0|
	s_delay_alu instid0(VALU_DEP_1) | instskip(NEXT) | instid1(VALU_DEP_1)
	v_floor_f32_e32 v5, v5
	v_fma_f32 v6, 0xcf800000, v5, |v0|
	v_ashrrev_i32_e32 v0, 31, v0
	v_cvt_u32_f32_e32 v5, v5
	s_delay_alu instid0(VALU_DEP_3) | instskip(NEXT) | instid1(VALU_DEP_2)
	v_cvt_u32_f32_e32 v6, v6
	v_xor_b32_e32 v7, v5, v0
	s_delay_alu instid0(VALU_DEP_2) | instskip(NEXT) | instid1(VALU_DEP_1)
	v_xor_b32_e32 v6, v6, v0
	v_sub_co_u32 v5, vcc_lo, v6, v0
	s_delay_alu instid0(VALU_DEP_3)
	v_sub_co_ci_u32_e32 v6, vcc_lo, v7, v0, vcc_lo
	global_store_b64 v[1:2], v[5:6], off
.LBB143_1497:
	s_and_not1_b32 vcc_lo, exec_lo, s4
	s_cbranch_vccnz .LBB143_1499
; %bb.1498:
	v_lshlrev_b32_e32 v0, 16, v4
	s_delay_alu instid0(VALU_DEP_1)
	v_cvt_i32_f32_e32 v0, v0
	global_store_b32 v[1:2], v0, off
.LBB143_1499:
	s_mov_b32 s4, 0
.LBB143_1500:
	s_delay_alu instid0(SALU_CYCLE_1)
	s_and_not1_b32 vcc_lo, exec_lo, s4
	s_cbranch_vccnz .LBB143_1502
; %bb.1501:
	v_lshlrev_b32_e32 v0, 16, v4
	s_delay_alu instid0(VALU_DEP_1)
	v_cvt_i32_f32_e32 v0, v0
	global_store_b16 v[1:2], v0, off
.LBB143_1502:
	s_mov_b32 s4, 0
.LBB143_1503:
	s_delay_alu instid0(SALU_CYCLE_1)
	s_and_not1_b32 vcc_lo, exec_lo, s4
	s_cbranch_vccnz .LBB143_1508
; %bb.1504:
	v_cmp_lt_i16_e32 vcc_lo, 0, v3
	v_lshlrev_b32_e32 v0, 16, v4
	s_mov_b32 s4, -1
	s_cbranch_vccz .LBB143_1506
; %bb.1505:
	s_delay_alu instid0(VALU_DEP_1)
	v_cvt_i32_f32_e32 v3, v0
	s_mov_b32 s4, 0
	global_store_b8 v[1:2], v3, off
.LBB143_1506:
	s_and_not1_b32 vcc_lo, exec_lo, s4
	s_cbranch_vccnz .LBB143_1508
; %bb.1507:
	v_trunc_f32_e32 v0, v0
	s_delay_alu instid0(VALU_DEP_1) | instskip(NEXT) | instid1(VALU_DEP_1)
	v_mul_f32_e64 v3, 0x2f800000, |v0|
	v_floor_f32_e32 v3, v3
	s_delay_alu instid0(VALU_DEP_1) | instskip(SKIP_1) | instid1(VALU_DEP_2)
	v_fma_f32 v3, 0xcf800000, v3, |v0|
	v_ashrrev_i32_e32 v0, 31, v0
	v_cvt_u32_f32_e32 v3, v3
	s_delay_alu instid0(VALU_DEP_1) | instskip(NEXT) | instid1(VALU_DEP_1)
	v_xor_b32_e32 v3, v3, v0
	v_sub_nc_u32_e32 v0, v3, v0
	global_store_b8 v[1:2], v0, off
.LBB143_1508:
	s_or_b32 exec_lo, exec_lo, s2
	s_delay_alu instid0(SALU_CYCLE_1)
	s_and_b32 s8, s3, exec_lo
                                        ; implicit-def: $vgpr12
                                        ; implicit-def: $vgpr4
.LBB143_1509:
	s_or_saveexec_b32 s9, s30
	s_mov_b32 s4, 0
                                        ; implicit-def: $vgpr0_vgpr1
                                        ; implicit-def: $sgpr3
                                        ; implicit-def: $vgpr2
	s_xor_b32 exec_lo, exec_lo, s9
	s_cbranch_execz .LBB143_3066
; %bb.1510:
	v_cndmask_b32_e64 v0, 0, 1, s29
	s_and_not1_b32 vcc_lo, exec_lo, s29
	s_cbranch_vccnz .LBB143_1516
; %bb.1511:
	v_dual_mov_b32 v3, 0 :: v_dual_mov_b32 v10, 0
	v_mov_b32_e32 v11, 0
	s_cmp_lg_u32 s26, 0
	s_cbranch_scc0 .LBB143_1517
; %bb.1512:
	s_min_u32 s5, s27, 15
	v_dual_mov_b32 v10, 0 :: v_dual_mov_b32 v11, 0
	s_add_i32 s2, s5, 1
	v_mov_b32_e32 v3, 0
	v_mov_b32_e32 v1, v4
	s_and_b32 s6, s2, 30
	s_add_u32 s2, s20, 0xffffffec
	s_addc_u32 s3, s21, -1
	s_set_inst_prefetch_distance 0x1
	.p2align	6
.LBB143_1513:                           ; =>This Inner Loop Header: Depth=1
	s_clause 0x2
	s_load_b128 s[12:15], s[2:3], 0x18
	s_load_b64 s[10:11], s[2:3], 0x28
	s_load_b128 s[16:19], s[2:3], 0xd8
	s_waitcnt lgkmcnt(0)
	v_mul_hi_u32 v2, s13, v1
	s_delay_alu instid0(VALU_DEP_1) | instskip(NEXT) | instid1(VALU_DEP_1)
	v_add_nc_u32_e32 v2, v1, v2
	v_lshrrev_b32_e32 v2, s14, v2
	s_waitcnt vmcnt(0)
	s_delay_alu instid0(VALU_DEP_1)
	v_mul_hi_u32 v5, s10, v2
	v_mul_lo_u32 v6, v2, s12
	s_load_b64 s[12:13], s[2:3], 0xe8
	s_add_u32 s2, s2, 24
	s_addc_u32 s3, s3, 0
	s_add_i32 s6, s6, -2
	s_delay_alu instid0(SALU_CYCLE_1) | instskip(NEXT) | instid1(VALU_DEP_2)
	s_cmp_lg_u32 s6, 0
	v_add_nc_u32_e32 v5, v2, v5
	s_delay_alu instid0(VALU_DEP_2) | instskip(NEXT) | instid1(VALU_DEP_2)
	v_sub_nc_u32_e32 v6, v1, v6
	v_lshrrev_b32_e32 v1, s11, v5
	s_delay_alu instid0(VALU_DEP_2) | instskip(NEXT) | instid1(VALU_DEP_2)
	v_mul_lo_u32 v7, v6, s16
	v_mul_lo_u32 v5, v1, s15
	s_delay_alu instid0(VALU_DEP_1) | instskip(SKIP_2) | instid1(VALU_DEP_3)
	v_sub_nc_u32_e32 v2, v2, v5
	v_mul_lo_u32 v5, v6, s17
	v_mul_lo_u32 v6, v6, s18
	;; [unrolled: 1-line block ×3, first 2 shown]
	s_waitcnt lgkmcnt(0)
	v_mul_lo_u32 v9, v2, s12
	v_mul_lo_u32 v2, v2, s13
	s_delay_alu instid0(VALU_DEP_3) | instskip(NEXT) | instid1(VALU_DEP_3)
	v_add3_u32 v3, v7, v3, v8
	v_add3_u32 v11, v5, v11, v9
	s_delay_alu instid0(VALU_DEP_3)
	v_add3_u32 v10, v6, v10, v2
	s_cbranch_scc1 .LBB143_1513
; %bb.1514:
	s_set_inst_prefetch_distance 0x2
	s_bitcmp1_b32 s5, 0
	s_cselect_b32 s5, -1, 0
	s_delay_alu instid0(SALU_CYCLE_1)
	s_and_b32 vcc_lo, exec_lo, s5
	s_cbranch_vccnz .LBB143_1517
; %bb.1515:
	s_clause 0x3
	s_load_b64 s[6:7], s[2:3], 0x18
	s_load_b32 s5, s[2:3], 0x20
	s_load_b64 s[10:11], s[2:3], 0xd8
	s_load_b32 s2, s[2:3], 0xe0
	s_waitcnt lgkmcnt(0)
	v_mul_hi_u32 v2, s7, v1
	s_delay_alu instid0(VALU_DEP_1) | instskip(NEXT) | instid1(VALU_DEP_1)
	v_add_nc_u32_e32 v2, v1, v2
	v_lshrrev_b32_e32 v2, s5, v2
	s_delay_alu instid0(VALU_DEP_1) | instskip(NEXT) | instid1(VALU_DEP_1)
	v_mul_lo_u32 v2, v2, s6
	v_sub_nc_u32_e32 v7, v1, v2
	s_delay_alu instid0(VALU_DEP_1) | instskip(SKIP_2) | instid1(VALU_DEP_3)
	v_mad_u64_u32 v[1:2], null, v7, s10, v[3:4]
	v_mad_u64_u32 v[2:3], null, v7, s11, v[11:12]
	;; [unrolled: 1-line block ×3, first 2 shown]
	v_mov_b32_e32 v3, v1
	s_delay_alu instid0(VALU_DEP_2)
	v_dual_mov_b32 v11, v2 :: v_dual_mov_b32 v10, v5
	s_branch .LBB143_1517
.LBB143_1516:
	s_mov_b32 s4, -1
                                        ; implicit-def: $vgpr3
                                        ; implicit-def: $vgpr11
                                        ; implicit-def: $vgpr10
.LBB143_1517:
	s_delay_alu instid0(SALU_CYCLE_1)
	s_and_not1_b32 vcc_lo, exec_lo, s4
	s_cbranch_vccnz .LBB143_1520
; %bb.1518:
	s_clause 0x1
	s_load_b128 s[4:7], s[20:21], 0x4
	s_load_b128 s[12:15], s[20:21], 0xc4
	s_cmp_lt_u32 s26, 2
	s_waitcnt lgkmcnt(0)
	v_mul_hi_u32 v1, s5, v4
	s_delay_alu instid0(VALU_DEP_1) | instskip(NEXT) | instid1(VALU_DEP_1)
	v_add_nc_u32_e32 v1, v4, v1
	v_lshrrev_b32_e32 v1, s6, v1
	s_delay_alu instid0(VALU_DEP_1) | instskip(NEXT) | instid1(VALU_DEP_1)
	v_mul_lo_u32 v2, v1, s4
	v_sub_nc_u32_e32 v2, v4, v2
	s_delay_alu instid0(VALU_DEP_1)
	v_mul_lo_u32 v3, v2, s12
	v_mul_lo_u32 v11, v2, s13
	;; [unrolled: 1-line block ×3, first 2 shown]
	s_cbranch_scc1 .LBB143_1520
; %bb.1519:
	s_clause 0x1
	s_load_b128 s[4:7], s[20:21], 0x10
	s_load_b128 s[12:15], s[20:21], 0xd0
	s_waitcnt lgkmcnt(0)
	v_mul_hi_u32 v2, s5, v1
	s_delay_alu instid0(VALU_DEP_1) | instskip(NEXT) | instid1(VALU_DEP_1)
	v_add_nc_u32_e32 v2, v1, v2
	v_lshrrev_b32_e32 v2, s6, v2
	s_delay_alu instid0(VALU_DEP_1) | instskip(NEXT) | instid1(VALU_DEP_1)
	v_mul_lo_u32 v2, v2, s4
	v_sub_nc_u32_e32 v7, v1, v2
	s_delay_alu instid0(VALU_DEP_1) | instskip(SKIP_3) | instid1(VALU_DEP_3)
	v_mad_u64_u32 v[1:2], null, v7, s12, v[3:4]
	v_mad_u64_u32 v[2:3], null, v7, s13, v[11:12]
	s_waitcnt vmcnt(0)
	v_mad_u64_u32 v[5:6], null, v7, s14, v[10:11]
	v_mov_b32_e32 v3, v1
	s_delay_alu instid0(VALU_DEP_2)
	v_dual_mov_b32 v11, v2 :: v_dual_mov_b32 v10, v5
.LBB143_1520:
	v_cmp_ne_u32_e32 vcc_lo, 1, v0
	v_add_nc_u32_e32 v1, 0x80, v4
	s_cbranch_vccnz .LBB143_1526
; %bb.1521:
	v_dual_mov_b32 v2, 0 :: v_dual_mov_b32 v9, 0
	v_mov_b32_e32 v8, 0
	s_cmp_lg_u32 s26, 0
	s_mov_b32 s4, 0
	s_cbranch_scc0 .LBB143_1527
; %bb.1522:
	s_min_u32 s5, s27, 15
	v_dual_mov_b32 v8, 0 :: v_dual_mov_b32 v9, 0
	s_add_i32 s2, s5, 1
	s_waitcnt vmcnt(0)
	v_dual_mov_b32 v2, 0 :: v_dual_mov_b32 v5, v1
	s_and_b32 s6, s2, 30
	s_add_u32 s2, s20, 0xffffffec
	s_addc_u32 s3, s21, -1
	s_set_inst_prefetch_distance 0x1
	.p2align	6
.LBB143_1523:                           ; =>This Inner Loop Header: Depth=1
	s_clause 0x2
	s_load_b128 s[12:15], s[2:3], 0x18
	s_load_b64 s[10:11], s[2:3], 0x28
	s_load_b128 s[16:19], s[2:3], 0xd8
	s_waitcnt lgkmcnt(0)
	v_mul_hi_u32 v6, s13, v5
	s_delay_alu instid0(VALU_DEP_1) | instskip(NEXT) | instid1(VALU_DEP_1)
	v_add_nc_u32_e32 v6, v5, v6
	v_lshrrev_b32_e32 v6, s14, v6
	s_delay_alu instid0(VALU_DEP_1)
	v_mul_hi_u32 v7, s10, v6
	v_mul_lo_u32 v13, v6, s12
	s_load_b64 s[12:13], s[2:3], 0xe8
	s_add_u32 s2, s2, 24
	s_addc_u32 s3, s3, 0
	s_add_i32 s6, s6, -2
	s_delay_alu instid0(SALU_CYCLE_1) | instskip(NEXT) | instid1(VALU_DEP_2)
	s_cmp_lg_u32 s6, 0
	v_add_nc_u32_e32 v7, v6, v7
	s_delay_alu instid0(VALU_DEP_2) | instskip(NEXT) | instid1(VALU_DEP_2)
	v_sub_nc_u32_e32 v13, v5, v13
	v_lshrrev_b32_e32 v5, s11, v7
	s_delay_alu instid0(VALU_DEP_2) | instskip(NEXT) | instid1(VALU_DEP_2)
	v_mul_lo_u32 v14, v13, s16
	v_mul_lo_u32 v7, v5, s15
	s_delay_alu instid0(VALU_DEP_1) | instskip(SKIP_2) | instid1(VALU_DEP_3)
	v_sub_nc_u32_e32 v6, v6, v7
	v_mul_lo_u32 v7, v13, s17
	v_mul_lo_u32 v13, v13, s18
	v_mul_lo_u32 v15, v6, s19
	s_waitcnt lgkmcnt(0)
	v_mul_lo_u32 v16, v6, s12
	v_mul_lo_u32 v6, v6, s13
	s_delay_alu instid0(VALU_DEP_3) | instskip(NEXT) | instid1(VALU_DEP_3)
	v_add3_u32 v2, v14, v2, v15
	v_add3_u32 v9, v7, v9, v16
	s_delay_alu instid0(VALU_DEP_3)
	v_add3_u32 v8, v13, v8, v6
	s_cbranch_scc1 .LBB143_1523
; %bb.1524:
	s_set_inst_prefetch_distance 0x2
	s_bitcmp1_b32 s5, 0
	s_cselect_b32 s5, -1, 0
	s_delay_alu instid0(SALU_CYCLE_1)
	s_and_b32 vcc_lo, exec_lo, s5
	s_cbranch_vccnz .LBB143_1527
; %bb.1525:
	s_clause 0x3
	s_load_b64 s[6:7], s[2:3], 0x18
	s_load_b32 s5, s[2:3], 0x20
	s_load_b64 s[10:11], s[2:3], 0xd8
	s_load_b32 s2, s[2:3], 0xe0
	s_waitcnt lgkmcnt(0)
	v_mul_hi_u32 v6, s7, v5
	s_delay_alu instid0(VALU_DEP_1) | instskip(NEXT) | instid1(VALU_DEP_1)
	v_add_nc_u32_e32 v6, v5, v6
	v_lshrrev_b32_e32 v6, s5, v6
	s_delay_alu instid0(VALU_DEP_1) | instskip(NEXT) | instid1(VALU_DEP_1)
	v_mul_lo_u32 v6, v6, s6
	v_sub_nc_u32_e32 v15, v5, v6
	s_delay_alu instid0(VALU_DEP_1) | instskip(SKIP_2) | instid1(VALU_DEP_2)
	v_mad_u64_u32 v[5:6], null, v15, s10, v[2:3]
	v_mad_u64_u32 v[6:7], null, v15, s11, v[9:10]
	;; [unrolled: 1-line block ×3, first 2 shown]
	v_dual_mov_b32 v2, v5 :: v_dual_mov_b32 v9, v6
	s_delay_alu instid0(VALU_DEP_2)
	v_mov_b32_e32 v8, v13
	s_branch .LBB143_1527
.LBB143_1526:
	s_mov_b32 s4, -1
                                        ; implicit-def: $vgpr2
                                        ; implicit-def: $vgpr9
                                        ; implicit-def: $vgpr8
.LBB143_1527:
	s_delay_alu instid0(SALU_CYCLE_1)
	s_and_not1_b32 vcc_lo, exec_lo, s4
	s_cbranch_vccnz .LBB143_1530
; %bb.1528:
	s_clause 0x1
	s_load_b128 s[4:7], s[20:21], 0x4
	s_load_b128 s[12:15], s[20:21], 0xc4
	s_cmp_lt_u32 s26, 2
	s_waitcnt lgkmcnt(0)
	v_mul_hi_u32 v2, s5, v1
	s_delay_alu instid0(VALU_DEP_1) | instskip(SKIP_1) | instid1(VALU_DEP_1)
	v_add_nc_u32_e32 v2, v1, v2
	s_waitcnt vmcnt(0)
	v_lshrrev_b32_e32 v5, s6, v2
	s_delay_alu instid0(VALU_DEP_1) | instskip(NEXT) | instid1(VALU_DEP_1)
	v_mul_lo_u32 v2, v5, s4
	v_sub_nc_u32_e32 v1, v1, v2
	s_delay_alu instid0(VALU_DEP_1)
	v_mul_lo_u32 v2, v1, s12
	v_mul_lo_u32 v9, v1, s13
	;; [unrolled: 1-line block ×3, first 2 shown]
	s_cbranch_scc1 .LBB143_1530
; %bb.1529:
	s_clause 0x1
	s_load_b128 s[4:7], s[20:21], 0x10
	s_load_b128 s[12:15], s[20:21], 0xd0
	s_waitcnt lgkmcnt(0)
	v_mul_hi_u32 v1, s5, v5
	s_delay_alu instid0(VALU_DEP_1) | instskip(NEXT) | instid1(VALU_DEP_1)
	v_add_nc_u32_e32 v1, v5, v1
	v_lshrrev_b32_e32 v1, s6, v1
	s_delay_alu instid0(VALU_DEP_1) | instskip(NEXT) | instid1(VALU_DEP_1)
	v_mul_lo_u32 v1, v1, s4
	v_sub_nc_u32_e32 v13, v5, v1
	s_delay_alu instid0(VALU_DEP_1) | instskip(SKIP_2) | instid1(VALU_DEP_3)
	v_mad_u64_u32 v[5:6], null, v13, s12, v[2:3]
	v_mad_u64_u32 v[1:2], null, v13, s13, v[9:10]
	;; [unrolled: 1-line block ×3, first 2 shown]
	v_mov_b32_e32 v2, v5
	s_delay_alu instid0(VALU_DEP_2)
	v_dual_mov_b32 v9, v1 :: v_dual_mov_b32 v8, v6
.LBB143_1530:
	v_cmp_ne_u32_e32 vcc_lo, 1, v0
	v_add_nc_u32_e32 v4, 0x100, v4
	s_cbranch_vccnz .LBB143_1536
; %bb.1531:
	v_dual_mov_b32 v1, 0 :: v_dual_mov_b32 v6, 0
	v_mov_b32_e32 v7, 0
	s_cmp_lg_u32 s26, 0
	s_mov_b32 s4, 0
	s_cbranch_scc0 .LBB143_1537
; %bb.1532:
	s_min_u32 s5, s27, 15
	v_dual_mov_b32 v6, 0 :: v_dual_mov_b32 v7, 0
	s_add_i32 s2, s5, 1
	v_mov_b32_e32 v1, 0
	s_waitcnt vmcnt(0)
	v_mov_b32_e32 v5, v4
	s_and_b32 s6, s2, 30
	s_add_u32 s2, s20, 0xffffffec
	s_addc_u32 s3, s21, -1
	s_set_inst_prefetch_distance 0x1
	.p2align	6
.LBB143_1533:                           ; =>This Inner Loop Header: Depth=1
	s_clause 0x2
	s_load_b128 s[12:15], s[2:3], 0x18
	s_load_b64 s[10:11], s[2:3], 0x28
	s_load_b128 s[16:19], s[2:3], 0xd8
	s_waitcnt lgkmcnt(0)
	v_mul_hi_u32 v13, s13, v5
	s_delay_alu instid0(VALU_DEP_1) | instskip(NEXT) | instid1(VALU_DEP_1)
	v_add_nc_u32_e32 v13, v5, v13
	v_lshrrev_b32_e32 v13, s14, v13
	s_delay_alu instid0(VALU_DEP_1)
	v_mul_hi_u32 v14, s10, v13
	v_mul_lo_u32 v15, v13, s12
	s_load_b64 s[12:13], s[2:3], 0xe8
	s_add_u32 s2, s2, 24
	s_addc_u32 s3, s3, 0
	s_add_i32 s6, s6, -2
	s_delay_alu instid0(SALU_CYCLE_1) | instskip(NEXT) | instid1(VALU_DEP_2)
	s_cmp_lg_u32 s6, 0
	v_add_nc_u32_e32 v14, v13, v14
	s_delay_alu instid0(VALU_DEP_2) | instskip(NEXT) | instid1(VALU_DEP_2)
	v_sub_nc_u32_e32 v15, v5, v15
	v_lshrrev_b32_e32 v5, s11, v14
	s_delay_alu instid0(VALU_DEP_2) | instskip(NEXT) | instid1(VALU_DEP_2)
	v_mul_lo_u32 v16, v15, s16
	v_mul_lo_u32 v14, v5, s15
	s_delay_alu instid0(VALU_DEP_1) | instskip(SKIP_2) | instid1(VALU_DEP_3)
	v_sub_nc_u32_e32 v13, v13, v14
	v_mul_lo_u32 v14, v15, s17
	v_mul_lo_u32 v15, v15, s18
	;; [unrolled: 1-line block ×3, first 2 shown]
	s_waitcnt lgkmcnt(0)
	v_mul_lo_u32 v18, v13, s12
	v_mul_lo_u32 v13, v13, s13
	s_delay_alu instid0(VALU_DEP_3) | instskip(NEXT) | instid1(VALU_DEP_3)
	v_add3_u32 v1, v16, v1, v17
	v_add3_u32 v7, v14, v7, v18
	s_delay_alu instid0(VALU_DEP_3)
	v_add3_u32 v6, v15, v6, v13
	s_cbranch_scc1 .LBB143_1533
; %bb.1534:
	s_set_inst_prefetch_distance 0x2
	s_bitcmp1_b32 s5, 0
	s_cselect_b32 s5, -1, 0
	s_delay_alu instid0(SALU_CYCLE_1)
	s_and_b32 vcc_lo, exec_lo, s5
	s_cbranch_vccnz .LBB143_1537
; %bb.1535:
	s_clause 0x3
	s_load_b64 s[6:7], s[2:3], 0x18
	s_load_b32 s5, s[2:3], 0x20
	s_load_b64 s[10:11], s[2:3], 0xd8
	s_load_b32 s2, s[2:3], 0xe0
	s_waitcnt lgkmcnt(0)
	v_mul_hi_u32 v13, s7, v5
	s_delay_alu instid0(VALU_DEP_1) | instskip(NEXT) | instid1(VALU_DEP_1)
	v_add_nc_u32_e32 v13, v5, v13
	v_lshrrev_b32_e32 v13, s5, v13
	s_delay_alu instid0(VALU_DEP_1) | instskip(NEXT) | instid1(VALU_DEP_1)
	v_mul_lo_u32 v13, v13, s6
	v_sub_nc_u32_e32 v5, v5, v13
	s_delay_alu instid0(VALU_DEP_1) | instskip(SKIP_2) | instid1(VALU_DEP_3)
	v_mad_u64_u32 v[13:14], null, v5, s10, v[1:2]
	v_mad_u64_u32 v[14:15], null, v5, s11, v[7:8]
	;; [unrolled: 1-line block ×3, first 2 shown]
	v_mov_b32_e32 v1, v13
	s_delay_alu instid0(VALU_DEP_2)
	v_dual_mov_b32 v7, v14 :: v_dual_mov_b32 v6, v15
	s_branch .LBB143_1537
.LBB143_1536:
	s_mov_b32 s4, -1
                                        ; implicit-def: $vgpr1
                                        ; implicit-def: $vgpr7
                                        ; implicit-def: $vgpr6
.LBB143_1537:
	s_delay_alu instid0(SALU_CYCLE_1)
	s_and_not1_b32 vcc_lo, exec_lo, s4
	s_cbranch_vccnz .LBB143_1540
; %bb.1538:
	s_clause 0x1
	s_load_b128 s[4:7], s[20:21], 0x4
	s_load_b128 s[12:15], s[20:21], 0xc4
	s_cmp_lt_u32 s26, 2
	s_waitcnt lgkmcnt(0)
	v_mul_hi_u32 v1, s5, v4
	s_delay_alu instid0(VALU_DEP_1) | instskip(SKIP_1) | instid1(VALU_DEP_1)
	v_add_nc_u32_e32 v1, v4, v1
	s_waitcnt vmcnt(0)
	v_lshrrev_b32_e32 v5, s6, v1
	s_delay_alu instid0(VALU_DEP_1) | instskip(NEXT) | instid1(VALU_DEP_1)
	v_mul_lo_u32 v1, v5, s4
	v_sub_nc_u32_e32 v4, v4, v1
	s_delay_alu instid0(VALU_DEP_1)
	v_mul_lo_u32 v1, v4, s12
	v_mul_lo_u32 v7, v4, s13
	;; [unrolled: 1-line block ×3, first 2 shown]
	s_cbranch_scc1 .LBB143_1540
; %bb.1539:
	s_clause 0x1
	s_load_b128 s[4:7], s[20:21], 0x10
	s_load_b128 s[12:15], s[20:21], 0xd0
	s_waitcnt lgkmcnt(0)
	v_mul_hi_u32 v4, s5, v5
	s_delay_alu instid0(VALU_DEP_1) | instskip(NEXT) | instid1(VALU_DEP_1)
	v_add_nc_u32_e32 v4, v5, v4
	v_lshrrev_b32_e32 v4, s6, v4
	s_delay_alu instid0(VALU_DEP_1) | instskip(NEXT) | instid1(VALU_DEP_1)
	v_mul_lo_u32 v4, v4, s4
	v_sub_nc_u32_e32 v16, v5, v4
	s_delay_alu instid0(VALU_DEP_1) | instskip(SKIP_2) | instid1(VALU_DEP_3)
	v_mad_u64_u32 v[13:14], null, v16, s13, v[7:8]
	v_mad_u64_u32 v[4:5], null, v16, s12, v[1:2]
	;; [unrolled: 1-line block ×3, first 2 shown]
	v_mov_b32_e32 v7, v13
	s_delay_alu instid0(VALU_DEP_2)
	v_dual_mov_b32 v1, v4 :: v_dual_mov_b32 v6, v14
.LBB143_1540:
	v_cmp_ne_u32_e32 vcc_lo, 1, v0
	s_cbranch_vccnz .LBB143_1546
; %bb.1541:
	s_waitcnt vmcnt(0)
	v_dual_mov_b32 v0, 0 :: v_dual_mov_b32 v5, 0
	v_mov_b32_e32 v4, 0
	s_cmp_lg_u32 s26, 0
	s_mov_b32 s4, 0
	s_cbranch_scc0 .LBB143_1547
; %bb.1542:
	s_min_u32 s5, s27, 15
	v_dual_mov_b32 v4, 0 :: v_dual_mov_b32 v5, 0
	s_add_i32 s2, s5, 1
	v_dual_mov_b32 v0, 0 :: v_dual_mov_b32 v13, v12
	s_and_b32 s6, s2, 30
	s_add_u32 s2, s20, 0xffffffec
	s_addc_u32 s3, s21, -1
	s_set_inst_prefetch_distance 0x1
	.p2align	6
.LBB143_1543:                           ; =>This Inner Loop Header: Depth=1
	s_clause 0x2
	s_load_b128 s[12:15], s[2:3], 0x18
	s_load_b64 s[10:11], s[2:3], 0x28
	s_load_b128 s[16:19], s[2:3], 0xd8
	s_waitcnt lgkmcnt(0)
	v_mul_hi_u32 v14, s13, v13
	s_delay_alu instid0(VALU_DEP_1) | instskip(NEXT) | instid1(VALU_DEP_1)
	v_add_nc_u32_e32 v14, v13, v14
	v_lshrrev_b32_e32 v14, s14, v14
	s_delay_alu instid0(VALU_DEP_1)
	v_mul_hi_u32 v15, s10, v14
	v_mul_lo_u32 v16, v14, s12
	s_load_b64 s[12:13], s[2:3], 0xe8
	s_add_u32 s2, s2, 24
	s_addc_u32 s3, s3, 0
	s_add_i32 s6, s6, -2
	s_delay_alu instid0(SALU_CYCLE_1) | instskip(NEXT) | instid1(VALU_DEP_2)
	s_cmp_lg_u32 s6, 0
	v_add_nc_u32_e32 v15, v14, v15
	s_delay_alu instid0(VALU_DEP_2) | instskip(NEXT) | instid1(VALU_DEP_2)
	v_sub_nc_u32_e32 v16, v13, v16
	v_lshrrev_b32_e32 v13, s11, v15
	s_delay_alu instid0(VALU_DEP_2) | instskip(NEXT) | instid1(VALU_DEP_2)
	v_mul_lo_u32 v17, v16, s16
	v_mul_lo_u32 v15, v13, s15
	s_delay_alu instid0(VALU_DEP_1) | instskip(SKIP_2) | instid1(VALU_DEP_3)
	v_sub_nc_u32_e32 v14, v14, v15
	v_mul_lo_u32 v15, v16, s17
	v_mul_lo_u32 v16, v16, s18
	;; [unrolled: 1-line block ×3, first 2 shown]
	s_waitcnt lgkmcnt(0)
	v_mul_lo_u32 v19, v14, s12
	v_mul_lo_u32 v14, v14, s13
	s_delay_alu instid0(VALU_DEP_3) | instskip(NEXT) | instid1(VALU_DEP_3)
	v_add3_u32 v0, v17, v0, v18
	v_add3_u32 v5, v15, v5, v19
	s_delay_alu instid0(VALU_DEP_3)
	v_add3_u32 v4, v16, v4, v14
	s_cbranch_scc1 .LBB143_1543
; %bb.1544:
	s_set_inst_prefetch_distance 0x2
	s_bitcmp1_b32 s5, 0
	s_cselect_b32 s5, -1, 0
	s_delay_alu instid0(SALU_CYCLE_1)
	s_and_b32 vcc_lo, exec_lo, s5
	s_cbranch_vccnz .LBB143_1547
; %bb.1545:
	s_clause 0x3
	s_load_b64 s[6:7], s[2:3], 0x18
	s_load_b32 s5, s[2:3], 0x20
	s_load_b64 s[10:11], s[2:3], 0xd8
	s_load_b32 s2, s[2:3], 0xe0
	s_waitcnt lgkmcnt(0)
	v_mul_hi_u32 v14, s7, v13
	s_delay_alu instid0(VALU_DEP_1) | instskip(NEXT) | instid1(VALU_DEP_1)
	v_add_nc_u32_e32 v14, v13, v14
	v_lshrrev_b32_e32 v14, s5, v14
	s_delay_alu instid0(VALU_DEP_1) | instskip(NEXT) | instid1(VALU_DEP_1)
	v_mul_lo_u32 v14, v14, s6
	v_sub_nc_u32_e32 v17, v13, v14
	s_delay_alu instid0(VALU_DEP_1) | instskip(SKIP_2) | instid1(VALU_DEP_2)
	v_mad_u64_u32 v[13:14], null, v17, s10, v[0:1]
	v_mad_u64_u32 v[14:15], null, v17, s11, v[5:6]
	v_mad_u64_u32 v[15:16], null, v17, s2, v[4:5]
	v_dual_mov_b32 v0, v13 :: v_dual_mov_b32 v5, v14
	s_delay_alu instid0(VALU_DEP_2)
	v_mov_b32_e32 v4, v15
	s_branch .LBB143_1547
.LBB143_1546:
	s_mov_b32 s4, -1
                                        ; implicit-def: $vgpr0
                                        ; implicit-def: $vgpr5
                                        ; implicit-def: $vgpr4
.LBB143_1547:
	s_delay_alu instid0(SALU_CYCLE_1)
	s_and_not1_b32 vcc_lo, exec_lo, s4
	s_cbranch_vccnz .LBB143_1550
; %bb.1548:
	s_clause 0x1
	s_load_b128 s[4:7], s[20:21], 0x4
	s_load_b128 s[12:15], s[20:21], 0xc4
	s_cmp_lt_u32 s26, 2
	s_waitcnt lgkmcnt(0)
	v_mul_hi_u32 v0, s5, v12
	s_delay_alu instid0(VALU_DEP_1) | instskip(NEXT) | instid1(VALU_DEP_1)
	v_add_nc_u32_e32 v0, v12, v0
	v_lshrrev_b32_e32 v13, s6, v0
	s_delay_alu instid0(VALU_DEP_1) | instskip(NEXT) | instid1(VALU_DEP_1)
	v_mul_lo_u32 v0, v13, s4
	v_sub_nc_u32_e32 v4, v12, v0
	s_delay_alu instid0(VALU_DEP_1)
	v_mul_lo_u32 v0, v4, s12
	s_waitcnt vmcnt(0)
	v_mul_lo_u32 v5, v4, s13
	v_mul_lo_u32 v4, v4, s14
	s_cbranch_scc1 .LBB143_1550
; %bb.1549:
	s_clause 0x1
	s_load_b128 s[4:7], s[20:21], 0x10
	s_load_b128 s[12:15], s[20:21], 0xd0
	s_waitcnt lgkmcnt(0)
	v_mul_hi_u32 v12, s5, v13
	s_delay_alu instid0(VALU_DEP_1) | instskip(NEXT) | instid1(VALU_DEP_1)
	v_add_nc_u32_e32 v12, v13, v12
	v_lshrrev_b32_e32 v12, s6, v12
	s_delay_alu instid0(VALU_DEP_1) | instskip(NEXT) | instid1(VALU_DEP_1)
	v_mul_lo_u32 v12, v12, s4
	v_sub_nc_u32_e32 v16, v13, v12
	s_delay_alu instid0(VALU_DEP_1) | instskip(SKIP_2) | instid1(VALU_DEP_2)
	v_mad_u64_u32 v[12:13], null, v16, s12, v[0:1]
	v_mad_u64_u32 v[13:14], null, v16, s13, v[5:6]
	;; [unrolled: 1-line block ×3, first 2 shown]
	v_dual_mov_b32 v0, v12 :: v_dual_mov_b32 v5, v13
	s_delay_alu instid0(VALU_DEP_2)
	v_mov_b32_e32 v4, v14
.LBB143_1550:
	s_clause 0x1
	s_load_b32 s0, s[0:1], 0x1ac
	s_load_b128 s[4:7], s[20:21], 0x188
	s_mov_b32 s3, 0
	s_waitcnt lgkmcnt(0)
	s_lshr_b32 s1, s0, 8
	s_delay_alu instid0(SALU_CYCLE_1) | instskip(SKIP_1) | instid1(VALU_DEP_1)
	v_and_b32_e64 v14, 0xff, s1
	v_add_co_u32 v11, s1, s6, v11
	v_add_co_ci_u32_e64 v12, null, s7, 0, s1
	s_delay_alu instid0(VALU_DEP_3)
	v_cmp_gt_i16_e32 vcc_lo, 11, v14
	s_cbranch_vccnz .LBB143_1557
; %bb.1551:
	v_cmp_lt_i16_e32 vcc_lo, 25, v14
	s_mov_b32 s2, 0
	s_cbranch_vccz .LBB143_1563
; %bb.1552:
	v_cmp_lt_i16_e32 vcc_lo, 28, v14
	s_cbranch_vccz .LBB143_1565
; %bb.1553:
	v_cmp_lt_i16_e32 vcc_lo, 43, v14
	;; [unrolled: 3-line block ×3, first 2 shown]
	s_cbranch_vccz .LBB143_1571
; %bb.1555:
	v_cmp_eq_u16_e32 vcc_lo, 46, v14
	s_mov_b32 s10, 0
	s_cbranch_vccz .LBB143_1616
; %bb.1556:
	global_load_b32 v13, v[11:12], off
	s_mov_b32 s1, 0
	s_mov_b32 s3, -1
	s_branch .LBB143_1618
.LBB143_1557:
	s_mov_b32 s1, s8
                                        ; implicit-def: $vgpr13
	s_cbranch_execz .LBB143_1681
; %bb.1558:
	v_cmp_gt_i16_e32 vcc_lo, 5, v14
	s_cbranch_vccnz .LBB143_1564
; %bb.1559:
	v_cmp_gt_i16_e32 vcc_lo, 8, v14
	s_cbranch_vccnz .LBB143_1566
	;; [unrolled: 3-line block ×3, first 2 shown]
; %bb.1561:
	v_cmp_lt_i16_e32 vcc_lo, 9, v14
	s_cbranch_vccz .LBB143_1572
; %bb.1562:
	global_load_b64 v[15:16], v[11:12], off
	s_mov_b32 s2, 0
	s_waitcnt vmcnt(0)
	v_cvt_f32_f64_e32 v13, v[15:16]
	s_delay_alu instid0(VALU_DEP_1) | instskip(SKIP_1) | instid1(VALU_DEP_2)
	v_bfe_u32 v15, v13, 16, 1
	v_cmp_o_f32_e32 vcc_lo, v13, v13
	v_add3_u32 v15, v13, v15, 0x7fff
	s_delay_alu instid0(VALU_DEP_1) | instskip(NEXT) | instid1(VALU_DEP_1)
	v_lshrrev_b32_e32 v15, 16, v15
	v_cndmask_b32_e32 v13, 0x7fc0, v15, vcc_lo
	s_branch .LBB143_1573
.LBB143_1563:
	s_mov_b32 s1, 0
                                        ; implicit-def: $vgpr13
	s_cbranch_execnz .LBB143_1646
	s_branch .LBB143_1677
.LBB143_1564:
                                        ; implicit-def: $vgpr13
	s_branch .LBB143_1590
.LBB143_1565:
	s_mov_b32 s10, -1
	s_mov_b32 s1, 0
                                        ; implicit-def: $vgpr13
	s_branch .LBB143_1627
.LBB143_1566:
                                        ; implicit-def: $vgpr13
	s_branch .LBB143_1579
.LBB143_1567:
	s_mov_b32 s1, 0
                                        ; implicit-def: $vgpr13
	s_cbranch_execnz .LBB143_1623
	s_branch .LBB143_1626
.LBB143_1568:
	s_mov_b32 s2, -1
                                        ; implicit-def: $vgpr13
	s_branch .LBB143_1576
.LBB143_1569:
	s_cbranch_execnz .LBB143_1613
; %bb.1570:
	s_or_b32 s3, s3, exec_lo
	s_and_not1_b32 s2, s2, exec_lo
	s_or_b32 exec_lo, exec_lo, s4
	s_and_saveexec_b32 s4, s2
	s_delay_alu instid0(SALU_CYCLE_1)
	s_xor_b32 s2, exec_lo, s4
	s_cbranch_execnz .LBB143_1469
	s_branch .LBB143_1470
.LBB143_1571:
	s_mov_b32 s10, -1
	s_mov_b32 s1, 0
	s_branch .LBB143_1617
.LBB143_1572:
	s_mov_b32 s2, -1
                                        ; implicit-def: $vgpr13
.LBB143_1573:
	s_delay_alu instid0(SALU_CYCLE_1)
	s_and_not1_b32 vcc_lo, exec_lo, s2
	s_cbranch_vccnz .LBB143_1575
; %bb.1574:
	global_load_b32 v13, v[11:12], off
	s_waitcnt vmcnt(0)
	v_bfe_u32 v15, v13, 16, 1
	v_cmp_o_f32_e32 vcc_lo, v13, v13
	s_delay_alu instid0(VALU_DEP_2) | instskip(NEXT) | instid1(VALU_DEP_1)
	v_add3_u32 v15, v13, v15, 0x7fff
	v_lshrrev_b32_e32 v15, 16, v15
	s_delay_alu instid0(VALU_DEP_1)
	v_cndmask_b32_e32 v13, 0x7fc0, v15, vcc_lo
.LBB143_1575:
	s_mov_b32 s2, 0
.LBB143_1576:
	s_delay_alu instid0(SALU_CYCLE_1)
	s_and_not1_b32 vcc_lo, exec_lo, s2
	s_cbranch_vccnz .LBB143_1578
; %bb.1577:
	global_load_b32 v13, v[11:12], off
	s_waitcnt vmcnt(0)
	v_cvt_f32_f16_e32 v15, v13
	v_cmp_o_f16_e32 vcc_lo, v13, v13
	s_delay_alu instid0(VALU_DEP_2) | instskip(NEXT) | instid1(VALU_DEP_1)
	v_bfe_u32 v16, v15, 16, 1
	v_add3_u32 v15, v15, v16, 0x7fff
	s_delay_alu instid0(VALU_DEP_1) | instskip(NEXT) | instid1(VALU_DEP_1)
	v_lshrrev_b32_e32 v15, 16, v15
	v_cndmask_b32_e32 v13, 0x7fc0, v15, vcc_lo
.LBB143_1578:
	s_cbranch_execnz .LBB143_1589
.LBB143_1579:
	v_cmp_gt_i16_e32 vcc_lo, 6, v14
	s_cbranch_vccnz .LBB143_1582
; %bb.1580:
	v_cmp_lt_i16_e32 vcc_lo, 6, v14
	s_cbranch_vccz .LBB143_1583
; %bb.1581:
	global_load_b64 v[15:16], v[11:12], off
	s_mov_b32 s2, 0
	s_waitcnt vmcnt(0)
	v_cvt_f32_f64_e32 v13, v[15:16]
	s_delay_alu instid0(VALU_DEP_1) | instskip(SKIP_1) | instid1(VALU_DEP_2)
	v_bfe_u32 v15, v13, 16, 1
	v_cmp_o_f32_e32 vcc_lo, v13, v13
	v_add3_u32 v15, v13, v15, 0x7fff
	s_delay_alu instid0(VALU_DEP_1) | instskip(NEXT) | instid1(VALU_DEP_1)
	v_lshrrev_b32_e32 v15, 16, v15
	v_cndmask_b32_e32 v13, 0x7fc0, v15, vcc_lo
	s_branch .LBB143_1584
.LBB143_1582:
	s_mov_b32 s2, -1
                                        ; implicit-def: $vgpr13
	s_branch .LBB143_1587
.LBB143_1583:
	s_mov_b32 s2, -1
                                        ; implicit-def: $vgpr13
.LBB143_1584:
	s_delay_alu instid0(SALU_CYCLE_1)
	s_and_not1_b32 vcc_lo, exec_lo, s2
	s_cbranch_vccnz .LBB143_1586
; %bb.1585:
	global_load_b32 v13, v[11:12], off
	s_waitcnt vmcnt(0)
	v_bfe_u32 v15, v13, 16, 1
	v_cmp_o_f32_e32 vcc_lo, v13, v13
	s_delay_alu instid0(VALU_DEP_2) | instskip(NEXT) | instid1(VALU_DEP_1)
	v_add3_u32 v15, v13, v15, 0x7fff
	v_lshrrev_b32_e32 v15, 16, v15
	s_delay_alu instid0(VALU_DEP_1)
	v_cndmask_b32_e32 v13, 0x7fc0, v15, vcc_lo
.LBB143_1586:
	s_mov_b32 s2, 0
.LBB143_1587:
	s_delay_alu instid0(SALU_CYCLE_1)
	s_and_not1_b32 vcc_lo, exec_lo, s2
	s_cbranch_vccnz .LBB143_1589
; %bb.1588:
	global_load_u16 v13, v[11:12], off
	s_waitcnt vmcnt(0)
	v_cvt_f32_f16_e32 v15, v13
	v_cmp_o_f16_e32 vcc_lo, v13, v13
	s_delay_alu instid0(VALU_DEP_2) | instskip(NEXT) | instid1(VALU_DEP_1)
	v_bfe_u32 v16, v15, 16, 1
	v_add3_u32 v15, v15, v16, 0x7fff
	s_delay_alu instid0(VALU_DEP_1) | instskip(NEXT) | instid1(VALU_DEP_1)
	v_lshrrev_b32_e32 v15, 16, v15
	v_cndmask_b32_e32 v13, 0x7fc0, v15, vcc_lo
.LBB143_1589:
	s_cbranch_execnz .LBB143_1608
.LBB143_1590:
	v_cmp_gt_i16_e32 vcc_lo, 2, v14
	s_cbranch_vccnz .LBB143_1594
; %bb.1591:
	v_cmp_gt_i16_e32 vcc_lo, 3, v14
	s_cbranch_vccnz .LBB143_1595
; %bb.1592:
	v_cmp_lt_i16_e32 vcc_lo, 3, v14
	s_cbranch_vccz .LBB143_1596
; %bb.1593:
	global_load_b64 v[15:16], v[11:12], off
	s_mov_b32 s2, 0
	s_waitcnt vmcnt(0)
	v_xor_b32_e32 v13, v15, v16
	v_cls_i32_e32 v17, v16
	s_delay_alu instid0(VALU_DEP_2) | instskip(NEXT) | instid1(VALU_DEP_2)
	v_ashrrev_i32_e32 v13, 31, v13
	v_add_nc_u32_e32 v17, -1, v17
	s_delay_alu instid0(VALU_DEP_2) | instskip(NEXT) | instid1(VALU_DEP_1)
	v_add_nc_u32_e32 v13, 32, v13
	v_min_u32_e32 v13, v17, v13
	s_delay_alu instid0(VALU_DEP_1) | instskip(SKIP_1) | instid1(VALU_DEP_2)
	v_lshlrev_b64 v[15:16], v13, v[15:16]
	v_sub_nc_u32_e32 v13, 32, v13
	v_min_u32_e32 v15, 1, v15
	s_delay_alu instid0(VALU_DEP_1) | instskip(NEXT) | instid1(VALU_DEP_1)
	v_or_b32_e32 v15, v16, v15
	v_cvt_f32_i32_e32 v15, v15
	s_delay_alu instid0(VALU_DEP_1) | instskip(NEXT) | instid1(VALU_DEP_1)
	v_ldexp_f32 v13, v15, v13
	v_bfe_u32 v15, v13, 16, 1
	s_delay_alu instid0(VALU_DEP_1) | instskip(NEXT) | instid1(VALU_DEP_1)
	v_add3_u32 v13, v13, v15, 0x7fff
	v_lshrrev_b32_e32 v13, 16, v13
	s_branch .LBB143_1597
.LBB143_1594:
                                        ; implicit-def: $vgpr13
	s_branch .LBB143_1603
.LBB143_1595:
	s_mov_b32 s2, -1
                                        ; implicit-def: $vgpr13
	s_branch .LBB143_1600
.LBB143_1596:
	s_mov_b32 s2, -1
                                        ; implicit-def: $vgpr13
.LBB143_1597:
	s_delay_alu instid0(SALU_CYCLE_1)
	s_and_not1_b32 vcc_lo, exec_lo, s2
	s_cbranch_vccnz .LBB143_1599
; %bb.1598:
	global_load_b32 v13, v[11:12], off
	s_waitcnt vmcnt(0)
	v_cvt_f32_i32_e32 v13, v13
	s_delay_alu instid0(VALU_DEP_1) | instskip(NEXT) | instid1(VALU_DEP_1)
	v_bfe_u32 v15, v13, 16, 1
	v_add3_u32 v13, v13, v15, 0x7fff
	s_delay_alu instid0(VALU_DEP_1)
	v_lshrrev_b32_e32 v13, 16, v13
.LBB143_1599:
	s_mov_b32 s2, 0
.LBB143_1600:
	s_delay_alu instid0(SALU_CYCLE_1)
	s_and_not1_b32 vcc_lo, exec_lo, s2
	s_cbranch_vccnz .LBB143_1602
; %bb.1601:
	global_load_i16 v13, v[11:12], off
	s_waitcnt vmcnt(0)
	v_cvt_f32_i32_e32 v13, v13
	s_delay_alu instid0(VALU_DEP_1) | instskip(NEXT) | instid1(VALU_DEP_1)
	v_bfe_u32 v15, v13, 16, 1
	v_add3_u32 v13, v13, v15, 0x7fff
	s_delay_alu instid0(VALU_DEP_1)
	v_lshrrev_b32_e32 v13, 16, v13
.LBB143_1602:
	s_cbranch_execnz .LBB143_1608
.LBB143_1603:
	v_cmp_lt_i16_e32 vcc_lo, 0, v14
	s_mov_b32 s2, 0
	s_cbranch_vccz .LBB143_1605
; %bb.1604:
	global_load_i8 v13, v[11:12], off
	s_waitcnt vmcnt(0)
	v_cvt_f32_i32_e32 v13, v13
	s_delay_alu instid0(VALU_DEP_1) | instskip(NEXT) | instid1(VALU_DEP_1)
	v_bfe_u32 v15, v13, 16, 1
	v_add3_u32 v13, v13, v15, 0x7fff
	s_delay_alu instid0(VALU_DEP_1)
	v_lshrrev_b32_e32 v13, 16, v13
	s_branch .LBB143_1606
.LBB143_1605:
	s_mov_b32 s2, -1
                                        ; implicit-def: $vgpr13
.LBB143_1606:
	s_delay_alu instid0(SALU_CYCLE_1)
	s_and_not1_b32 vcc_lo, exec_lo, s2
	s_cbranch_vccnz .LBB143_1608
; %bb.1607:
	global_load_u8 v11, v[11:12], off
	s_waitcnt vmcnt(0)
	v_cvt_f32_ubyte0_e32 v11, v11
	s_delay_alu instid0(VALU_DEP_1) | instskip(NEXT) | instid1(VALU_DEP_1)
	v_bfe_u32 v12, v11, 16, 1
	v_add3_u32 v11, v11, v12, 0x7fff
	s_delay_alu instid0(VALU_DEP_1)
	v_lshrrev_b32_e32 v13, 16, v11
.LBB143_1608:
	s_branch .LBB143_1682
.LBB143_1609:
	s_trap 2
	s_sendmsg_rtn_b32 s0, sendmsg(MSG_RTN_GET_DOORBELL)
	s_mov_b32 ttmp2, m0
	s_waitcnt lgkmcnt(0)
	s_and_b32 s0, s0, 0x3ff
	s_delay_alu instid0(SALU_CYCLE_1) | instskip(NEXT) | instid1(SALU_CYCLE_1)
	s_bitset1_b32 s0, 10
	s_mov_b32 m0, s0
	s_sendmsg sendmsg(MSG_INTERRUPT)
	s_mov_b32 m0, ttmp2
.LBB143_1610:                           ; =>This Inner Loop Header: Depth=1
	s_sethalt 5
	s_branch .LBB143_1610
.LBB143_1611:
	s_trap 2
	s_sendmsg_rtn_b32 s0, sendmsg(MSG_RTN_GET_DOORBELL)
	s_mov_b32 ttmp2, m0
	s_waitcnt lgkmcnt(0)
	s_and_b32 s0, s0, 0x3ff
	s_delay_alu instid0(SALU_CYCLE_1) | instskip(NEXT) | instid1(SALU_CYCLE_1)
	s_bitset1_b32 s0, 10
	s_mov_b32 m0, s0
	s_sendmsg sendmsg(MSG_INTERRUPT)
	s_mov_b32 m0, ttmp2
.LBB143_1612:                           ; =>This Inner Loop Header: Depth=1
	s_sethalt 5
	s_branch .LBB143_1612
.LBB143_1613:
	s_trap 2
	s_sendmsg_rtn_b32 s0, sendmsg(MSG_RTN_GET_DOORBELL)
	s_mov_b32 ttmp2, m0
	s_waitcnt lgkmcnt(0)
	s_and_b32 s0, s0, 0x3ff
	s_delay_alu instid0(SALU_CYCLE_1) | instskip(NEXT) | instid1(SALU_CYCLE_1)
	s_bitset1_b32 s0, 10
	s_mov_b32 m0, s0
	s_sendmsg sendmsg(MSG_INTERRUPT)
	s_mov_b32 m0, ttmp2
.LBB143_1614:                           ; =>This Inner Loop Header: Depth=1
	s_sethalt 5
	s_branch .LBB143_1614
.LBB143_1615:
	s_mov_b32 s12, -1
	s_mov_b32 s7, s39
	s_branch .LBB143_1748
.LBB143_1616:
	s_mov_b32 s1, -1
.LBB143_1617:
                                        ; implicit-def: $vgpr13
.LBB143_1618:
	s_and_b32 vcc_lo, exec_lo, s10
	s_cbranch_vccz .LBB143_1621
; %bb.1619:
	v_cmp_eq_u16_e32 vcc_lo, 44, v14
	s_cbranch_vccz .LBB143_1622
; %bb.1620:
	global_load_u8 v13, v[11:12], off
	s_mov_b32 s1, 0
	s_mov_b32 s3, -1
	s_waitcnt vmcnt(0)
	v_lshlrev_b32_e32 v15, 23, v13
	v_cmp_ne_u32_e32 vcc_lo, 0xff, v13
	s_delay_alu instid0(VALU_DEP_2) | instskip(SKIP_1) | instid1(VALU_DEP_2)
	v_cndmask_b32_e32 v15, 0x7f800001, v15, vcc_lo
	v_cmp_ne_u32_e32 vcc_lo, 0, v13
	v_cndmask_b32_e32 v13, 0x400000, v15, vcc_lo
	s_delay_alu instid0(VALU_DEP_1) | instskip(SKIP_1) | instid1(VALU_DEP_2)
	v_add_nc_u32_e32 v15, 0x7fff, v13
	v_cmp_o_f32_e32 vcc_lo, v13, v13
	v_lshrrev_b32_e32 v15, 16, v15
	s_delay_alu instid0(VALU_DEP_1)
	v_cndmask_b32_e32 v13, 0x7fc0, v15, vcc_lo
.LBB143_1621:
	s_branch .LBB143_1626
.LBB143_1622:
	s_mov_b32 s1, -1
                                        ; implicit-def: $vgpr13
	s_branch .LBB143_1626
.LBB143_1623:
	v_cmp_eq_u16_e32 vcc_lo, 29, v14
	s_cbranch_vccz .LBB143_1625
; %bb.1624:
	global_load_b64 v[15:16], v[11:12], off
	s_mov_b32 s1, 0
	s_mov_b32 s3, -1
	s_mov_b32 s10, 0
	s_waitcnt vmcnt(0)
	v_clz_i32_u32_e32 v13, v16
	s_delay_alu instid0(VALU_DEP_1) | instskip(NEXT) | instid1(VALU_DEP_1)
	v_min_u32_e32 v13, 32, v13
	v_lshlrev_b64 v[15:16], v13, v[15:16]
	v_sub_nc_u32_e32 v13, 32, v13
	s_delay_alu instid0(VALU_DEP_2) | instskip(NEXT) | instid1(VALU_DEP_1)
	v_min_u32_e32 v15, 1, v15
	v_or_b32_e32 v15, v16, v15
	s_delay_alu instid0(VALU_DEP_1) | instskip(NEXT) | instid1(VALU_DEP_1)
	v_cvt_f32_u32_e32 v15, v15
	v_ldexp_f32 v13, v15, v13
	s_delay_alu instid0(VALU_DEP_1) | instskip(NEXT) | instid1(VALU_DEP_1)
	v_bfe_u32 v15, v13, 16, 1
	v_add3_u32 v13, v13, v15, 0x7fff
	s_delay_alu instid0(VALU_DEP_1)
	v_lshrrev_b32_e32 v13, 16, v13
	s_branch .LBB143_1627
.LBB143_1625:
	s_mov_b32 s1, -1
                                        ; implicit-def: $vgpr13
.LBB143_1626:
	s_mov_b32 s10, 0
.LBB143_1627:
	s_delay_alu instid0(SALU_CYCLE_1)
	s_and_b32 vcc_lo, exec_lo, s10
	s_cbranch_vccz .LBB143_1645
; %bb.1628:
	v_cmp_gt_i16_e32 vcc_lo, 27, v14
	s_cbranch_vccnz .LBB143_1631
; %bb.1629:
	v_cmp_lt_i16_e32 vcc_lo, 27, v14
	s_cbranch_vccz .LBB143_1632
; %bb.1630:
	global_load_b32 v13, v[11:12], off
	s_mov_b32 s3, 0
	s_waitcnt vmcnt(0)
	v_cvt_f32_u32_e32 v13, v13
	s_delay_alu instid0(VALU_DEP_1) | instskip(NEXT) | instid1(VALU_DEP_1)
	v_bfe_u32 v15, v13, 16, 1
	v_add3_u32 v13, v13, v15, 0x7fff
	s_delay_alu instid0(VALU_DEP_1)
	v_lshrrev_b32_e32 v13, 16, v13
	s_branch .LBB143_1633
.LBB143_1631:
	s_mov_b32 s3, -1
                                        ; implicit-def: $vgpr13
	s_branch .LBB143_1636
.LBB143_1632:
	s_mov_b32 s3, -1
                                        ; implicit-def: $vgpr13
.LBB143_1633:
	s_delay_alu instid0(SALU_CYCLE_1)
	s_and_not1_b32 vcc_lo, exec_lo, s3
	s_cbranch_vccnz .LBB143_1635
; %bb.1634:
	global_load_u16 v13, v[11:12], off
	s_waitcnt vmcnt(0)
	v_cvt_f32_u32_e32 v13, v13
	s_delay_alu instid0(VALU_DEP_1) | instskip(NEXT) | instid1(VALU_DEP_1)
	v_bfe_u32 v15, v13, 16, 1
	v_add3_u32 v13, v13, v15, 0x7fff
	s_delay_alu instid0(VALU_DEP_1)
	v_lshrrev_b32_e32 v13, 16, v13
.LBB143_1635:
	s_mov_b32 s3, 0
.LBB143_1636:
	s_delay_alu instid0(SALU_CYCLE_1)
	s_and_not1_b32 vcc_lo, exec_lo, s3
	s_cbranch_vccnz .LBB143_1644
; %bb.1637:
	global_load_u8 v13, v[11:12], off
	s_mov_b32 s3, 0
	s_mov_b32 s11, exec_lo
                                        ; implicit-def: $sgpr10
	s_waitcnt vmcnt(0)
	v_cmpx_lt_i16_e32 0x7f, v13
	s_xor_b32 s11, exec_lo, s11
	s_cbranch_execz .LBB143_1657
; %bb.1638:
	s_mov_b32 s3, -1
	s_mov_b32 s12, exec_lo
                                        ; implicit-def: $sgpr10
	v_cmpx_eq_u16_e32 0x80, v13
; %bb.1639:
	s_mov_b32 s10, 0x7f800001
	s_xor_b32 s3, exec_lo, -1
; %bb.1640:
	s_or_b32 exec_lo, exec_lo, s12
	s_delay_alu instid0(SALU_CYCLE_1)
	s_and_b32 s3, s3, exec_lo
	s_or_saveexec_b32 s11, s11
	v_mov_b32_e32 v15, s10
	s_xor_b32 exec_lo, exec_lo, s11
	s_cbranch_execnz .LBB143_1658
.LBB143_1641:
	s_or_b32 exec_lo, exec_lo, s11
	s_and_saveexec_b32 s10, s3
	s_cbranch_execz .LBB143_1643
.LBB143_1642:
	v_and_b32_e32 v15, 0xffff, v13
	v_lshlrev_b32_e32 v13, 24, v13
	s_delay_alu instid0(VALU_DEP_2) | instskip(NEXT) | instid1(VALU_DEP_2)
	v_and_b32_e32 v16, 7, v15
	v_and_b32_e32 v13, 0x80000000, v13
	s_delay_alu instid0(VALU_DEP_2) | instskip(NEXT) | instid1(VALU_DEP_1)
	v_clz_i32_u32_e32 v17, v16
	v_min_u32_e32 v17, 32, v17
	s_delay_alu instid0(VALU_DEP_1) | instskip(SKIP_1) | instid1(VALU_DEP_2)
	v_subrev_nc_u32_e32 v18, 28, v17
	v_sub_nc_u32_e32 v17, 29, v17
	v_lshlrev_b32_e32 v18, v18, v15
	v_bfe_u32 v15, v15, 3, 4
	s_delay_alu instid0(VALU_DEP_2) | instskip(NEXT) | instid1(VALU_DEP_2)
	v_and_b32_e32 v18, 7, v18
	v_cmp_eq_u32_e32 vcc_lo, 0, v15
	s_delay_alu instid0(VALU_DEP_2) | instskip(NEXT) | instid1(VALU_DEP_1)
	v_dual_cndmask_b32 v15, v15, v17 :: v_dual_cndmask_b32 v16, v16, v18
	v_lshl_add_u32 v15, v15, 23, 0x3b800000
	s_delay_alu instid0(VALU_DEP_2) | instskip(NEXT) | instid1(VALU_DEP_1)
	v_lshlrev_b32_e32 v16, 20, v16
	v_or3_b32 v15, v13, v15, v16
.LBB143_1643:
	s_or_b32 exec_lo, exec_lo, s10
	s_delay_alu instid0(VALU_DEP_1) | instskip(SKIP_1) | instid1(VALU_DEP_2)
	v_bfe_u32 v13, v15, 16, 1
	v_cmp_o_f32_e32 vcc_lo, v15, v15
	v_add3_u32 v13, v15, v13, 0x7fff
	s_delay_alu instid0(VALU_DEP_1) | instskip(NEXT) | instid1(VALU_DEP_1)
	v_lshrrev_b32_e32 v13, 16, v13
	v_cndmask_b32_e32 v13, 0x7fc0, v13, vcc_lo
.LBB143_1644:
	s_mov_b32 s3, -1
.LBB143_1645:
	s_branch .LBB143_1677
.LBB143_1646:
	v_cmp_lt_i16_e32 vcc_lo, 22, v14
	s_cbranch_vccz .LBB143_1656
; %bb.1647:
	v_cmp_gt_i16_e32 vcc_lo, 24, v14
	s_cbranch_vccnz .LBB143_1659
; %bb.1648:
	v_cmp_lt_i16_e32 vcc_lo, 24, v14
	s_cbranch_vccz .LBB143_1660
; %bb.1649:
	global_load_u8 v13, v[11:12], off
	s_mov_b32 s10, exec_lo
                                        ; implicit-def: $sgpr3
	s_waitcnt vmcnt(0)
	v_cmpx_lt_i16_e32 0x7f, v13
	s_xor_b32 s10, exec_lo, s10
	s_cbranch_execz .LBB143_1671
; %bb.1650:
	s_mov_b32 s2, -1
	s_mov_b32 s11, exec_lo
                                        ; implicit-def: $sgpr3
	v_cmpx_eq_u16_e32 0x80, v13
; %bb.1651:
	s_mov_b32 s3, 0x7f800001
	s_xor_b32 s2, exec_lo, -1
; %bb.1652:
	s_or_b32 exec_lo, exec_lo, s11
	s_delay_alu instid0(SALU_CYCLE_1)
	s_and_b32 s2, s2, exec_lo
	s_or_saveexec_b32 s10, s10
	v_mov_b32_e32 v15, s3
	s_xor_b32 exec_lo, exec_lo, s10
	s_cbranch_execnz .LBB143_1672
.LBB143_1653:
	s_or_b32 exec_lo, exec_lo, s10
	s_and_saveexec_b32 s3, s2
	s_cbranch_execz .LBB143_1655
.LBB143_1654:
	v_and_b32_e32 v15, 0xffff, v13
	v_lshlrev_b32_e32 v13, 24, v13
	s_delay_alu instid0(VALU_DEP_2) | instskip(NEXT) | instid1(VALU_DEP_2)
	v_and_b32_e32 v16, 3, v15
	v_and_b32_e32 v13, 0x80000000, v13
	s_delay_alu instid0(VALU_DEP_2) | instskip(NEXT) | instid1(VALU_DEP_1)
	v_clz_i32_u32_e32 v17, v16
	v_min_u32_e32 v17, 32, v17
	s_delay_alu instid0(VALU_DEP_1) | instskip(SKIP_1) | instid1(VALU_DEP_2)
	v_subrev_nc_u32_e32 v18, 29, v17
	v_sub_nc_u32_e32 v17, 30, v17
	v_lshlrev_b32_e32 v18, v18, v15
	v_bfe_u32 v15, v15, 2, 5
	s_delay_alu instid0(VALU_DEP_2) | instskip(NEXT) | instid1(VALU_DEP_2)
	v_and_b32_e32 v18, 3, v18
	v_cmp_eq_u32_e32 vcc_lo, 0, v15
	s_delay_alu instid0(VALU_DEP_2) | instskip(NEXT) | instid1(VALU_DEP_1)
	v_dual_cndmask_b32 v15, v15, v17 :: v_dual_cndmask_b32 v16, v16, v18
	v_lshl_add_u32 v15, v15, 23, 0x37800000
	s_delay_alu instid0(VALU_DEP_2) | instskip(NEXT) | instid1(VALU_DEP_1)
	v_lshlrev_b32_e32 v16, 21, v16
	v_or3_b32 v15, v13, v15, v16
.LBB143_1655:
	s_or_b32 exec_lo, exec_lo, s3
	s_delay_alu instid0(VALU_DEP_1) | instskip(SKIP_2) | instid1(VALU_DEP_2)
	v_bfe_u32 v13, v15, 16, 1
	v_cmp_o_f32_e32 vcc_lo, v15, v15
	s_mov_b32 s2, 0
	v_add3_u32 v13, v15, v13, 0x7fff
	s_delay_alu instid0(VALU_DEP_1) | instskip(NEXT) | instid1(VALU_DEP_1)
	v_lshrrev_b32_e32 v13, 16, v13
	v_cndmask_b32_e32 v13, 0x7fc0, v13, vcc_lo
	s_branch .LBB143_1661
.LBB143_1656:
                                        ; implicit-def: $vgpr13
	s_mov_b32 s2, 0
	s_branch .LBB143_1667
.LBB143_1657:
	s_or_saveexec_b32 s11, s11
	v_mov_b32_e32 v15, s10
	s_xor_b32 exec_lo, exec_lo, s11
	s_cbranch_execz .LBB143_1641
.LBB143_1658:
	v_cmp_ne_u16_e32 vcc_lo, 0, v13
	v_mov_b32_e32 v15, 0
	s_and_not1_b32 s3, s3, exec_lo
	s_and_b32 s10, vcc_lo, exec_lo
	s_delay_alu instid0(SALU_CYCLE_1)
	s_or_b32 s3, s3, s10
	s_or_b32 exec_lo, exec_lo, s11
	s_and_saveexec_b32 s10, s3
	s_cbranch_execnz .LBB143_1642
	s_branch .LBB143_1643
.LBB143_1659:
	s_mov_b32 s2, -1
                                        ; implicit-def: $vgpr13
	s_branch .LBB143_1664
.LBB143_1660:
	s_mov_b32 s2, -1
                                        ; implicit-def: $vgpr13
.LBB143_1661:
	s_delay_alu instid0(SALU_CYCLE_1)
	s_and_b32 vcc_lo, exec_lo, s2
	s_cbranch_vccz .LBB143_1663
; %bb.1662:
	global_load_u8 v13, v[11:12], off
	s_waitcnt vmcnt(0)
	v_lshlrev_b32_e32 v13, 24, v13
	s_delay_alu instid0(VALU_DEP_1) | instskip(NEXT) | instid1(VALU_DEP_1)
	v_and_b32_e32 v15, 0x7f000000, v13
	v_clz_i32_u32_e32 v16, v15
	v_cmp_ne_u32_e32 vcc_lo, 0, v15
	v_add_nc_u32_e32 v18, 0x1000000, v15
	s_delay_alu instid0(VALU_DEP_3) | instskip(NEXT) | instid1(VALU_DEP_1)
	v_min_u32_e32 v16, 32, v16
	v_sub_nc_u32_e64 v16, v16, 4 clamp
	s_delay_alu instid0(VALU_DEP_1) | instskip(SKIP_1) | instid1(VALU_DEP_2)
	v_lshlrev_b32_e32 v17, v16, v15
	v_lshlrev_b32_e32 v16, 23, v16
	v_lshrrev_b32_e32 v17, 4, v17
	s_delay_alu instid0(VALU_DEP_1) | instskip(SKIP_1) | instid1(VALU_DEP_2)
	v_sub_nc_u32_e32 v16, v17, v16
	v_ashrrev_i32_e32 v17, 8, v18
	v_add_nc_u32_e32 v16, 0x3c000000, v16
	s_delay_alu instid0(VALU_DEP_1) | instskip(NEXT) | instid1(VALU_DEP_1)
	v_and_or_b32 v16, 0x7f800000, v17, v16
	v_cndmask_b32_e32 v15, 0, v16, vcc_lo
	s_delay_alu instid0(VALU_DEP_1) | instskip(SKIP_1) | instid1(VALU_DEP_2)
	v_and_or_b32 v13, 0x80000000, v13, v15
	v_bfe_u32 v15, v15, 16, 1
	v_cmp_o_f32_e32 vcc_lo, v13, v13
	s_delay_alu instid0(VALU_DEP_2) | instskip(NEXT) | instid1(VALU_DEP_1)
	v_add3_u32 v15, v13, v15, 0x7fff
	v_lshrrev_b32_e32 v15, 16, v15
	s_delay_alu instid0(VALU_DEP_1)
	v_cndmask_b32_e32 v13, 0x7fc0, v15, vcc_lo
.LBB143_1663:
	s_mov_b32 s2, 0
.LBB143_1664:
	s_delay_alu instid0(SALU_CYCLE_1)
	s_and_not1_b32 vcc_lo, exec_lo, s2
	s_cbranch_vccnz .LBB143_1666
; %bb.1665:
	global_load_u8 v13, v[11:12], off
	s_waitcnt vmcnt(0)
	v_lshlrev_b32_e32 v15, 25, v13
	v_lshlrev_b16 v13, 8, v13
	s_delay_alu instid0(VALU_DEP_2) | instskip(NEXT) | instid1(VALU_DEP_2)
	v_lshrrev_b32_e32 v16, 4, v15
	v_and_or_b32 v17, 0x7f00, v13, 0.5
	v_bfe_i32 v13, v13, 0, 16
	s_delay_alu instid0(VALU_DEP_3) | instskip(NEXT) | instid1(VALU_DEP_1)
	v_or_b32_e32 v16, 0x70000000, v16
	v_dual_add_f32 v17, -0.5, v17 :: v_dual_mul_f32 v16, 0x7800000, v16
	v_cmp_gt_u32_e32 vcc_lo, 0x8000000, v15
	s_delay_alu instid0(VALU_DEP_2) | instskip(NEXT) | instid1(VALU_DEP_1)
	v_cndmask_b32_e32 v15, v16, v17, vcc_lo
	v_and_or_b32 v13, 0x80000000, v13, v15
	v_bfe_u32 v15, v15, 16, 1
	s_delay_alu instid0(VALU_DEP_2) | instskip(NEXT) | instid1(VALU_DEP_2)
	v_cmp_o_f32_e32 vcc_lo, v13, v13
	v_add3_u32 v15, v13, v15, 0x7fff
	s_delay_alu instid0(VALU_DEP_1) | instskip(NEXT) | instid1(VALU_DEP_1)
	v_lshrrev_b32_e32 v15, 16, v15
	v_cndmask_b32_e32 v13, 0x7fc0, v15, vcc_lo
.LBB143_1666:
	s_mov_b32 s3, -1
	s_mov_b32 s2, 0
	s_cbranch_execnz .LBB143_1677
.LBB143_1667:
	v_cmp_lt_i16_e32 vcc_lo, 14, v14
	s_cbranch_vccz .LBB143_1670
; %bb.1668:
	v_cmp_eq_u16_e32 vcc_lo, 15, v14
	s_cbranch_vccz .LBB143_1673
; %bb.1669:
	global_load_u16 v13, v[11:12], off
	s_mov_b32 s1, 0
	s_mov_b32 s3, -1
	s_branch .LBB143_1675
.LBB143_1670:
	s_mov_b32 s2, -1
	s_branch .LBB143_1674
.LBB143_1671:
	s_or_saveexec_b32 s10, s10
	v_mov_b32_e32 v15, s3
	s_xor_b32 exec_lo, exec_lo, s10
	s_cbranch_execz .LBB143_1653
.LBB143_1672:
	v_cmp_ne_u16_e32 vcc_lo, 0, v13
	v_mov_b32_e32 v15, 0
	s_and_not1_b32 s2, s2, exec_lo
	s_and_b32 s3, vcc_lo, exec_lo
	s_delay_alu instid0(SALU_CYCLE_1)
	s_or_b32 s2, s2, s3
	s_or_b32 exec_lo, exec_lo, s10
	s_and_saveexec_b32 s3, s2
	s_cbranch_execnz .LBB143_1654
	s_branch .LBB143_1655
.LBB143_1673:
	s_mov_b32 s1, -1
.LBB143_1674:
                                        ; implicit-def: $vgpr13
.LBB143_1675:
	s_and_b32 vcc_lo, exec_lo, s2
	s_mov_b32 s2, 0
	s_cbranch_vccz .LBB143_1677
; %bb.1676:
	v_cmp_ne_u16_e64 s1, 11, v14
	s_mov_b32 s2, -1
                                        ; implicit-def: $vgpr13
.LBB143_1677:
	s_delay_alu instid0(VALU_DEP_1)
	s_and_b32 vcc_lo, exec_lo, s1
	s_mov_b32 s1, s8
	s_cbranch_vccnz .LBB143_1701
; %bb.1678:
	s_and_not1_b32 vcc_lo, exec_lo, s2
	s_cbranch_vccnz .LBB143_1680
.LBB143_1679:
	global_load_u8 v13, v[11:12], off
	s_mov_b32 s3, -1
	s_waitcnt vmcnt(0)
	v_cmp_ne_u16_e32 vcc_lo, 0, v13
	v_cndmask_b32_e64 v13, 0, 1.0, vcc_lo
	s_delay_alu instid0(VALU_DEP_1)
	v_lshrrev_b32_e32 v13, 16, v13
.LBB143_1680:
.LBB143_1681:
	s_and_not1_b32 vcc_lo, exec_lo, s3
	s_cbranch_vccnz .LBB143_3064
.LBB143_1682:
	s_load_b64 s[2:3], s[20:21], 0x198
	s_lshr_b32 s0, s0, 16
	s_mov_b32 s12, 0
	v_and_b32_e64 v12, 0xff, s0
	s_delay_alu instid0(VALU_DEP_1) | instskip(SKIP_2) | instid1(VALU_DEP_1)
	v_cmp_gt_i16_e32 vcc_lo, 11, v12
	s_waitcnt lgkmcnt(0)
	v_add_co_u32 v10, s0, s2, v10
	v_add_co_ci_u32_e64 v11, null, s3, 0, s0
	s_cbranch_vccnz .LBB143_1689
; %bb.1683:
	v_cmp_lt_i16_e32 vcc_lo, 25, v12
	s_mov_b32 s0, 0
	s_cbranch_vccz .LBB143_1695
; %bb.1684:
	v_cmp_lt_i16_e32 vcc_lo, 28, v12
	s_cbranch_vccz .LBB143_1697
; %bb.1685:
	v_cmp_lt_i16_e32 vcc_lo, 43, v12
	;; [unrolled: 3-line block ×3, first 2 shown]
	s_cbranch_vccz .LBB143_1703
; %bb.1687:
	v_cmp_eq_u16_e32 vcc_lo, 46, v12
	s_mov_b32 s13, 0
	s_cbranch_vccz .LBB143_1808
; %bb.1688:
	global_load_b32 v15, v[10:11], off
	s_mov_b32 s11, 0
	s_mov_b32 s12, -1
	s_waitcnt vmcnt(0)
	v_and_b32_e32 v15, 0x7fff7fff, v15
	s_delay_alu instid0(VALU_DEP_1)
	v_cmp_ne_u32_e32 vcc_lo, 0, v15
	s_and_b32 s10, vcc_lo, exec_lo
	s_branch .LBB143_1810
.LBB143_1689:
                                        ; implicit-def: $sgpr10
	s_cbranch_execz .LBB143_1873
; %bb.1690:
	v_cmp_gt_i16_e32 vcc_lo, 5, v12
	s_cbranch_vccnz .LBB143_1696
; %bb.1691:
	v_cmp_gt_i16_e32 vcc_lo, 8, v12
	s_cbranch_vccnz .LBB143_1698
	;; [unrolled: 3-line block ×3, first 2 shown]
; %bb.1693:
	v_cmp_lt_i16_e32 vcc_lo, 9, v12
	s_cbranch_vccz .LBB143_1706
; %bb.1694:
	global_load_b128 v[15:18], v[10:11], off
	s_waitcnt vmcnt(0)
	v_cmp_neq_f64_e32 vcc_lo, 0, v[15:16]
	v_cmp_neq_f64_e64 s0, 0, v[17:18]
	s_delay_alu instid0(VALU_DEP_1)
	s_or_b32 s10, vcc_lo, s0
	s_mov_b32 s0, 0
	s_and_b32 s10, s10, exec_lo
	s_branch .LBB143_1707
.LBB143_1695:
	s_mov_b32 s11, 0
                                        ; implicit-def: $sgpr10
	s_cbranch_execnz .LBB143_1837
	s_branch .LBB143_1869
.LBB143_1696:
                                        ; implicit-def: $sgpr10
	s_branch .LBB143_1725
.LBB143_1697:
	s_mov_b32 s13, -1
	s_mov_b32 s11, 0
                                        ; implicit-def: $sgpr10
	s_branch .LBB143_1818
.LBB143_1698:
	s_mov_b32 s0, -1
                                        ; implicit-def: $sgpr10
	s_branch .LBB143_1713
.LBB143_1699:
	s_mov_b32 s13, -1
	s_mov_b32 s11, 0
                                        ; implicit-def: $sgpr10
	s_branch .LBB143_1813
.LBB143_1700:
	s_mov_b32 s0, -1
                                        ; implicit-def: $sgpr10
	s_branch .LBB143_1710
.LBB143_1701:
	s_cbranch_execnz .LBB143_1745
; %bb.1702:
	s_or_b32 s1, s8, exec_lo
                                        ; implicit-def: $vgpr13
	s_cbranch_execz .LBB143_1679
	s_branch .LBB143_1680
.LBB143_1703:
	s_mov_b32 s13, -1
	s_mov_b32 s11, 0
	s_branch .LBB143_1809
.LBB143_1704:
	s_or_saveexec_b32 s7, s7
                                        ; implicit-def: $sgpr8
	s_delay_alu instid0(SALU_CYCLE_1)
	s_xor_b32 exec_lo, exec_lo, s7
	s_cbranch_execz .LBB143_1420
.LBB143_1705:
	v_add_f32_e64 v5, 0x46000000, |v6|
	s_and_not1_b32 s5, s5, exec_lo
	s_mov_b32 s8, 0
	s_delay_alu instid0(VALU_DEP_1) | instskip(NEXT) | instid1(VALU_DEP_1)
	v_and_b32_e32 v5, 0xff, v5
	v_cmp_ne_u32_e32 vcc_lo, 0, v5
	s_and_b32 s9, vcc_lo, exec_lo
	s_delay_alu instid0(SALU_CYCLE_1)
	s_or_b32 s5, s5, s9
	s_or_b32 exec_lo, exec_lo, s7
	v_mov_b32_e32 v7, s8
	s_and_saveexec_b32 s7, s5
	s_cbranch_execnz .LBB143_1421
	s_branch .LBB143_1422
.LBB143_1706:
	s_mov_b32 s0, -1
                                        ; implicit-def: $sgpr10
.LBB143_1707:
	s_delay_alu instid0(SALU_CYCLE_1)
	s_and_not1_b32 vcc_lo, exec_lo, s0
	s_cbranch_vccnz .LBB143_1709
; %bb.1708:
	global_load_b64 v[15:16], v[10:11], off
	s_and_not1_b32 s0, s10, exec_lo
	s_waitcnt vmcnt(0)
	v_or_b32_e32 v15, v15, v16
	s_delay_alu instid0(VALU_DEP_1) | instskip(NEXT) | instid1(VALU_DEP_1)
	v_and_b32_e32 v15, 0x7fffffff, v15
	v_cmp_ne_u32_e32 vcc_lo, 0, v15
	s_and_b32 s10, vcc_lo, exec_lo
	s_delay_alu instid0(SALU_CYCLE_1)
	s_or_b32 s10, s0, s10
.LBB143_1709:
	s_mov_b32 s0, 0
.LBB143_1710:
	s_delay_alu instid0(SALU_CYCLE_1)
	s_and_not1_b32 vcc_lo, exec_lo, s0
	s_cbranch_vccnz .LBB143_1712
; %bb.1711:
	global_load_b32 v15, v[10:11], off
	s_and_not1_b32 s0, s10, exec_lo
	s_waitcnt vmcnt(0)
	v_and_b32_e32 v15, 0x7fff7fff, v15
	s_delay_alu instid0(VALU_DEP_1) | instskip(SKIP_1) | instid1(SALU_CYCLE_1)
	v_cmp_ne_u32_e32 vcc_lo, 0, v15
	s_and_b32 s10, vcc_lo, exec_lo
	s_or_b32 s10, s0, s10
.LBB143_1712:
	s_mov_b32 s0, 0
.LBB143_1713:
	s_delay_alu instid0(SALU_CYCLE_1)
	s_and_not1_b32 vcc_lo, exec_lo, s0
	s_cbranch_vccnz .LBB143_1724
; %bb.1714:
	v_cmp_gt_i16_e32 vcc_lo, 6, v12
	s_cbranch_vccnz .LBB143_1717
; %bb.1715:
	v_cmp_lt_i16_e32 vcc_lo, 6, v12
	s_cbranch_vccz .LBB143_1718
; %bb.1716:
	global_load_b64 v[15:16], v[10:11], off
	s_mov_b32 s0, 0
	s_waitcnt vmcnt(0)
	v_cmp_neq_f64_e32 vcc_lo, 0, v[15:16]
	s_and_b32 s10, vcc_lo, exec_lo
	s_branch .LBB143_1719
.LBB143_1717:
	s_mov_b32 s0, -1
                                        ; implicit-def: $sgpr10
	s_branch .LBB143_1722
.LBB143_1718:
	s_mov_b32 s0, -1
                                        ; implicit-def: $sgpr10
.LBB143_1719:
	s_delay_alu instid0(SALU_CYCLE_1)
	s_and_not1_b32 vcc_lo, exec_lo, s0
	s_cbranch_vccnz .LBB143_1721
; %bb.1720:
	global_load_b32 v15, v[10:11], off
	s_and_not1_b32 s0, s10, exec_lo
	s_waitcnt vmcnt(0)
	v_cmp_neq_f32_e32 vcc_lo, 0, v15
	s_and_b32 s10, vcc_lo, exec_lo
	s_delay_alu instid0(SALU_CYCLE_1)
	s_or_b32 s10, s0, s10
.LBB143_1721:
	s_mov_b32 s0, 0
.LBB143_1722:
	s_delay_alu instid0(SALU_CYCLE_1)
	s_and_not1_b32 vcc_lo, exec_lo, s0
	s_cbranch_vccnz .LBB143_1724
; %bb.1723:
	global_load_u16 v15, v[10:11], off
	s_and_not1_b32 s0, s10, exec_lo
	s_waitcnt vmcnt(0)
	v_and_b32_e32 v15, 0x7fff, v15
	s_delay_alu instid0(VALU_DEP_1) | instskip(SKIP_1) | instid1(SALU_CYCLE_1)
	v_cmp_ne_u16_e32 vcc_lo, 0, v15
	s_and_b32 s10, vcc_lo, exec_lo
	s_or_b32 s10, s0, s10
.LBB143_1724:
	s_cbranch_execnz .LBB143_1744
.LBB143_1725:
	v_cmp_gt_i16_e32 vcc_lo, 2, v12
	s_cbranch_vccnz .LBB143_1729
; %bb.1726:
	v_cmp_gt_i16_e32 vcc_lo, 3, v12
	s_cbranch_vccnz .LBB143_1730
; %bb.1727:
	v_cmp_lt_i16_e32 vcc_lo, 3, v12
	s_cbranch_vccz .LBB143_1731
; %bb.1728:
	global_load_b64 v[15:16], v[10:11], off
	s_mov_b32 s0, 0
	s_waitcnt vmcnt(0)
	v_cmp_ne_u64_e32 vcc_lo, 0, v[15:16]
	s_and_b32 s10, vcc_lo, exec_lo
	s_branch .LBB143_1732
.LBB143_1729:
	s_mov_b32 s0, -1
                                        ; implicit-def: $sgpr10
	s_branch .LBB143_1738
.LBB143_1730:
	s_mov_b32 s0, -1
                                        ; implicit-def: $sgpr10
	s_branch .LBB143_1735
.LBB143_1731:
	s_mov_b32 s0, -1
                                        ; implicit-def: $sgpr10
.LBB143_1732:
	s_delay_alu instid0(SALU_CYCLE_1)
	s_and_not1_b32 vcc_lo, exec_lo, s0
	s_cbranch_vccnz .LBB143_1734
; %bb.1733:
	global_load_b32 v15, v[10:11], off
	s_and_not1_b32 s0, s10, exec_lo
	s_waitcnt vmcnt(0)
	v_cmp_ne_u32_e32 vcc_lo, 0, v15
	s_and_b32 s10, vcc_lo, exec_lo
	s_delay_alu instid0(SALU_CYCLE_1)
	s_or_b32 s10, s0, s10
.LBB143_1734:
	s_mov_b32 s0, 0
.LBB143_1735:
	s_delay_alu instid0(SALU_CYCLE_1)
	s_and_not1_b32 vcc_lo, exec_lo, s0
	s_cbranch_vccnz .LBB143_1737
; %bb.1736:
	global_load_u16 v15, v[10:11], off
	s_and_not1_b32 s0, s10, exec_lo
	s_waitcnt vmcnt(0)
	v_cmp_ne_u16_e32 vcc_lo, 0, v15
	s_and_b32 s10, vcc_lo, exec_lo
	s_delay_alu instid0(SALU_CYCLE_1)
	s_or_b32 s10, s0, s10
.LBB143_1737:
	s_mov_b32 s0, 0
.LBB143_1738:
	s_delay_alu instid0(SALU_CYCLE_1)
	s_and_not1_b32 vcc_lo, exec_lo, s0
	s_cbranch_vccnz .LBB143_1744
; %bb.1739:
	v_cmp_lt_i16_e32 vcc_lo, 0, v12
	s_mov_b32 s0, 0
	s_cbranch_vccz .LBB143_1741
; %bb.1740:
	global_load_u8 v15, v[10:11], off
	s_waitcnt vmcnt(0)
	v_cmp_ne_u16_e32 vcc_lo, 0, v15
	s_and_b32 s10, vcc_lo, exec_lo
	s_branch .LBB143_1742
.LBB143_1741:
	s_mov_b32 s0, -1
                                        ; implicit-def: $sgpr10
.LBB143_1742:
	s_delay_alu instid0(SALU_CYCLE_1)
	s_and_not1_b32 vcc_lo, exec_lo, s0
	s_cbranch_vccnz .LBB143_1744
; %bb.1743:
	global_load_u8 v10, v[10:11], off
	s_and_not1_b32 s0, s10, exec_lo
	s_waitcnt vmcnt(0)
	v_cmp_ne_u16_e32 vcc_lo, 0, v10
	s_and_b32 s10, vcc_lo, exec_lo
	s_delay_alu instid0(SALU_CYCLE_1)
	s_or_b32 s10, s0, s10
.LBB143_1744:
	s_branch .LBB143_1874
.LBB143_1745:
	s_trap 2
	s_sendmsg_rtn_b32 s0, sendmsg(MSG_RTN_GET_DOORBELL)
	s_mov_b32 ttmp2, m0
	s_waitcnt lgkmcnt(0)
	s_and_b32 s0, s0, 0x3ff
	s_delay_alu instid0(SALU_CYCLE_1) | instskip(NEXT) | instid1(SALU_CYCLE_1)
	s_bitset1_b32 s0, 10
	s_mov_b32 m0, s0
	s_sendmsg sendmsg(MSG_INTERRUPT)
	s_mov_b32 m0, ttmp2
.LBB143_1746:                           ; =>This Inner Loop Header: Depth=1
	s_sethalt 5
	s_branch .LBB143_1746
.LBB143_1747:
	s_mov_b32 s7, -1
.LBB143_1748:
                                        ; implicit-def: $sgpr8
.LBB143_1749:
	s_and_b32 vcc_lo, exec_lo, s12
	s_cbranch_vccz .LBB143_1751
; %bb.1750:
	v_cmp_ne_u16_e32 vcc_lo, 44, v4
	s_and_not1_b32 s7, s7, exec_lo
	s_mov_b32 s9, -1
	s_or_b32 s8, s8, exec_lo
	s_and_b32 s12, vcc_lo, exec_lo
	s_delay_alu instid0(SALU_CYCLE_1)
	s_or_b32 s7, s7, s12
.LBB143_1751:
	s_mov_b32 s12, 0
.LBB143_1752:
	s_delay_alu instid0(SALU_CYCLE_1)
	s_and_b32 vcc_lo, exec_lo, s12
	s_cbranch_vccz .LBB143_1756
; %bb.1753:
	v_cmp_eq_u16_e32 vcc_lo, 29, v4
	s_cbranch_vccz .LBB143_1755
; %bb.1754:
	global_load_b64 v[6:7], v[2:3], off
	s_mov_b32 s7, 0
	s_mov_b32 s9, -1
	s_mov_b32 s12, 0
	s_waitcnt vmcnt(0)
	v_cmp_ne_u64_e32 vcc_lo, 0, v[6:7]
	s_and_b32 s8, vcc_lo, exec_lo
	s_branch .LBB143_1757
.LBB143_1755:
	s_mov_b32 s7, -1
                                        ; implicit-def: $sgpr8
.LBB143_1756:
	s_mov_b32 s12, 0
.LBB143_1757:
	s_delay_alu instid0(SALU_CYCLE_1)
	s_and_b32 vcc_lo, exec_lo, s12
	s_cbranch_vccz .LBB143_1775
; %bb.1758:
	v_cmp_gt_i16_e32 vcc_lo, 27, v4
	s_cbranch_vccnz .LBB143_1761
; %bb.1759:
	v_cmp_lt_i16_e32 vcc_lo, 27, v4
	s_cbranch_vccz .LBB143_1762
; %bb.1760:
	global_load_b32 v1, v[2:3], off
	s_mov_b32 s9, 0
	s_waitcnt vmcnt(0)
	v_cmp_ne_u32_e32 vcc_lo, 0, v1
	s_and_b32 s8, vcc_lo, exec_lo
	s_branch .LBB143_1763
.LBB143_1761:
	s_mov_b32 s9, -1
                                        ; implicit-def: $sgpr8
	s_branch .LBB143_1766
.LBB143_1762:
	s_mov_b32 s9, -1
                                        ; implicit-def: $sgpr8
.LBB143_1763:
	s_delay_alu instid0(SALU_CYCLE_1)
	s_and_not1_b32 vcc_lo, exec_lo, s9
	s_cbranch_vccnz .LBB143_1765
; %bb.1764:
	global_load_u16 v1, v[2:3], off
	s_and_not1_b32 s8, s8, exec_lo
	s_waitcnt vmcnt(0)
	v_cmp_ne_u16_e32 vcc_lo, 0, v1
	s_and_b32 s9, vcc_lo, exec_lo
	s_delay_alu instid0(SALU_CYCLE_1)
	s_or_b32 s8, s8, s9
.LBB143_1765:
	s_mov_b32 s9, 0
.LBB143_1766:
	s_delay_alu instid0(SALU_CYCLE_1)
	s_and_not1_b32 vcc_lo, exec_lo, s9
	s_cbranch_vccnz .LBB143_1774
; %bb.1767:
	global_load_u8 v1, v[2:3], off
	s_mov_b32 s9, 0
	s_mov_b32 s12, exec_lo
                                        ; implicit-def: $sgpr8
	s_waitcnt vmcnt(0)
	v_cmpx_lt_i16_e32 0x7f, v1
	s_xor_b32 s12, exec_lo, s12
	s_cbranch_execz .LBB143_1787
; %bb.1768:
	s_mov_b32 s9, -1
	s_mov_b32 s13, exec_lo
                                        ; implicit-def: $sgpr8
	v_cmpx_eq_u16_e32 0x80, v1
; %bb.1769:
	s_mov_b32 s8, -1
	s_xor_b32 s9, exec_lo, -1
; %bb.1770:
	s_or_b32 exec_lo, exec_lo, s13
	s_delay_alu instid0(SALU_CYCLE_1)
	s_and_b32 s9, s9, exec_lo
	s_and_not1_saveexec_b32 s12, s12
	s_cbranch_execnz .LBB143_1788
.LBB143_1771:
	s_or_b32 exec_lo, exec_lo, s12
	s_and_saveexec_b32 s12, s9
	s_cbranch_execz .LBB143_1773
.LBB143_1772:
	v_and_b32_e32 v1, 0xffff, v1
	s_and_not1_b32 s8, s8, exec_lo
	s_delay_alu instid0(VALU_DEP_1) | instskip(NEXT) | instid1(VALU_DEP_1)
	v_and_b32_e32 v6, 7, v1
	v_clz_i32_u32_e32 v7, v6
	s_delay_alu instid0(VALU_DEP_1) | instskip(NEXT) | instid1(VALU_DEP_1)
	v_min_u32_e32 v7, 32, v7
	v_subrev_nc_u32_e32 v8, 28, v7
	v_sub_nc_u32_e32 v7, 29, v7
	s_delay_alu instid0(VALU_DEP_2) | instskip(SKIP_1) | instid1(VALU_DEP_2)
	v_lshlrev_b32_e32 v8, v8, v1
	v_bfe_u32 v1, v1, 3, 4
	v_and_b32_e32 v8, 7, v8
	s_delay_alu instid0(VALU_DEP_2) | instskip(NEXT) | instid1(VALU_DEP_2)
	v_cmp_eq_u32_e32 vcc_lo, 0, v1
	v_dual_cndmask_b32 v1, v1, v7 :: v_dual_cndmask_b32 v6, v6, v8
	s_delay_alu instid0(VALU_DEP_1) | instskip(NEXT) | instid1(VALU_DEP_2)
	v_lshl_add_u32 v1, v1, 23, 0x3b800000
	v_lshlrev_b32_e32 v6, 20, v6
	s_delay_alu instid0(VALU_DEP_1) | instskip(NEXT) | instid1(VALU_DEP_1)
	v_and_or_b32 v1, 0x7f800000, v1, v6
	v_cmp_ne_u32_e32 vcc_lo, 0, v1
	s_and_b32 s9, vcc_lo, exec_lo
	s_delay_alu instid0(SALU_CYCLE_1)
	s_or_b32 s8, s8, s9
.LBB143_1773:
	s_or_b32 exec_lo, exec_lo, s12
.LBB143_1774:
	s_mov_b32 s9, -1
.LBB143_1775:
	s_branch .LBB143_1335
.LBB143_1776:
	v_cmp_lt_i16_e32 vcc_lo, 22, v4
	s_cbranch_vccz .LBB143_1786
; %bb.1777:
	v_cmp_gt_i16_e32 vcc_lo, 24, v4
	s_cbranch_vccnz .LBB143_1789
; %bb.1778:
	v_cmp_lt_i16_e32 vcc_lo, 24, v4
	s_cbranch_vccz .LBB143_1790
; %bb.1779:
	global_load_u8 v1, v[2:3], off
	s_mov_b32 s9, exec_lo
                                        ; implicit-def: $sgpr8
	s_waitcnt vmcnt(0)
	v_cmpx_lt_i16_e32 0x7f, v1
	s_xor_b32 s9, exec_lo, s9
	s_cbranch_execz .LBB143_1802
; %bb.1780:
	s_mov_b32 s2, -1
	s_mov_b32 s12, exec_lo
                                        ; implicit-def: $sgpr8
	v_cmpx_eq_u16_e32 0x80, v1
; %bb.1781:
	s_mov_b32 s8, -1
	s_xor_b32 s2, exec_lo, -1
; %bb.1782:
	s_or_b32 exec_lo, exec_lo, s12
	s_delay_alu instid0(SALU_CYCLE_1)
	s_and_b32 s2, s2, exec_lo
	s_and_not1_saveexec_b32 s9, s9
	s_cbranch_execnz .LBB143_1803
.LBB143_1783:
	s_or_b32 exec_lo, exec_lo, s9
	s_and_saveexec_b32 s9, s2
	s_cbranch_execz .LBB143_1785
.LBB143_1784:
	v_and_b32_e32 v1, 0xffff, v1
	s_and_not1_b32 s2, s8, exec_lo
	s_delay_alu instid0(VALU_DEP_1) | instskip(NEXT) | instid1(VALU_DEP_1)
	v_and_b32_e32 v6, 3, v1
	v_clz_i32_u32_e32 v7, v6
	s_delay_alu instid0(VALU_DEP_1) | instskip(NEXT) | instid1(VALU_DEP_1)
	v_min_u32_e32 v7, 32, v7
	v_subrev_nc_u32_e32 v8, 29, v7
	v_sub_nc_u32_e32 v7, 30, v7
	s_delay_alu instid0(VALU_DEP_2) | instskip(SKIP_1) | instid1(VALU_DEP_2)
	v_lshlrev_b32_e32 v8, v8, v1
	v_bfe_u32 v1, v1, 2, 5
	v_and_b32_e32 v8, 3, v8
	s_delay_alu instid0(VALU_DEP_2) | instskip(NEXT) | instid1(VALU_DEP_2)
	v_cmp_eq_u32_e32 vcc_lo, 0, v1
	v_dual_cndmask_b32 v1, v1, v7 :: v_dual_cndmask_b32 v6, v6, v8
	s_delay_alu instid0(VALU_DEP_1) | instskip(NEXT) | instid1(VALU_DEP_2)
	v_lshl_add_u32 v1, v1, 23, 0x37800000
	v_lshlrev_b32_e32 v6, 21, v6
	s_delay_alu instid0(VALU_DEP_1) | instskip(NEXT) | instid1(VALU_DEP_1)
	v_and_or_b32 v1, 0x7f800000, v1, v6
	v_cmp_ne_u32_e32 vcc_lo, 0, v1
	s_and_b32 s8, vcc_lo, exec_lo
	s_delay_alu instid0(SALU_CYCLE_1)
	s_or_b32 s8, s2, s8
.LBB143_1785:
	s_or_b32 exec_lo, exec_lo, s9
	s_mov_b32 s2, 0
	s_branch .LBB143_1791
.LBB143_1786:
	s_mov_b32 s2, -1
                                        ; implicit-def: $sgpr8
	s_branch .LBB143_1797
.LBB143_1787:
	s_and_not1_saveexec_b32 s12, s12
	s_cbranch_execz .LBB143_1771
.LBB143_1788:
	v_cmp_ne_u16_e32 vcc_lo, 0, v1
	s_and_not1_b32 s9, s9, exec_lo
	s_and_not1_b32 s8, s8, exec_lo
	s_and_b32 s13, vcc_lo, exec_lo
	s_delay_alu instid0(SALU_CYCLE_1)
	s_or_b32 s9, s9, s13
	s_or_b32 exec_lo, exec_lo, s12
	s_and_saveexec_b32 s12, s9
	s_cbranch_execnz .LBB143_1772
	s_branch .LBB143_1773
.LBB143_1789:
	s_mov_b32 s2, -1
                                        ; implicit-def: $sgpr8
	s_branch .LBB143_1794
.LBB143_1790:
	s_mov_b32 s2, -1
                                        ; implicit-def: $sgpr8
.LBB143_1791:
	s_delay_alu instid0(SALU_CYCLE_1)
	s_and_b32 vcc_lo, exec_lo, s2
	s_cbranch_vccz .LBB143_1793
; %bb.1792:
	global_load_u8 v1, v[2:3], off
	s_and_not1_b32 s8, s8, exec_lo
	s_waitcnt vmcnt(0)
	v_lshlrev_b32_e32 v1, 24, v1
	s_delay_alu instid0(VALU_DEP_1) | instskip(NEXT) | instid1(VALU_DEP_1)
	v_and_b32_e32 v1, 0x7f000000, v1
	v_clz_i32_u32_e32 v6, v1
	v_add_nc_u32_e32 v8, 0x1000000, v1
	v_cmp_ne_u32_e32 vcc_lo, 0, v1
	s_delay_alu instid0(VALU_DEP_3) | instskip(NEXT) | instid1(VALU_DEP_3)
	v_min_u32_e32 v6, 32, v6
	v_ashrrev_i32_e32 v8, 8, v8
	s_delay_alu instid0(VALU_DEP_2) | instskip(NEXT) | instid1(VALU_DEP_1)
	v_sub_nc_u32_e64 v6, v6, 4 clamp
	v_lshlrev_b32_e32 v7, v6, v1
	v_lshlrev_b32_e32 v6, 23, v6
	s_delay_alu instid0(VALU_DEP_2) | instskip(NEXT) | instid1(VALU_DEP_1)
	v_lshrrev_b32_e32 v7, 4, v7
	v_sub_nc_u32_e32 v6, v7, v6
	v_and_b32_e32 v7, 0x7f800000, v8
	s_delay_alu instid0(VALU_DEP_2) | instskip(NEXT) | instid1(VALU_DEP_1)
	v_add_nc_u32_e32 v6, 0x3c000000, v6
	v_and_or_b32 v6, 0x7ff00000, v6, v7
	s_delay_alu instid0(VALU_DEP_1) | instskip(NEXT) | instid1(VALU_DEP_1)
	v_cmp_ne_u32_e64 s2, 0, v6
	s_and_b32 s2, vcc_lo, s2
	s_delay_alu instid0(SALU_CYCLE_1) | instskip(NEXT) | instid1(SALU_CYCLE_1)
	s_and_b32 s2, s2, exec_lo
	s_or_b32 s8, s8, s2
.LBB143_1793:
	s_mov_b32 s2, 0
.LBB143_1794:
	s_delay_alu instid0(SALU_CYCLE_1)
	s_and_not1_b32 vcc_lo, exec_lo, s2
	s_cbranch_vccnz .LBB143_1796
; %bb.1795:
	global_load_u8 v1, v[2:3], off
	s_and_not1_b32 s2, s8, exec_lo
	s_waitcnt vmcnt(0)
	v_lshlrev_b32_e32 v6, 25, v1
	v_lshlrev_b32_e32 v1, 8, v1
	s_delay_alu instid0(VALU_DEP_2) | instskip(NEXT) | instid1(VALU_DEP_2)
	v_lshrrev_b32_e32 v7, 4, v6
	v_and_or_b32 v1, 0x7f00, v1, 0.5
	s_delay_alu instid0(VALU_DEP_2) | instskip(NEXT) | instid1(VALU_DEP_2)
	v_or_b32_e32 v7, 0x70000000, v7
	v_add_f32_e32 v1, -0.5, v1
	s_delay_alu instid0(VALU_DEP_2) | instskip(SKIP_1) | instid1(VALU_DEP_2)
	v_mul_f32_e32 v7, 0x7800000, v7
	v_cmp_gt_u32_e32 vcc_lo, 0x8000000, v6
	v_cndmask_b32_e32 v1, v7, v1, vcc_lo
	s_delay_alu instid0(VALU_DEP_1) | instskip(SKIP_1) | instid1(SALU_CYCLE_1)
	v_cmp_neq_f32_e32 vcc_lo, 0, v1
	s_and_b32 s8, vcc_lo, exec_lo
	s_or_b32 s8, s2, s8
.LBB143_1796:
	s_mov_b32 s2, 0
	s_mov_b32 s9, -1
.LBB143_1797:
	s_and_not1_b32 vcc_lo, exec_lo, s2
	s_mov_b32 s2, 0
	s_cbranch_vccnz .LBB143_1335
; %bb.1798:
	v_cmp_lt_i16_e32 vcc_lo, 14, v4
	s_cbranch_vccz .LBB143_1801
; %bb.1799:
	v_cmp_eq_u16_e32 vcc_lo, 15, v4
	s_cbranch_vccz .LBB143_1804
; %bb.1800:
	global_load_u16 v1, v[2:3], off
	s_mov_b32 s7, 0
	s_mov_b32 s9, -1
	s_waitcnt vmcnt(0)
	v_and_b32_e32 v1, 0x7fff, v1
	s_delay_alu instid0(VALU_DEP_1)
	v_cmp_ne_u16_e32 vcc_lo, 0, v1
	s_and_b32 s8, vcc_lo, exec_lo
	s_branch .LBB143_1806
.LBB143_1801:
	s_mov_b32 s2, -1
	s_branch .LBB143_1805
.LBB143_1802:
	s_and_not1_saveexec_b32 s9, s9
	s_cbranch_execz .LBB143_1783
.LBB143_1803:
	v_cmp_ne_u16_e32 vcc_lo, 0, v1
	s_and_not1_b32 s2, s2, exec_lo
	s_and_not1_b32 s8, s8, exec_lo
	s_and_b32 s12, vcc_lo, exec_lo
	s_delay_alu instid0(SALU_CYCLE_1)
	s_or_b32 s2, s2, s12
	s_or_b32 exec_lo, exec_lo, s9
	s_and_saveexec_b32 s9, s2
	s_cbranch_execnz .LBB143_1784
	s_branch .LBB143_1785
.LBB143_1804:
	s_mov_b32 s7, -1
.LBB143_1805:
                                        ; implicit-def: $sgpr8
.LBB143_1806:
	s_and_b32 vcc_lo, exec_lo, s2
	s_mov_b32 s2, 0
	s_cbranch_vccz .LBB143_1335
; %bb.1807:
	v_cmp_ne_u16_e32 vcc_lo, 11, v4
	s_and_not1_b32 s7, s7, exec_lo
	s_mov_b32 s2, -1
	s_and_not1_b32 s8, s8, exec_lo
	s_and_b32 s12, vcc_lo, exec_lo
	s_delay_alu instid0(SALU_CYCLE_1)
	s_or_b32 s7, s7, s12
	s_branch .LBB143_1335
.LBB143_1808:
	s_mov_b32 s11, -1
.LBB143_1809:
                                        ; implicit-def: $sgpr10
.LBB143_1810:
	s_and_b32 vcc_lo, exec_lo, s13
	s_cbranch_vccz .LBB143_1812
; %bb.1811:
	v_cmp_ne_u16_e64 s11, 44, v12
	s_mov_b32 s12, -1
	s_or_b32 s10, s10, exec_lo
.LBB143_1812:
	s_mov_b32 s13, 0
.LBB143_1813:
	s_delay_alu instid0(SALU_CYCLE_1)
	s_and_b32 vcc_lo, exec_lo, s13
	s_cbranch_vccz .LBB143_1817
; %bb.1814:
	v_cmp_eq_u16_e32 vcc_lo, 29, v12
	s_cbranch_vccz .LBB143_1816
; %bb.1815:
	global_load_b64 v[15:16], v[10:11], off
	s_mov_b32 s11, 0
	s_mov_b32 s12, -1
	s_mov_b32 s13, 0
	s_waitcnt vmcnt(0)
	v_cmp_ne_u64_e32 vcc_lo, 0, v[15:16]
	s_and_b32 s10, vcc_lo, exec_lo
	s_branch .LBB143_1818
.LBB143_1816:
	s_mov_b32 s11, -1
                                        ; implicit-def: $sgpr10
.LBB143_1817:
	s_mov_b32 s13, 0
.LBB143_1818:
	s_delay_alu instid0(SALU_CYCLE_1)
	s_and_b32 vcc_lo, exec_lo, s13
	s_cbranch_vccz .LBB143_1836
; %bb.1819:
	v_cmp_gt_i16_e32 vcc_lo, 27, v12
	s_cbranch_vccnz .LBB143_1822
; %bb.1820:
	v_cmp_lt_i16_e32 vcc_lo, 27, v12
	s_cbranch_vccz .LBB143_1823
; %bb.1821:
	global_load_b32 v15, v[10:11], off
	s_mov_b32 s12, 0
	s_waitcnt vmcnt(0)
	v_cmp_ne_u32_e32 vcc_lo, 0, v15
	s_and_b32 s10, vcc_lo, exec_lo
	s_branch .LBB143_1824
.LBB143_1822:
	s_mov_b32 s12, -1
                                        ; implicit-def: $sgpr10
	s_branch .LBB143_1827
.LBB143_1823:
	s_mov_b32 s12, -1
                                        ; implicit-def: $sgpr10
.LBB143_1824:
	s_delay_alu instid0(SALU_CYCLE_1)
	s_and_not1_b32 vcc_lo, exec_lo, s12
	s_cbranch_vccnz .LBB143_1826
; %bb.1825:
	global_load_u16 v15, v[10:11], off
	s_and_not1_b32 s10, s10, exec_lo
	s_waitcnt vmcnt(0)
	v_cmp_ne_u16_e32 vcc_lo, 0, v15
	s_and_b32 s12, vcc_lo, exec_lo
	s_delay_alu instid0(SALU_CYCLE_1)
	s_or_b32 s10, s10, s12
.LBB143_1826:
	s_mov_b32 s12, 0
.LBB143_1827:
	s_delay_alu instid0(SALU_CYCLE_1)
	s_and_not1_b32 vcc_lo, exec_lo, s12
	s_cbranch_vccnz .LBB143_1835
; %bb.1828:
	global_load_u8 v15, v[10:11], off
	s_mov_b32 s12, 0
	s_mov_b32 s13, exec_lo
                                        ; implicit-def: $sgpr10
	s_waitcnt vmcnt(0)
	v_cmpx_lt_i16_e32 0x7f, v15
	s_xor_b32 s13, exec_lo, s13
	s_cbranch_execz .LBB143_1848
; %bb.1829:
	s_mov_b32 s12, -1
	s_mov_b32 s14, exec_lo
                                        ; implicit-def: $sgpr10
	v_cmpx_eq_u16_e32 0x80, v15
; %bb.1830:
	s_mov_b32 s10, -1
	s_xor_b32 s12, exec_lo, -1
; %bb.1831:
	s_or_b32 exec_lo, exec_lo, s14
	s_delay_alu instid0(SALU_CYCLE_1)
	s_and_b32 s12, s12, exec_lo
	s_and_not1_saveexec_b32 s13, s13
	s_cbranch_execnz .LBB143_1849
.LBB143_1832:
	s_or_b32 exec_lo, exec_lo, s13
	s_and_saveexec_b32 s13, s12
	s_cbranch_execz .LBB143_1834
.LBB143_1833:
	v_and_b32_e32 v15, 0xffff, v15
	s_and_not1_b32 s10, s10, exec_lo
	s_delay_alu instid0(VALU_DEP_1) | instskip(NEXT) | instid1(VALU_DEP_1)
	v_and_b32_e32 v16, 7, v15
	v_clz_i32_u32_e32 v17, v16
	s_delay_alu instid0(VALU_DEP_1) | instskip(NEXT) | instid1(VALU_DEP_1)
	v_min_u32_e32 v17, 32, v17
	v_subrev_nc_u32_e32 v18, 28, v17
	v_sub_nc_u32_e32 v17, 29, v17
	s_delay_alu instid0(VALU_DEP_2) | instskip(SKIP_1) | instid1(VALU_DEP_2)
	v_lshlrev_b32_e32 v18, v18, v15
	v_bfe_u32 v15, v15, 3, 4
	v_and_b32_e32 v18, 7, v18
	s_delay_alu instid0(VALU_DEP_2) | instskip(NEXT) | instid1(VALU_DEP_2)
	v_cmp_eq_u32_e32 vcc_lo, 0, v15
	v_dual_cndmask_b32 v15, v15, v17 :: v_dual_cndmask_b32 v16, v16, v18
	s_delay_alu instid0(VALU_DEP_1) | instskip(NEXT) | instid1(VALU_DEP_2)
	v_lshl_add_u32 v15, v15, 23, 0x3b800000
	v_lshlrev_b32_e32 v16, 20, v16
	s_delay_alu instid0(VALU_DEP_1) | instskip(NEXT) | instid1(VALU_DEP_1)
	v_and_or_b32 v15, 0x7f800000, v15, v16
	v_cmp_ne_u32_e32 vcc_lo, 0, v15
	s_and_b32 s12, vcc_lo, exec_lo
	s_delay_alu instid0(SALU_CYCLE_1)
	s_or_b32 s10, s10, s12
.LBB143_1834:
	s_or_b32 exec_lo, exec_lo, s13
.LBB143_1835:
	s_mov_b32 s12, -1
.LBB143_1836:
	s_branch .LBB143_1869
.LBB143_1837:
	v_cmp_lt_i16_e32 vcc_lo, 22, v12
	s_cbranch_vccz .LBB143_1847
; %bb.1838:
	v_cmp_gt_i16_e32 vcc_lo, 24, v12
	s_cbranch_vccnz .LBB143_1850
; %bb.1839:
	v_cmp_lt_i16_e32 vcc_lo, 24, v12
	s_cbranch_vccz .LBB143_1851
; %bb.1840:
	global_load_u8 v15, v[10:11], off
	s_mov_b32 s12, exec_lo
                                        ; implicit-def: $sgpr10
	s_waitcnt vmcnt(0)
	v_cmpx_lt_i16_e32 0x7f, v15
	s_xor_b32 s12, exec_lo, s12
	s_cbranch_execz .LBB143_1863
; %bb.1841:
	s_mov_b32 s0, -1
	s_mov_b32 s13, exec_lo
                                        ; implicit-def: $sgpr10
	v_cmpx_eq_u16_e32 0x80, v15
; %bb.1842:
	s_mov_b32 s10, -1
	s_xor_b32 s0, exec_lo, -1
; %bb.1843:
	s_or_b32 exec_lo, exec_lo, s13
	s_delay_alu instid0(SALU_CYCLE_1)
	s_and_b32 s0, s0, exec_lo
	s_and_not1_saveexec_b32 s12, s12
	s_cbranch_execnz .LBB143_1864
.LBB143_1844:
	s_or_b32 exec_lo, exec_lo, s12
	s_and_saveexec_b32 s12, s0
	s_cbranch_execz .LBB143_1846
.LBB143_1845:
	v_and_b32_e32 v15, 0xffff, v15
	s_and_not1_b32 s0, s10, exec_lo
	s_delay_alu instid0(VALU_DEP_1) | instskip(NEXT) | instid1(VALU_DEP_1)
	v_and_b32_e32 v16, 3, v15
	v_clz_i32_u32_e32 v17, v16
	s_delay_alu instid0(VALU_DEP_1) | instskip(NEXT) | instid1(VALU_DEP_1)
	v_min_u32_e32 v17, 32, v17
	v_subrev_nc_u32_e32 v18, 29, v17
	v_sub_nc_u32_e32 v17, 30, v17
	s_delay_alu instid0(VALU_DEP_2) | instskip(SKIP_1) | instid1(VALU_DEP_2)
	v_lshlrev_b32_e32 v18, v18, v15
	v_bfe_u32 v15, v15, 2, 5
	v_and_b32_e32 v18, 3, v18
	s_delay_alu instid0(VALU_DEP_2) | instskip(NEXT) | instid1(VALU_DEP_2)
	v_cmp_eq_u32_e32 vcc_lo, 0, v15
	v_dual_cndmask_b32 v15, v15, v17 :: v_dual_cndmask_b32 v16, v16, v18
	s_delay_alu instid0(VALU_DEP_1) | instskip(NEXT) | instid1(VALU_DEP_2)
	v_lshl_add_u32 v15, v15, 23, 0x37800000
	v_lshlrev_b32_e32 v16, 21, v16
	s_delay_alu instid0(VALU_DEP_1) | instskip(NEXT) | instid1(VALU_DEP_1)
	v_and_or_b32 v15, 0x7f800000, v15, v16
	v_cmp_ne_u32_e32 vcc_lo, 0, v15
	s_and_b32 s10, vcc_lo, exec_lo
	s_delay_alu instid0(SALU_CYCLE_1)
	s_or_b32 s10, s0, s10
.LBB143_1846:
	s_or_b32 exec_lo, exec_lo, s12
	s_mov_b32 s0, 0
	s_branch .LBB143_1852
.LBB143_1847:
	s_mov_b32 s0, -1
                                        ; implicit-def: $sgpr10
	s_branch .LBB143_1858
.LBB143_1848:
	s_and_not1_saveexec_b32 s13, s13
	s_cbranch_execz .LBB143_1832
.LBB143_1849:
	v_cmp_ne_u16_e32 vcc_lo, 0, v15
	s_and_not1_b32 s12, s12, exec_lo
	s_and_not1_b32 s10, s10, exec_lo
	s_and_b32 s14, vcc_lo, exec_lo
	s_delay_alu instid0(SALU_CYCLE_1)
	s_or_b32 s12, s12, s14
	s_or_b32 exec_lo, exec_lo, s13
	s_and_saveexec_b32 s13, s12
	s_cbranch_execnz .LBB143_1833
	s_branch .LBB143_1834
.LBB143_1850:
	s_mov_b32 s0, -1
                                        ; implicit-def: $sgpr10
	s_branch .LBB143_1855
.LBB143_1851:
	s_mov_b32 s0, -1
                                        ; implicit-def: $sgpr10
.LBB143_1852:
	s_delay_alu instid0(SALU_CYCLE_1)
	s_and_b32 vcc_lo, exec_lo, s0
	s_cbranch_vccz .LBB143_1854
; %bb.1853:
	global_load_u8 v15, v[10:11], off
	s_and_not1_b32 s10, s10, exec_lo
	s_waitcnt vmcnt(0)
	v_lshlrev_b32_e32 v15, 24, v15
	s_delay_alu instid0(VALU_DEP_1) | instskip(NEXT) | instid1(VALU_DEP_1)
	v_and_b32_e32 v15, 0x7f000000, v15
	v_clz_i32_u32_e32 v16, v15
	v_add_nc_u32_e32 v18, 0x1000000, v15
	v_cmp_ne_u32_e32 vcc_lo, 0, v15
	s_delay_alu instid0(VALU_DEP_3) | instskip(NEXT) | instid1(VALU_DEP_3)
	v_min_u32_e32 v16, 32, v16
	v_ashrrev_i32_e32 v18, 8, v18
	s_delay_alu instid0(VALU_DEP_2) | instskip(NEXT) | instid1(VALU_DEP_1)
	v_sub_nc_u32_e64 v16, v16, 4 clamp
	v_lshlrev_b32_e32 v17, v16, v15
	v_lshlrev_b32_e32 v16, 23, v16
	s_delay_alu instid0(VALU_DEP_2) | instskip(NEXT) | instid1(VALU_DEP_1)
	v_lshrrev_b32_e32 v17, 4, v17
	v_sub_nc_u32_e32 v16, v17, v16
	v_and_b32_e32 v17, 0x7f800000, v18
	s_delay_alu instid0(VALU_DEP_2) | instskip(NEXT) | instid1(VALU_DEP_1)
	v_add_nc_u32_e32 v16, 0x3c000000, v16
	v_and_or_b32 v16, 0x7ff00000, v16, v17
	s_delay_alu instid0(VALU_DEP_1) | instskip(NEXT) | instid1(VALU_DEP_1)
	v_cmp_ne_u32_e64 s0, 0, v16
	s_and_b32 s0, vcc_lo, s0
	s_delay_alu instid0(SALU_CYCLE_1) | instskip(NEXT) | instid1(SALU_CYCLE_1)
	s_and_b32 s0, s0, exec_lo
	s_or_b32 s10, s10, s0
.LBB143_1854:
	s_mov_b32 s0, 0
.LBB143_1855:
	s_delay_alu instid0(SALU_CYCLE_1)
	s_and_not1_b32 vcc_lo, exec_lo, s0
	s_cbranch_vccnz .LBB143_1857
; %bb.1856:
	global_load_u8 v15, v[10:11], off
	s_and_not1_b32 s0, s10, exec_lo
	s_waitcnt vmcnt(0)
	v_lshlrev_b32_e32 v16, 25, v15
	v_lshlrev_b32_e32 v15, 8, v15
	s_delay_alu instid0(VALU_DEP_2) | instskip(NEXT) | instid1(VALU_DEP_2)
	v_lshrrev_b32_e32 v17, 4, v16
	v_and_or_b32 v15, 0x7f00, v15, 0.5
	s_delay_alu instid0(VALU_DEP_2) | instskip(NEXT) | instid1(VALU_DEP_2)
	v_or_b32_e32 v17, 0x70000000, v17
	v_add_f32_e32 v15, -0.5, v15
	s_delay_alu instid0(VALU_DEP_2) | instskip(SKIP_1) | instid1(VALU_DEP_2)
	v_mul_f32_e32 v17, 0x7800000, v17
	v_cmp_gt_u32_e32 vcc_lo, 0x8000000, v16
	v_cndmask_b32_e32 v15, v17, v15, vcc_lo
	s_delay_alu instid0(VALU_DEP_1) | instskip(SKIP_1) | instid1(SALU_CYCLE_1)
	v_cmp_neq_f32_e32 vcc_lo, 0, v15
	s_and_b32 s10, vcc_lo, exec_lo
	s_or_b32 s10, s0, s10
.LBB143_1857:
	s_mov_b32 s0, 0
	s_mov_b32 s12, -1
.LBB143_1858:
	s_and_not1_b32 vcc_lo, exec_lo, s0
	s_mov_b32 s0, 0
	s_cbranch_vccnz .LBB143_1869
; %bb.1859:
	v_cmp_lt_i16_e32 vcc_lo, 14, v12
	s_cbranch_vccz .LBB143_1862
; %bb.1860:
	v_cmp_eq_u16_e32 vcc_lo, 15, v12
	s_cbranch_vccz .LBB143_1865
; %bb.1861:
	global_load_u16 v15, v[10:11], off
	s_mov_b32 s11, 0
	s_mov_b32 s12, -1
	s_waitcnt vmcnt(0)
	v_and_b32_e32 v15, 0x7fff, v15
	s_delay_alu instid0(VALU_DEP_1)
	v_cmp_ne_u16_e32 vcc_lo, 0, v15
	s_and_b32 s10, vcc_lo, exec_lo
	s_branch .LBB143_1867
.LBB143_1862:
	s_mov_b32 s0, -1
	s_branch .LBB143_1866
.LBB143_1863:
	s_and_not1_saveexec_b32 s12, s12
	s_cbranch_execz .LBB143_1844
.LBB143_1864:
	v_cmp_ne_u16_e32 vcc_lo, 0, v15
	s_and_not1_b32 s0, s0, exec_lo
	s_and_not1_b32 s10, s10, exec_lo
	s_and_b32 s13, vcc_lo, exec_lo
	s_delay_alu instid0(SALU_CYCLE_1)
	s_or_b32 s0, s0, s13
	s_or_b32 exec_lo, exec_lo, s12
	s_and_saveexec_b32 s12, s0
	s_cbranch_execnz .LBB143_1845
	s_branch .LBB143_1846
.LBB143_1865:
	s_mov_b32 s11, -1
.LBB143_1866:
                                        ; implicit-def: $sgpr10
.LBB143_1867:
	s_and_b32 vcc_lo, exec_lo, s0
	s_mov_b32 s0, 0
	s_cbranch_vccz .LBB143_1869
; %bb.1868:
	v_cmp_ne_u16_e64 s11, 11, v12
	s_mov_b32 s0, -1
	s_and_not1_b32 s10, s10, exec_lo
.LBB143_1869:
	s_delay_alu instid0(VALU_DEP_1)
	s_and_b32 vcc_lo, exec_lo, s11
	s_cbranch_vccnz .LBB143_1893
; %bb.1870:
	s_and_not1_b32 vcc_lo, exec_lo, s0
	s_cbranch_vccnz .LBB143_1872
.LBB143_1871:
	global_load_u8 v15, v[10:11], off
	s_and_not1_b32 s0, s10, exec_lo
	s_mov_b32 s12, -1
	s_waitcnt vmcnt(0)
	v_cmp_ne_u16_e32 vcc_lo, 0, v15
	s_and_b32 s10, vcc_lo, exec_lo
	s_delay_alu instid0(SALU_CYCLE_1)
	s_or_b32 s10, s0, s10
.LBB143_1872:
.LBB143_1873:
	s_and_not1_b32 vcc_lo, exec_lo, s12
	s_cbranch_vccnz .LBB143_3064
.LBB143_1874:
	v_cmp_gt_i16_e32 vcc_lo, 11, v14
	v_add_co_u32 v9, s0, s6, v9
	s_delay_alu instid0(VALU_DEP_1)
	v_add_co_ci_u32_e64 v10, null, s7, 0, s0
	s_mov_b32 s12, 0
	s_cbranch_vccnz .LBB143_1881
; %bb.1875:
	v_cmp_lt_i16_e32 vcc_lo, 25, v14
	s_mov_b32 s11, 0
	s_cbranch_vccz .LBB143_1887
; %bb.1876:
	v_cmp_lt_i16_e32 vcc_lo, 28, v14
	s_cbranch_vccz .LBB143_1889
; %bb.1877:
	v_cmp_lt_i16_e32 vcc_lo, 43, v14
	;; [unrolled: 3-line block ×3, first 2 shown]
	s_cbranch_vccz .LBB143_1897
; %bb.1879:
	v_cmp_eq_u16_e32 vcc_lo, 46, v14
	s_mov_b32 s13, 0
	s_cbranch_vccz .LBB143_1940
; %bb.1880:
	global_load_b32 v11, v[9:10], off
	s_mov_b32 s0, 0
	s_mov_b32 s12, -1
	s_branch .LBB143_1942
.LBB143_1881:
                                        ; implicit-def: $vgpr11
	s_cbranch_execz .LBB143_2008
; %bb.1882:
	v_cmp_gt_i16_e32 vcc_lo, 5, v14
	s_cbranch_vccnz .LBB143_1888
; %bb.1883:
	v_cmp_gt_i16_e32 vcc_lo, 8, v14
	s_cbranch_vccnz .LBB143_1890
	;; [unrolled: 3-line block ×3, first 2 shown]
; %bb.1885:
	v_cmp_lt_i16_e32 vcc_lo, 9, v14
	s_cbranch_vccz .LBB143_1898
; %bb.1886:
	global_load_b64 v[15:16], v[9:10], off
	s_mov_b32 s0, 0
	s_waitcnt vmcnt(0)
	v_cvt_f32_f64_e32 v11, v[15:16]
	s_delay_alu instid0(VALU_DEP_1) | instskip(SKIP_1) | instid1(VALU_DEP_2)
	v_bfe_u32 v15, v11, 16, 1
	v_cmp_o_f32_e32 vcc_lo, v11, v11
	v_add3_u32 v15, v11, v15, 0x7fff
	s_delay_alu instid0(VALU_DEP_1) | instskip(NEXT) | instid1(VALU_DEP_1)
	v_lshrrev_b32_e32 v15, 16, v15
	v_cndmask_b32_e32 v11, 0x7fc0, v15, vcc_lo
	s_branch .LBB143_1899
.LBB143_1887:
	s_mov_b32 s13, -1
	s_mov_b32 s0, 0
                                        ; implicit-def: $vgpr11
	s_branch .LBB143_1971
.LBB143_1888:
	s_mov_b32 s0, -1
                                        ; implicit-def: $vgpr11
	s_branch .LBB143_1917
.LBB143_1889:
	s_mov_b32 s13, -1
	s_mov_b32 s0, 0
                                        ; implicit-def: $vgpr11
	s_branch .LBB143_1952
.LBB143_1890:
	s_mov_b32 s0, -1
                                        ; implicit-def: $vgpr11
	s_branch .LBB143_1905
.LBB143_1891:
	s_mov_b32 s13, -1
	s_mov_b32 s0, 0
                                        ; implicit-def: $vgpr11
	s_branch .LBB143_1947
.LBB143_1892:
	s_mov_b32 s0, -1
                                        ; implicit-def: $vgpr11
	s_branch .LBB143_1902
.LBB143_1893:
	s_cbranch_execnz .LBB143_1938
; %bb.1894:
	s_mov_b32 s12, 0
	s_and_not1_b32 s10, s10, exec_lo
	s_or_b32 s1, s1, exec_lo
	s_cbranch_execz .LBB143_1871
	s_branch .LBB143_1872
.LBB143_1895:
	s_or_saveexec_b32 s8, s8
                                        ; implicit-def: $sgpr9
	s_delay_alu instid0(SALU_CYCLE_1)
	s_xor_b32 exec_lo, exec_lo, s8
	s_cbranch_execz .LBB143_1432
.LBB143_1896:
	v_add_f32_e64 v5, 0x42800000, |v6|
	s_and_not1_b32 s7, s7, exec_lo
	s_mov_b32 s9, 0
	s_delay_alu instid0(VALU_DEP_1) | instskip(NEXT) | instid1(VALU_DEP_1)
	v_and_b32_e32 v5, 0xff, v5
	v_cmp_ne_u32_e32 vcc_lo, 0, v5
	s_and_b32 s10, vcc_lo, exec_lo
	s_delay_alu instid0(SALU_CYCLE_1)
	s_or_b32 s7, s7, s10
	s_or_b32 exec_lo, exec_lo, s8
	v_mov_b32_e32 v7, s9
	s_and_saveexec_b32 s8, s7
	s_cbranch_execnz .LBB143_1433
	s_branch .LBB143_1434
.LBB143_1897:
	s_mov_b32 s13, -1
	s_mov_b32 s0, 0
	s_branch .LBB143_1941
.LBB143_1898:
	s_mov_b32 s0, -1
                                        ; implicit-def: $vgpr11
.LBB143_1899:
	s_delay_alu instid0(SALU_CYCLE_1)
	s_and_not1_b32 vcc_lo, exec_lo, s0
	s_cbranch_vccnz .LBB143_1901
; %bb.1900:
	global_load_b32 v11, v[9:10], off
	s_waitcnt vmcnt(0)
	v_bfe_u32 v15, v11, 16, 1
	v_cmp_o_f32_e32 vcc_lo, v11, v11
	s_delay_alu instid0(VALU_DEP_2) | instskip(NEXT) | instid1(VALU_DEP_1)
	v_add3_u32 v15, v11, v15, 0x7fff
	v_lshrrev_b32_e32 v15, 16, v15
	s_delay_alu instid0(VALU_DEP_1)
	v_cndmask_b32_e32 v11, 0x7fc0, v15, vcc_lo
.LBB143_1901:
	s_mov_b32 s0, 0
.LBB143_1902:
	s_delay_alu instid0(SALU_CYCLE_1)
	s_and_not1_b32 vcc_lo, exec_lo, s0
	s_cbranch_vccnz .LBB143_1904
; %bb.1903:
	global_load_b32 v11, v[9:10], off
	s_waitcnt vmcnt(0)
	v_cvt_f32_f16_e32 v15, v11
	v_cmp_o_f16_e32 vcc_lo, v11, v11
	s_delay_alu instid0(VALU_DEP_2) | instskip(NEXT) | instid1(VALU_DEP_1)
	v_bfe_u32 v16, v15, 16, 1
	v_add3_u32 v15, v15, v16, 0x7fff
	s_delay_alu instid0(VALU_DEP_1) | instskip(NEXT) | instid1(VALU_DEP_1)
	v_lshrrev_b32_e32 v15, 16, v15
	v_cndmask_b32_e32 v11, 0x7fc0, v15, vcc_lo
.LBB143_1904:
	s_mov_b32 s0, 0
.LBB143_1905:
	s_delay_alu instid0(SALU_CYCLE_1)
	s_and_not1_b32 vcc_lo, exec_lo, s0
	s_cbranch_vccnz .LBB143_1916
; %bb.1906:
	v_cmp_gt_i16_e32 vcc_lo, 6, v14
	s_cbranch_vccnz .LBB143_1909
; %bb.1907:
	v_cmp_lt_i16_e32 vcc_lo, 6, v14
	s_cbranch_vccz .LBB143_1910
; %bb.1908:
	global_load_b64 v[15:16], v[9:10], off
	s_mov_b32 s0, 0
	s_waitcnt vmcnt(0)
	v_cvt_f32_f64_e32 v11, v[15:16]
	s_delay_alu instid0(VALU_DEP_1) | instskip(SKIP_1) | instid1(VALU_DEP_2)
	v_bfe_u32 v15, v11, 16, 1
	v_cmp_o_f32_e32 vcc_lo, v11, v11
	v_add3_u32 v15, v11, v15, 0x7fff
	s_delay_alu instid0(VALU_DEP_1) | instskip(NEXT) | instid1(VALU_DEP_1)
	v_lshrrev_b32_e32 v15, 16, v15
	v_cndmask_b32_e32 v11, 0x7fc0, v15, vcc_lo
	s_branch .LBB143_1911
.LBB143_1909:
	s_mov_b32 s0, -1
                                        ; implicit-def: $vgpr11
	s_branch .LBB143_1914
.LBB143_1910:
	s_mov_b32 s0, -1
                                        ; implicit-def: $vgpr11
.LBB143_1911:
	s_delay_alu instid0(SALU_CYCLE_1)
	s_and_not1_b32 vcc_lo, exec_lo, s0
	s_cbranch_vccnz .LBB143_1913
; %bb.1912:
	global_load_b32 v11, v[9:10], off
	s_waitcnt vmcnt(0)
	v_bfe_u32 v15, v11, 16, 1
	v_cmp_o_f32_e32 vcc_lo, v11, v11
	s_delay_alu instid0(VALU_DEP_2) | instskip(NEXT) | instid1(VALU_DEP_1)
	v_add3_u32 v15, v11, v15, 0x7fff
	v_lshrrev_b32_e32 v15, 16, v15
	s_delay_alu instid0(VALU_DEP_1)
	v_cndmask_b32_e32 v11, 0x7fc0, v15, vcc_lo
.LBB143_1913:
	s_mov_b32 s0, 0
.LBB143_1914:
	s_delay_alu instid0(SALU_CYCLE_1)
	s_and_not1_b32 vcc_lo, exec_lo, s0
	s_cbranch_vccnz .LBB143_1916
; %bb.1915:
	global_load_u16 v11, v[9:10], off
	s_waitcnt vmcnt(0)
	v_cvt_f32_f16_e32 v15, v11
	v_cmp_o_f16_e32 vcc_lo, v11, v11
	s_delay_alu instid0(VALU_DEP_2) | instskip(NEXT) | instid1(VALU_DEP_1)
	v_bfe_u32 v16, v15, 16, 1
	v_add3_u32 v15, v15, v16, 0x7fff
	s_delay_alu instid0(VALU_DEP_1) | instskip(NEXT) | instid1(VALU_DEP_1)
	v_lshrrev_b32_e32 v15, 16, v15
	v_cndmask_b32_e32 v11, 0x7fc0, v15, vcc_lo
.LBB143_1916:
	s_mov_b32 s0, 0
.LBB143_1917:
	s_delay_alu instid0(SALU_CYCLE_1)
	s_and_not1_b32 vcc_lo, exec_lo, s0
	s_cbranch_vccnz .LBB143_1937
; %bb.1918:
	v_cmp_gt_i16_e32 vcc_lo, 2, v14
	s_cbranch_vccnz .LBB143_1922
; %bb.1919:
	v_cmp_gt_i16_e32 vcc_lo, 3, v14
	s_cbranch_vccnz .LBB143_1923
; %bb.1920:
	v_cmp_lt_i16_e32 vcc_lo, 3, v14
	s_cbranch_vccz .LBB143_1924
; %bb.1921:
	global_load_b64 v[15:16], v[9:10], off
	s_mov_b32 s0, 0
	s_waitcnt vmcnt(0)
	v_xor_b32_e32 v11, v15, v16
	v_cls_i32_e32 v17, v16
	s_delay_alu instid0(VALU_DEP_2) | instskip(NEXT) | instid1(VALU_DEP_2)
	v_ashrrev_i32_e32 v11, 31, v11
	v_add_nc_u32_e32 v17, -1, v17
	s_delay_alu instid0(VALU_DEP_2) | instskip(NEXT) | instid1(VALU_DEP_1)
	v_add_nc_u32_e32 v11, 32, v11
	v_min_u32_e32 v11, v17, v11
	s_delay_alu instid0(VALU_DEP_1) | instskip(SKIP_1) | instid1(VALU_DEP_2)
	v_lshlrev_b64 v[15:16], v11, v[15:16]
	v_sub_nc_u32_e32 v11, 32, v11
	v_min_u32_e32 v15, 1, v15
	s_delay_alu instid0(VALU_DEP_1) | instskip(NEXT) | instid1(VALU_DEP_1)
	v_or_b32_e32 v15, v16, v15
	v_cvt_f32_i32_e32 v15, v15
	s_delay_alu instid0(VALU_DEP_1) | instskip(NEXT) | instid1(VALU_DEP_1)
	v_ldexp_f32 v11, v15, v11
	v_bfe_u32 v15, v11, 16, 1
	s_delay_alu instid0(VALU_DEP_1) | instskip(NEXT) | instid1(VALU_DEP_1)
	v_add3_u32 v11, v11, v15, 0x7fff
	v_lshrrev_b32_e32 v11, 16, v11
	s_branch .LBB143_1925
.LBB143_1922:
	s_mov_b32 s0, -1
                                        ; implicit-def: $vgpr11
	s_branch .LBB143_1931
.LBB143_1923:
	s_mov_b32 s0, -1
                                        ; implicit-def: $vgpr11
	s_branch .LBB143_1928
.LBB143_1924:
	s_mov_b32 s0, -1
                                        ; implicit-def: $vgpr11
.LBB143_1925:
	s_delay_alu instid0(SALU_CYCLE_1)
	s_and_not1_b32 vcc_lo, exec_lo, s0
	s_cbranch_vccnz .LBB143_1927
; %bb.1926:
	global_load_b32 v11, v[9:10], off
	s_waitcnt vmcnt(0)
	v_cvt_f32_i32_e32 v11, v11
	s_delay_alu instid0(VALU_DEP_1) | instskip(NEXT) | instid1(VALU_DEP_1)
	v_bfe_u32 v15, v11, 16, 1
	v_add3_u32 v11, v11, v15, 0x7fff
	s_delay_alu instid0(VALU_DEP_1)
	v_lshrrev_b32_e32 v11, 16, v11
.LBB143_1927:
	s_mov_b32 s0, 0
.LBB143_1928:
	s_delay_alu instid0(SALU_CYCLE_1)
	s_and_not1_b32 vcc_lo, exec_lo, s0
	s_cbranch_vccnz .LBB143_1930
; %bb.1929:
	global_load_i16 v11, v[9:10], off
	s_waitcnt vmcnt(0)
	v_cvt_f32_i32_e32 v11, v11
	s_delay_alu instid0(VALU_DEP_1) | instskip(NEXT) | instid1(VALU_DEP_1)
	v_bfe_u32 v15, v11, 16, 1
	v_add3_u32 v11, v11, v15, 0x7fff
	s_delay_alu instid0(VALU_DEP_1)
	v_lshrrev_b32_e32 v11, 16, v11
.LBB143_1930:
	s_mov_b32 s0, 0
.LBB143_1931:
	s_delay_alu instid0(SALU_CYCLE_1)
	s_and_not1_b32 vcc_lo, exec_lo, s0
	s_cbranch_vccnz .LBB143_1937
; %bb.1932:
	v_cmp_lt_i16_e32 vcc_lo, 0, v14
	s_mov_b32 s0, 0
	s_cbranch_vccz .LBB143_1934
; %bb.1933:
	global_load_i8 v11, v[9:10], off
	s_waitcnt vmcnt(0)
	v_cvt_f32_i32_e32 v11, v11
	s_delay_alu instid0(VALU_DEP_1) | instskip(NEXT) | instid1(VALU_DEP_1)
	v_bfe_u32 v15, v11, 16, 1
	v_add3_u32 v11, v11, v15, 0x7fff
	s_delay_alu instid0(VALU_DEP_1)
	v_lshrrev_b32_e32 v11, 16, v11
	s_branch .LBB143_1935
.LBB143_1934:
	s_mov_b32 s0, -1
                                        ; implicit-def: $vgpr11
.LBB143_1935:
	s_delay_alu instid0(SALU_CYCLE_1)
	s_and_not1_b32 vcc_lo, exec_lo, s0
	s_cbranch_vccnz .LBB143_1937
; %bb.1936:
	global_load_u8 v9, v[9:10], off
	s_waitcnt vmcnt(0)
	v_cvt_f32_ubyte0_e32 v9, v9
	s_delay_alu instid0(VALU_DEP_1) | instskip(NEXT) | instid1(VALU_DEP_1)
	v_bfe_u32 v10, v9, 16, 1
	v_add3_u32 v9, v9, v10, 0x7fff
	s_delay_alu instid0(VALU_DEP_1)
	v_lshrrev_b32_e32 v11, 16, v9
.LBB143_1937:
	s_branch .LBB143_2009
.LBB143_1938:
	s_trap 2
	s_sendmsg_rtn_b32 s0, sendmsg(MSG_RTN_GET_DOORBELL)
	s_mov_b32 ttmp2, m0
	s_waitcnt lgkmcnt(0)
	s_and_b32 s0, s0, 0x3ff
	s_delay_alu instid0(SALU_CYCLE_1) | instskip(NEXT) | instid1(SALU_CYCLE_1)
	s_bitset1_b32 s0, 10
	s_mov_b32 m0, s0
	s_sendmsg sendmsg(MSG_INTERRUPT)
	s_mov_b32 m0, ttmp2
.LBB143_1939:                           ; =>This Inner Loop Header: Depth=1
	s_sethalt 5
	s_branch .LBB143_1939
.LBB143_1940:
	s_mov_b32 s0, -1
.LBB143_1941:
                                        ; implicit-def: $vgpr11
.LBB143_1942:
	s_and_b32 vcc_lo, exec_lo, s13
	s_cbranch_vccz .LBB143_1946
; %bb.1943:
	v_cmp_eq_u16_e32 vcc_lo, 44, v14
	s_cbranch_vccz .LBB143_1945
; %bb.1944:
	global_load_u8 v11, v[9:10], off
	s_mov_b32 s0, 0
	s_mov_b32 s12, -1
	s_waitcnt vmcnt(0)
	v_lshlrev_b32_e32 v15, 23, v11
	v_cmp_ne_u32_e32 vcc_lo, 0xff, v11
	s_delay_alu instid0(VALU_DEP_2) | instskip(SKIP_1) | instid1(VALU_DEP_2)
	v_cndmask_b32_e32 v15, 0x7f800001, v15, vcc_lo
	v_cmp_ne_u32_e32 vcc_lo, 0, v11
	v_cndmask_b32_e32 v11, 0x400000, v15, vcc_lo
	s_delay_alu instid0(VALU_DEP_1) | instskip(SKIP_1) | instid1(VALU_DEP_2)
	v_add_nc_u32_e32 v15, 0x7fff, v11
	v_cmp_o_f32_e32 vcc_lo, v11, v11
	v_lshrrev_b32_e32 v15, 16, v15
	s_delay_alu instid0(VALU_DEP_1)
	v_cndmask_b32_e32 v11, 0x7fc0, v15, vcc_lo
	s_branch .LBB143_1946
.LBB143_1945:
	s_mov_b32 s0, -1
                                        ; implicit-def: $vgpr11
.LBB143_1946:
	s_mov_b32 s13, 0
.LBB143_1947:
	s_delay_alu instid0(SALU_CYCLE_1)
	s_and_b32 vcc_lo, exec_lo, s13
	s_cbranch_vccz .LBB143_1951
; %bb.1948:
	v_cmp_eq_u16_e32 vcc_lo, 29, v14
	s_cbranch_vccz .LBB143_1950
; %bb.1949:
	global_load_b64 v[15:16], v[9:10], off
	s_mov_b32 s0, 0
	s_mov_b32 s12, -1
	s_mov_b32 s13, 0
	s_waitcnt vmcnt(0)
	v_clz_i32_u32_e32 v11, v16
	s_delay_alu instid0(VALU_DEP_1) | instskip(NEXT) | instid1(VALU_DEP_1)
	v_min_u32_e32 v11, 32, v11
	v_lshlrev_b64 v[15:16], v11, v[15:16]
	v_sub_nc_u32_e32 v11, 32, v11
	s_delay_alu instid0(VALU_DEP_2) | instskip(NEXT) | instid1(VALU_DEP_1)
	v_min_u32_e32 v15, 1, v15
	v_or_b32_e32 v15, v16, v15
	s_delay_alu instid0(VALU_DEP_1) | instskip(NEXT) | instid1(VALU_DEP_1)
	v_cvt_f32_u32_e32 v15, v15
	v_ldexp_f32 v11, v15, v11
	s_delay_alu instid0(VALU_DEP_1) | instskip(NEXT) | instid1(VALU_DEP_1)
	v_bfe_u32 v15, v11, 16, 1
	v_add3_u32 v11, v11, v15, 0x7fff
	s_delay_alu instid0(VALU_DEP_1)
	v_lshrrev_b32_e32 v11, 16, v11
	s_branch .LBB143_1952
.LBB143_1950:
	s_mov_b32 s0, -1
                                        ; implicit-def: $vgpr11
.LBB143_1951:
	s_mov_b32 s13, 0
.LBB143_1952:
	s_delay_alu instid0(SALU_CYCLE_1)
	s_and_b32 vcc_lo, exec_lo, s13
	s_cbranch_vccz .LBB143_1970
; %bb.1953:
	v_cmp_gt_i16_e32 vcc_lo, 27, v14
	s_cbranch_vccnz .LBB143_1956
; %bb.1954:
	v_cmp_lt_i16_e32 vcc_lo, 27, v14
	s_cbranch_vccz .LBB143_1957
; %bb.1955:
	global_load_b32 v11, v[9:10], off
	s_mov_b32 s12, 0
	s_waitcnt vmcnt(0)
	v_cvt_f32_u32_e32 v11, v11
	s_delay_alu instid0(VALU_DEP_1) | instskip(NEXT) | instid1(VALU_DEP_1)
	v_bfe_u32 v15, v11, 16, 1
	v_add3_u32 v11, v11, v15, 0x7fff
	s_delay_alu instid0(VALU_DEP_1)
	v_lshrrev_b32_e32 v11, 16, v11
	s_branch .LBB143_1958
.LBB143_1956:
	s_mov_b32 s12, -1
                                        ; implicit-def: $vgpr11
	s_branch .LBB143_1961
.LBB143_1957:
	s_mov_b32 s12, -1
                                        ; implicit-def: $vgpr11
.LBB143_1958:
	s_delay_alu instid0(SALU_CYCLE_1)
	s_and_not1_b32 vcc_lo, exec_lo, s12
	s_cbranch_vccnz .LBB143_1960
; %bb.1959:
	global_load_u16 v11, v[9:10], off
	s_waitcnt vmcnt(0)
	v_cvt_f32_u32_e32 v11, v11
	s_delay_alu instid0(VALU_DEP_1) | instskip(NEXT) | instid1(VALU_DEP_1)
	v_bfe_u32 v15, v11, 16, 1
	v_add3_u32 v11, v11, v15, 0x7fff
	s_delay_alu instid0(VALU_DEP_1)
	v_lshrrev_b32_e32 v11, 16, v11
.LBB143_1960:
	s_mov_b32 s12, 0
.LBB143_1961:
	s_delay_alu instid0(SALU_CYCLE_1)
	s_and_not1_b32 vcc_lo, exec_lo, s12
	s_cbranch_vccnz .LBB143_1969
; %bb.1962:
	global_load_u8 v11, v[9:10], off
	s_mov_b32 s12, 0
	s_mov_b32 s14, exec_lo
                                        ; implicit-def: $sgpr13
	s_waitcnt vmcnt(0)
	v_cmpx_lt_i16_e32 0x7f, v11
	s_xor_b32 s14, exec_lo, s14
	s_cbranch_execz .LBB143_1983
; %bb.1963:
	s_mov_b32 s12, -1
	s_mov_b32 s15, exec_lo
                                        ; implicit-def: $sgpr13
	v_cmpx_eq_u16_e32 0x80, v11
; %bb.1964:
	s_mov_b32 s13, 0x7f800001
	s_xor_b32 s12, exec_lo, -1
; %bb.1965:
	s_or_b32 exec_lo, exec_lo, s15
	s_delay_alu instid0(SALU_CYCLE_1)
	s_and_b32 s12, s12, exec_lo
	s_or_saveexec_b32 s14, s14
	v_mov_b32_e32 v15, s13
	s_xor_b32 exec_lo, exec_lo, s14
	s_cbranch_execnz .LBB143_1984
.LBB143_1966:
	s_or_b32 exec_lo, exec_lo, s14
	s_and_saveexec_b32 s13, s12
	s_cbranch_execz .LBB143_1968
.LBB143_1967:
	v_and_b32_e32 v15, 0xffff, v11
	v_lshlrev_b32_e32 v11, 24, v11
	s_delay_alu instid0(VALU_DEP_2) | instskip(NEXT) | instid1(VALU_DEP_2)
	v_and_b32_e32 v16, 7, v15
	v_and_b32_e32 v11, 0x80000000, v11
	s_delay_alu instid0(VALU_DEP_2) | instskip(NEXT) | instid1(VALU_DEP_1)
	v_clz_i32_u32_e32 v17, v16
	v_min_u32_e32 v17, 32, v17
	s_delay_alu instid0(VALU_DEP_1) | instskip(SKIP_1) | instid1(VALU_DEP_2)
	v_subrev_nc_u32_e32 v18, 28, v17
	v_sub_nc_u32_e32 v17, 29, v17
	v_lshlrev_b32_e32 v18, v18, v15
	v_bfe_u32 v15, v15, 3, 4
	s_delay_alu instid0(VALU_DEP_2) | instskip(NEXT) | instid1(VALU_DEP_2)
	v_and_b32_e32 v18, 7, v18
	v_cmp_eq_u32_e32 vcc_lo, 0, v15
	s_delay_alu instid0(VALU_DEP_2) | instskip(NEXT) | instid1(VALU_DEP_1)
	v_dual_cndmask_b32 v15, v15, v17 :: v_dual_cndmask_b32 v16, v16, v18
	v_lshl_add_u32 v15, v15, 23, 0x3b800000
	s_delay_alu instid0(VALU_DEP_2) | instskip(NEXT) | instid1(VALU_DEP_1)
	v_lshlrev_b32_e32 v16, 20, v16
	v_or3_b32 v15, v11, v15, v16
.LBB143_1968:
	s_or_b32 exec_lo, exec_lo, s13
	s_delay_alu instid0(VALU_DEP_1) | instskip(SKIP_1) | instid1(VALU_DEP_2)
	v_bfe_u32 v11, v15, 16, 1
	v_cmp_o_f32_e32 vcc_lo, v15, v15
	v_add3_u32 v11, v15, v11, 0x7fff
	s_delay_alu instid0(VALU_DEP_1) | instskip(NEXT) | instid1(VALU_DEP_1)
	v_lshrrev_b32_e32 v11, 16, v11
	v_cndmask_b32_e32 v11, 0x7fc0, v11, vcc_lo
.LBB143_1969:
	s_mov_b32 s12, -1
.LBB143_1970:
	s_mov_b32 s13, 0
.LBB143_1971:
	s_delay_alu instid0(SALU_CYCLE_1)
	s_and_b32 vcc_lo, exec_lo, s13
	s_cbranch_vccz .LBB143_2004
; %bb.1972:
	v_cmp_lt_i16_e32 vcc_lo, 22, v14
	s_cbranch_vccz .LBB143_1982
; %bb.1973:
	v_cmp_gt_i16_e32 vcc_lo, 24, v14
	s_cbranch_vccnz .LBB143_1985
; %bb.1974:
	v_cmp_lt_i16_e32 vcc_lo, 24, v14
	s_cbranch_vccz .LBB143_1986
; %bb.1975:
	global_load_u8 v11, v[9:10], off
	s_mov_b32 s13, exec_lo
                                        ; implicit-def: $sgpr12
	s_waitcnt vmcnt(0)
	v_cmpx_lt_i16_e32 0x7f, v11
	s_xor_b32 s13, exec_lo, s13
	s_cbranch_execz .LBB143_1998
; %bb.1976:
	s_mov_b32 s11, -1
	s_mov_b32 s14, exec_lo
                                        ; implicit-def: $sgpr12
	v_cmpx_eq_u16_e32 0x80, v11
; %bb.1977:
	s_mov_b32 s12, 0x7f800001
	s_xor_b32 s11, exec_lo, -1
; %bb.1978:
	s_or_b32 exec_lo, exec_lo, s14
	s_delay_alu instid0(SALU_CYCLE_1)
	s_and_b32 s11, s11, exec_lo
	s_or_saveexec_b32 s13, s13
	v_mov_b32_e32 v15, s12
	s_xor_b32 exec_lo, exec_lo, s13
	s_cbranch_execnz .LBB143_1999
.LBB143_1979:
	s_or_b32 exec_lo, exec_lo, s13
	s_and_saveexec_b32 s12, s11
	s_cbranch_execz .LBB143_1981
.LBB143_1980:
	v_and_b32_e32 v15, 0xffff, v11
	v_lshlrev_b32_e32 v11, 24, v11
	s_delay_alu instid0(VALU_DEP_2) | instskip(NEXT) | instid1(VALU_DEP_2)
	v_and_b32_e32 v16, 3, v15
	v_and_b32_e32 v11, 0x80000000, v11
	s_delay_alu instid0(VALU_DEP_2) | instskip(NEXT) | instid1(VALU_DEP_1)
	v_clz_i32_u32_e32 v17, v16
	v_min_u32_e32 v17, 32, v17
	s_delay_alu instid0(VALU_DEP_1) | instskip(SKIP_1) | instid1(VALU_DEP_2)
	v_subrev_nc_u32_e32 v18, 29, v17
	v_sub_nc_u32_e32 v17, 30, v17
	v_lshlrev_b32_e32 v18, v18, v15
	v_bfe_u32 v15, v15, 2, 5
	s_delay_alu instid0(VALU_DEP_2) | instskip(NEXT) | instid1(VALU_DEP_2)
	v_and_b32_e32 v18, 3, v18
	v_cmp_eq_u32_e32 vcc_lo, 0, v15
	s_delay_alu instid0(VALU_DEP_2) | instskip(NEXT) | instid1(VALU_DEP_1)
	v_dual_cndmask_b32 v15, v15, v17 :: v_dual_cndmask_b32 v16, v16, v18
	v_lshl_add_u32 v15, v15, 23, 0x37800000
	s_delay_alu instid0(VALU_DEP_2) | instskip(NEXT) | instid1(VALU_DEP_1)
	v_lshlrev_b32_e32 v16, 21, v16
	v_or3_b32 v15, v11, v15, v16
.LBB143_1981:
	s_or_b32 exec_lo, exec_lo, s12
	s_delay_alu instid0(VALU_DEP_1) | instskip(SKIP_2) | instid1(VALU_DEP_2)
	v_bfe_u32 v11, v15, 16, 1
	v_cmp_o_f32_e32 vcc_lo, v15, v15
	s_mov_b32 s11, 0
	v_add3_u32 v11, v15, v11, 0x7fff
	s_delay_alu instid0(VALU_DEP_1) | instskip(NEXT) | instid1(VALU_DEP_1)
	v_lshrrev_b32_e32 v11, 16, v11
	v_cndmask_b32_e32 v11, 0x7fc0, v11, vcc_lo
	s_branch .LBB143_1987
.LBB143_1982:
	s_mov_b32 s11, -1
                                        ; implicit-def: $vgpr11
	s_branch .LBB143_1993
.LBB143_1983:
	s_or_saveexec_b32 s14, s14
	v_mov_b32_e32 v15, s13
	s_xor_b32 exec_lo, exec_lo, s14
	s_cbranch_execz .LBB143_1966
.LBB143_1984:
	v_cmp_ne_u16_e32 vcc_lo, 0, v11
	v_mov_b32_e32 v15, 0
	s_and_not1_b32 s12, s12, exec_lo
	s_and_b32 s13, vcc_lo, exec_lo
	s_delay_alu instid0(SALU_CYCLE_1)
	s_or_b32 s12, s12, s13
	s_or_b32 exec_lo, exec_lo, s14
	s_and_saveexec_b32 s13, s12
	s_cbranch_execnz .LBB143_1967
	s_branch .LBB143_1968
.LBB143_1985:
	s_mov_b32 s11, -1
                                        ; implicit-def: $vgpr11
	s_branch .LBB143_1990
.LBB143_1986:
	s_mov_b32 s11, -1
                                        ; implicit-def: $vgpr11
.LBB143_1987:
	s_delay_alu instid0(SALU_CYCLE_1)
	s_and_b32 vcc_lo, exec_lo, s11
	s_cbranch_vccz .LBB143_1989
; %bb.1988:
	global_load_u8 v11, v[9:10], off
	s_waitcnt vmcnt(0)
	v_lshlrev_b32_e32 v11, 24, v11
	s_delay_alu instid0(VALU_DEP_1) | instskip(NEXT) | instid1(VALU_DEP_1)
	v_and_b32_e32 v15, 0x7f000000, v11
	v_clz_i32_u32_e32 v16, v15
	v_cmp_ne_u32_e32 vcc_lo, 0, v15
	v_add_nc_u32_e32 v18, 0x1000000, v15
	s_delay_alu instid0(VALU_DEP_3) | instskip(NEXT) | instid1(VALU_DEP_1)
	v_min_u32_e32 v16, 32, v16
	v_sub_nc_u32_e64 v16, v16, 4 clamp
	s_delay_alu instid0(VALU_DEP_1) | instskip(SKIP_1) | instid1(VALU_DEP_2)
	v_lshlrev_b32_e32 v17, v16, v15
	v_lshlrev_b32_e32 v16, 23, v16
	v_lshrrev_b32_e32 v17, 4, v17
	s_delay_alu instid0(VALU_DEP_1) | instskip(SKIP_1) | instid1(VALU_DEP_2)
	v_sub_nc_u32_e32 v16, v17, v16
	v_ashrrev_i32_e32 v17, 8, v18
	v_add_nc_u32_e32 v16, 0x3c000000, v16
	s_delay_alu instid0(VALU_DEP_1) | instskip(NEXT) | instid1(VALU_DEP_1)
	v_and_or_b32 v16, 0x7f800000, v17, v16
	v_cndmask_b32_e32 v15, 0, v16, vcc_lo
	s_delay_alu instid0(VALU_DEP_1) | instskip(SKIP_1) | instid1(VALU_DEP_2)
	v_and_or_b32 v11, 0x80000000, v11, v15
	v_bfe_u32 v15, v15, 16, 1
	v_cmp_o_f32_e32 vcc_lo, v11, v11
	s_delay_alu instid0(VALU_DEP_2) | instskip(NEXT) | instid1(VALU_DEP_1)
	v_add3_u32 v15, v11, v15, 0x7fff
	v_lshrrev_b32_e32 v15, 16, v15
	s_delay_alu instid0(VALU_DEP_1)
	v_cndmask_b32_e32 v11, 0x7fc0, v15, vcc_lo
.LBB143_1989:
	s_mov_b32 s11, 0
.LBB143_1990:
	s_delay_alu instid0(SALU_CYCLE_1)
	s_and_not1_b32 vcc_lo, exec_lo, s11
	s_cbranch_vccnz .LBB143_1992
; %bb.1991:
	global_load_u8 v11, v[9:10], off
	s_waitcnt vmcnt(0)
	v_lshlrev_b32_e32 v15, 25, v11
	v_lshlrev_b16 v11, 8, v11
	s_delay_alu instid0(VALU_DEP_2) | instskip(NEXT) | instid1(VALU_DEP_2)
	v_lshrrev_b32_e32 v16, 4, v15
	v_and_or_b32 v17, 0x7f00, v11, 0.5
	v_bfe_i32 v11, v11, 0, 16
	s_delay_alu instid0(VALU_DEP_3) | instskip(NEXT) | instid1(VALU_DEP_1)
	v_or_b32_e32 v16, 0x70000000, v16
	v_dual_add_f32 v17, -0.5, v17 :: v_dual_mul_f32 v16, 0x7800000, v16
	v_cmp_gt_u32_e32 vcc_lo, 0x8000000, v15
	s_delay_alu instid0(VALU_DEP_2) | instskip(NEXT) | instid1(VALU_DEP_1)
	v_cndmask_b32_e32 v15, v16, v17, vcc_lo
	v_and_or_b32 v11, 0x80000000, v11, v15
	v_bfe_u32 v15, v15, 16, 1
	s_delay_alu instid0(VALU_DEP_2) | instskip(NEXT) | instid1(VALU_DEP_2)
	v_cmp_o_f32_e32 vcc_lo, v11, v11
	v_add3_u32 v15, v11, v15, 0x7fff
	s_delay_alu instid0(VALU_DEP_1) | instskip(NEXT) | instid1(VALU_DEP_1)
	v_lshrrev_b32_e32 v15, 16, v15
	v_cndmask_b32_e32 v11, 0x7fc0, v15, vcc_lo
.LBB143_1992:
	s_mov_b32 s11, 0
	s_mov_b32 s12, -1
.LBB143_1993:
	s_and_not1_b32 vcc_lo, exec_lo, s11
	s_mov_b32 s11, 0
	s_cbranch_vccnz .LBB143_2004
; %bb.1994:
	v_cmp_lt_i16_e32 vcc_lo, 14, v14
	s_cbranch_vccz .LBB143_1997
; %bb.1995:
	v_cmp_eq_u16_e32 vcc_lo, 15, v14
	s_cbranch_vccz .LBB143_2000
; %bb.1996:
	global_load_u16 v11, v[9:10], off
	s_mov_b32 s0, 0
	s_mov_b32 s12, -1
	s_branch .LBB143_2002
.LBB143_1997:
	s_mov_b32 s11, -1
	s_branch .LBB143_2001
.LBB143_1998:
	s_or_saveexec_b32 s13, s13
	v_mov_b32_e32 v15, s12
	s_xor_b32 exec_lo, exec_lo, s13
	s_cbranch_execz .LBB143_1979
.LBB143_1999:
	v_cmp_ne_u16_e32 vcc_lo, 0, v11
	v_mov_b32_e32 v15, 0
	s_and_not1_b32 s11, s11, exec_lo
	s_and_b32 s12, vcc_lo, exec_lo
	s_delay_alu instid0(SALU_CYCLE_1)
	s_or_b32 s11, s11, s12
	s_or_b32 exec_lo, exec_lo, s13
	s_and_saveexec_b32 s12, s11
	s_cbranch_execnz .LBB143_1980
	s_branch .LBB143_1981
.LBB143_2000:
	s_mov_b32 s0, -1
.LBB143_2001:
                                        ; implicit-def: $vgpr11
.LBB143_2002:
	s_and_b32 vcc_lo, exec_lo, s11
	s_mov_b32 s11, 0
	s_cbranch_vccz .LBB143_2004
; %bb.2003:
	v_cmp_ne_u16_e64 s0, 11, v14
	s_mov_b32 s11, -1
                                        ; implicit-def: $vgpr11
.LBB143_2004:
	s_delay_alu instid0(VALU_DEP_1)
	s_and_b32 vcc_lo, exec_lo, s0
	s_cbranch_vccnz .LBB143_2020
; %bb.2005:
	s_and_not1_b32 vcc_lo, exec_lo, s11
	s_cbranch_vccnz .LBB143_2007
.LBB143_2006:
	global_load_u8 v11, v[9:10], off
	s_mov_b32 s12, -1
	s_waitcnt vmcnt(0)
	v_cmp_ne_u16_e32 vcc_lo, 0, v11
	v_cndmask_b32_e64 v11, 0, 1.0, vcc_lo
	s_delay_alu instid0(VALU_DEP_1)
	v_lshrrev_b32_e32 v11, 16, v11
.LBB143_2007:
.LBB143_2008:
	s_and_not1_b32 vcc_lo, exec_lo, s12
	s_cbranch_vccnz .LBB143_3064
.LBB143_2009:
	v_cmp_gt_i16_e32 vcc_lo, 11, v12
	v_add_co_u32 v8, s0, s2, v8
	s_delay_alu instid0(VALU_DEP_1)
	v_add_co_ci_u32_e64 v9, null, s3, 0, s0
	s_mov_b32 s13, 0
	s_cbranch_vccnz .LBB143_2016
; %bb.2010:
	v_cmp_lt_i16_e32 vcc_lo, 25, v12
	s_mov_b32 s0, 0
	s_cbranch_vccz .LBB143_2017
; %bb.2011:
	v_cmp_lt_i16_e32 vcc_lo, 28, v12
	s_cbranch_vccz .LBB143_2018
; %bb.2012:
	v_cmp_lt_i16_e32 vcc_lo, 43, v12
	;; [unrolled: 3-line block ×3, first 2 shown]
	s_cbranch_vccz .LBB143_2022
; %bb.2014:
	v_cmp_eq_u16_e32 vcc_lo, 46, v12
	s_mov_b32 s14, 0
	s_cbranch_vccz .LBB143_2025
; %bb.2015:
	global_load_b32 v10, v[8:9], off
	s_mov_b32 s12, 0
	s_mov_b32 s13, -1
	s_waitcnt vmcnt(0)
	v_and_b32_e32 v10, 0x7fff7fff, v10
	s_delay_alu instid0(VALU_DEP_1)
	v_cmp_ne_u32_e32 vcc_lo, 0, v10
	s_and_b32 s11, vcc_lo, exec_lo
	s_branch .LBB143_2027
.LBB143_2016:
	s_mov_b32 s0, -1
                                        ; implicit-def: $sgpr11
	s_branch .LBB143_2091
.LBB143_2017:
	s_mov_b32 s14, -1
	s_mov_b32 s12, 0
                                        ; implicit-def: $sgpr11
	s_branch .LBB143_2054
.LBB143_2018:
	s_mov_b32 s14, -1
	s_mov_b32 s12, 0
                                        ; implicit-def: $sgpr11
	s_branch .LBB143_2035
.LBB143_2019:
	s_mov_b32 s14, -1
	s_mov_b32 s12, 0
                                        ; implicit-def: $sgpr11
	s_branch .LBB143_2030
.LBB143_2020:
	s_cbranch_execnz .LBB143_2023
; %bb.2021:
	s_or_b32 s1, s1, exec_lo
                                        ; implicit-def: $vgpr11
	s_cbranch_execz .LBB143_2006
	s_branch .LBB143_2007
.LBB143_2022:
	s_mov_b32 s14, -1
	s_mov_b32 s12, 0
	s_branch .LBB143_2026
.LBB143_2023:
	s_trap 2
	s_sendmsg_rtn_b32 s0, sendmsg(MSG_RTN_GET_DOORBELL)
	s_mov_b32 ttmp2, m0
	s_waitcnt lgkmcnt(0)
	s_and_b32 s0, s0, 0x3ff
	s_delay_alu instid0(SALU_CYCLE_1) | instskip(NEXT) | instid1(SALU_CYCLE_1)
	s_bitset1_b32 s0, 10
	s_mov_b32 m0, s0
	s_sendmsg sendmsg(MSG_INTERRUPT)
	s_mov_b32 m0, ttmp2
.LBB143_2024:                           ; =>This Inner Loop Header: Depth=1
	s_sethalt 5
	s_branch .LBB143_2024
.LBB143_2025:
	s_mov_b32 s12, -1
.LBB143_2026:
                                        ; implicit-def: $sgpr11
.LBB143_2027:
	s_and_b32 vcc_lo, exec_lo, s14
	s_cbranch_vccz .LBB143_2029
; %bb.2028:
	v_cmp_ne_u16_e64 s12, 44, v12
	s_mov_b32 s13, -1
	s_or_b32 s11, s11, exec_lo
.LBB143_2029:
	s_mov_b32 s14, 0
.LBB143_2030:
	s_delay_alu instid0(SALU_CYCLE_1)
	s_and_b32 vcc_lo, exec_lo, s14
	s_cbranch_vccz .LBB143_2034
; %bb.2031:
	v_cmp_eq_u16_e32 vcc_lo, 29, v12
	s_cbranch_vccz .LBB143_2033
; %bb.2032:
	global_load_b64 v[15:16], v[8:9], off
	s_mov_b32 s12, 0
	s_mov_b32 s13, -1
	s_mov_b32 s14, 0
	s_waitcnt vmcnt(0)
	v_cmp_ne_u64_e32 vcc_lo, 0, v[15:16]
	s_and_b32 s11, vcc_lo, exec_lo
	s_branch .LBB143_2035
.LBB143_2033:
	s_mov_b32 s12, -1
                                        ; implicit-def: $sgpr11
.LBB143_2034:
	s_mov_b32 s14, 0
.LBB143_2035:
	s_delay_alu instid0(SALU_CYCLE_1)
	s_and_b32 vcc_lo, exec_lo, s14
	s_cbranch_vccz .LBB143_2053
; %bb.2036:
	v_cmp_gt_i16_e32 vcc_lo, 27, v12
	s_cbranch_vccnz .LBB143_2039
; %bb.2037:
	v_cmp_lt_i16_e32 vcc_lo, 27, v12
	s_cbranch_vccz .LBB143_2040
; %bb.2038:
	global_load_b32 v10, v[8:9], off
	s_mov_b32 s13, 0
	s_waitcnt vmcnt(0)
	v_cmp_ne_u32_e32 vcc_lo, 0, v10
	s_and_b32 s11, vcc_lo, exec_lo
	s_branch .LBB143_2041
.LBB143_2039:
	s_mov_b32 s13, -1
                                        ; implicit-def: $sgpr11
	s_branch .LBB143_2044
.LBB143_2040:
	s_mov_b32 s13, -1
                                        ; implicit-def: $sgpr11
.LBB143_2041:
	s_delay_alu instid0(SALU_CYCLE_1)
	s_and_not1_b32 vcc_lo, exec_lo, s13
	s_cbranch_vccnz .LBB143_2043
; %bb.2042:
	global_load_u16 v10, v[8:9], off
	s_and_not1_b32 s11, s11, exec_lo
	s_waitcnt vmcnt(0)
	v_cmp_ne_u16_e32 vcc_lo, 0, v10
	s_and_b32 s13, vcc_lo, exec_lo
	s_delay_alu instid0(SALU_CYCLE_1)
	s_or_b32 s11, s11, s13
.LBB143_2043:
	s_mov_b32 s13, 0
.LBB143_2044:
	s_delay_alu instid0(SALU_CYCLE_1)
	s_and_not1_b32 vcc_lo, exec_lo, s13
	s_cbranch_vccnz .LBB143_2052
; %bb.2045:
	global_load_u8 v10, v[8:9], off
	s_mov_b32 s13, 0
	s_mov_b32 s14, exec_lo
                                        ; implicit-def: $sgpr11
	s_waitcnt vmcnt(0)
	v_cmpx_lt_i16_e32 0x7f, v10
	s_xor_b32 s14, exec_lo, s14
	s_cbranch_execz .LBB143_2066
; %bb.2046:
	s_mov_b32 s13, -1
	s_mov_b32 s15, exec_lo
                                        ; implicit-def: $sgpr11
	v_cmpx_eq_u16_e32 0x80, v10
; %bb.2047:
	s_mov_b32 s11, -1
	s_xor_b32 s13, exec_lo, -1
; %bb.2048:
	s_or_b32 exec_lo, exec_lo, s15
	s_delay_alu instid0(SALU_CYCLE_1)
	s_and_b32 s13, s13, exec_lo
	s_and_not1_saveexec_b32 s14, s14
	s_cbranch_execnz .LBB143_2067
.LBB143_2049:
	s_or_b32 exec_lo, exec_lo, s14
	s_and_saveexec_b32 s14, s13
	s_cbranch_execz .LBB143_2051
.LBB143_2050:
	v_and_b32_e32 v10, 0xffff, v10
	s_and_not1_b32 s11, s11, exec_lo
	s_delay_alu instid0(VALU_DEP_1) | instskip(NEXT) | instid1(VALU_DEP_1)
	v_and_b32_e32 v15, 7, v10
	v_clz_i32_u32_e32 v16, v15
	s_delay_alu instid0(VALU_DEP_1) | instskip(NEXT) | instid1(VALU_DEP_1)
	v_min_u32_e32 v16, 32, v16
	v_subrev_nc_u32_e32 v17, 28, v16
	v_sub_nc_u32_e32 v16, 29, v16
	s_delay_alu instid0(VALU_DEP_2) | instskip(SKIP_1) | instid1(VALU_DEP_2)
	v_lshlrev_b32_e32 v17, v17, v10
	v_bfe_u32 v10, v10, 3, 4
	v_and_b32_e32 v17, 7, v17
	s_delay_alu instid0(VALU_DEP_2) | instskip(NEXT) | instid1(VALU_DEP_2)
	v_cmp_eq_u32_e32 vcc_lo, 0, v10
	v_dual_cndmask_b32 v10, v10, v16 :: v_dual_cndmask_b32 v15, v15, v17
	s_delay_alu instid0(VALU_DEP_1) | instskip(NEXT) | instid1(VALU_DEP_2)
	v_lshl_add_u32 v10, v10, 23, 0x3b800000
	v_lshlrev_b32_e32 v15, 20, v15
	s_delay_alu instid0(VALU_DEP_1) | instskip(NEXT) | instid1(VALU_DEP_1)
	v_and_or_b32 v10, 0x7f800000, v10, v15
	v_cmp_ne_u32_e32 vcc_lo, 0, v10
	s_and_b32 s13, vcc_lo, exec_lo
	s_delay_alu instid0(SALU_CYCLE_1)
	s_or_b32 s11, s11, s13
.LBB143_2051:
	s_or_b32 exec_lo, exec_lo, s14
.LBB143_2052:
	s_mov_b32 s13, -1
.LBB143_2053:
	s_mov_b32 s14, 0
.LBB143_2054:
	s_delay_alu instid0(SALU_CYCLE_1)
	s_and_b32 vcc_lo, exec_lo, s14
	s_cbranch_vccz .LBB143_2087
; %bb.2055:
	v_cmp_lt_i16_e32 vcc_lo, 22, v12
	s_cbranch_vccz .LBB143_2065
; %bb.2056:
	v_cmp_gt_i16_e32 vcc_lo, 24, v12
	s_cbranch_vccnz .LBB143_2068
; %bb.2057:
	v_cmp_lt_i16_e32 vcc_lo, 24, v12
	s_cbranch_vccz .LBB143_2069
; %bb.2058:
	global_load_u8 v10, v[8:9], off
	s_mov_b32 s13, exec_lo
                                        ; implicit-def: $sgpr11
	s_waitcnt vmcnt(0)
	v_cmpx_lt_i16_e32 0x7f, v10
	s_xor_b32 s13, exec_lo, s13
	s_cbranch_execz .LBB143_2081
; %bb.2059:
	s_mov_b32 s0, -1
	s_mov_b32 s14, exec_lo
                                        ; implicit-def: $sgpr11
	v_cmpx_eq_u16_e32 0x80, v10
; %bb.2060:
	s_mov_b32 s11, -1
	s_xor_b32 s0, exec_lo, -1
; %bb.2061:
	s_or_b32 exec_lo, exec_lo, s14
	s_delay_alu instid0(SALU_CYCLE_1)
	s_and_b32 s0, s0, exec_lo
	s_and_not1_saveexec_b32 s13, s13
	s_cbranch_execnz .LBB143_2082
.LBB143_2062:
	s_or_b32 exec_lo, exec_lo, s13
	s_and_saveexec_b32 s13, s0
	s_cbranch_execz .LBB143_2064
.LBB143_2063:
	v_and_b32_e32 v10, 0xffff, v10
	s_and_not1_b32 s0, s11, exec_lo
	s_delay_alu instid0(VALU_DEP_1) | instskip(NEXT) | instid1(VALU_DEP_1)
	v_and_b32_e32 v15, 3, v10
	v_clz_i32_u32_e32 v16, v15
	s_delay_alu instid0(VALU_DEP_1) | instskip(NEXT) | instid1(VALU_DEP_1)
	v_min_u32_e32 v16, 32, v16
	v_subrev_nc_u32_e32 v17, 29, v16
	v_sub_nc_u32_e32 v16, 30, v16
	s_delay_alu instid0(VALU_DEP_2) | instskip(SKIP_1) | instid1(VALU_DEP_2)
	v_lshlrev_b32_e32 v17, v17, v10
	v_bfe_u32 v10, v10, 2, 5
	v_and_b32_e32 v17, 3, v17
	s_delay_alu instid0(VALU_DEP_2) | instskip(NEXT) | instid1(VALU_DEP_2)
	v_cmp_eq_u32_e32 vcc_lo, 0, v10
	v_dual_cndmask_b32 v10, v10, v16 :: v_dual_cndmask_b32 v15, v15, v17
	s_delay_alu instid0(VALU_DEP_1) | instskip(NEXT) | instid1(VALU_DEP_2)
	v_lshl_add_u32 v10, v10, 23, 0x37800000
	v_lshlrev_b32_e32 v15, 21, v15
	s_delay_alu instid0(VALU_DEP_1) | instskip(NEXT) | instid1(VALU_DEP_1)
	v_and_or_b32 v10, 0x7f800000, v10, v15
	v_cmp_ne_u32_e32 vcc_lo, 0, v10
	s_and_b32 s11, vcc_lo, exec_lo
	s_delay_alu instid0(SALU_CYCLE_1)
	s_or_b32 s11, s0, s11
.LBB143_2064:
	s_or_b32 exec_lo, exec_lo, s13
	s_mov_b32 s0, 0
	s_branch .LBB143_2070
.LBB143_2065:
	s_mov_b32 s0, -1
                                        ; implicit-def: $sgpr11
	s_branch .LBB143_2076
.LBB143_2066:
	s_and_not1_saveexec_b32 s14, s14
	s_cbranch_execz .LBB143_2049
.LBB143_2067:
	v_cmp_ne_u16_e32 vcc_lo, 0, v10
	s_and_not1_b32 s13, s13, exec_lo
	s_and_not1_b32 s11, s11, exec_lo
	s_and_b32 s15, vcc_lo, exec_lo
	s_delay_alu instid0(SALU_CYCLE_1)
	s_or_b32 s13, s13, s15
	s_or_b32 exec_lo, exec_lo, s14
	s_and_saveexec_b32 s14, s13
	s_cbranch_execnz .LBB143_2050
	s_branch .LBB143_2051
.LBB143_2068:
	s_mov_b32 s0, -1
                                        ; implicit-def: $sgpr11
	s_branch .LBB143_2073
.LBB143_2069:
	s_mov_b32 s0, -1
                                        ; implicit-def: $sgpr11
.LBB143_2070:
	s_delay_alu instid0(SALU_CYCLE_1)
	s_and_b32 vcc_lo, exec_lo, s0
	s_cbranch_vccz .LBB143_2072
; %bb.2071:
	global_load_u8 v10, v[8:9], off
	s_and_not1_b32 s11, s11, exec_lo
	s_waitcnt vmcnt(0)
	v_lshlrev_b32_e32 v10, 24, v10
	s_delay_alu instid0(VALU_DEP_1) | instskip(NEXT) | instid1(VALU_DEP_1)
	v_and_b32_e32 v10, 0x7f000000, v10
	v_clz_i32_u32_e32 v15, v10
	v_add_nc_u32_e32 v17, 0x1000000, v10
	v_cmp_ne_u32_e32 vcc_lo, 0, v10
	s_delay_alu instid0(VALU_DEP_3) | instskip(NEXT) | instid1(VALU_DEP_3)
	v_min_u32_e32 v15, 32, v15
	v_ashrrev_i32_e32 v17, 8, v17
	s_delay_alu instid0(VALU_DEP_2) | instskip(NEXT) | instid1(VALU_DEP_1)
	v_sub_nc_u32_e64 v15, v15, 4 clamp
	v_lshlrev_b32_e32 v16, v15, v10
	v_lshlrev_b32_e32 v15, 23, v15
	s_delay_alu instid0(VALU_DEP_2) | instskip(NEXT) | instid1(VALU_DEP_1)
	v_lshrrev_b32_e32 v16, 4, v16
	v_sub_nc_u32_e32 v15, v16, v15
	v_and_b32_e32 v16, 0x7f800000, v17
	s_delay_alu instid0(VALU_DEP_2) | instskip(NEXT) | instid1(VALU_DEP_1)
	v_add_nc_u32_e32 v15, 0x3c000000, v15
	v_and_or_b32 v15, 0x7ff00000, v15, v16
	s_delay_alu instid0(VALU_DEP_1) | instskip(NEXT) | instid1(VALU_DEP_1)
	v_cmp_ne_u32_e64 s0, 0, v15
	s_and_b32 s0, vcc_lo, s0
	s_delay_alu instid0(SALU_CYCLE_1) | instskip(NEXT) | instid1(SALU_CYCLE_1)
	s_and_b32 s0, s0, exec_lo
	s_or_b32 s11, s11, s0
.LBB143_2072:
	s_mov_b32 s0, 0
.LBB143_2073:
	s_delay_alu instid0(SALU_CYCLE_1)
	s_and_not1_b32 vcc_lo, exec_lo, s0
	s_cbranch_vccnz .LBB143_2075
; %bb.2074:
	global_load_u8 v10, v[8:9], off
	s_and_not1_b32 s0, s11, exec_lo
	s_waitcnt vmcnt(0)
	v_lshlrev_b32_e32 v15, 25, v10
	v_lshlrev_b32_e32 v10, 8, v10
	s_delay_alu instid0(VALU_DEP_2) | instskip(NEXT) | instid1(VALU_DEP_2)
	v_lshrrev_b32_e32 v16, 4, v15
	v_and_or_b32 v10, 0x7f00, v10, 0.5
	s_delay_alu instid0(VALU_DEP_2) | instskip(NEXT) | instid1(VALU_DEP_2)
	v_or_b32_e32 v16, 0x70000000, v16
	v_add_f32_e32 v10, -0.5, v10
	s_delay_alu instid0(VALU_DEP_2) | instskip(SKIP_1) | instid1(VALU_DEP_2)
	v_mul_f32_e32 v16, 0x7800000, v16
	v_cmp_gt_u32_e32 vcc_lo, 0x8000000, v15
	v_cndmask_b32_e32 v10, v16, v10, vcc_lo
	s_delay_alu instid0(VALU_DEP_1) | instskip(SKIP_1) | instid1(SALU_CYCLE_1)
	v_cmp_neq_f32_e32 vcc_lo, 0, v10
	s_and_b32 s11, vcc_lo, exec_lo
	s_or_b32 s11, s0, s11
.LBB143_2075:
	s_mov_b32 s0, 0
	s_mov_b32 s13, -1
.LBB143_2076:
	s_and_not1_b32 vcc_lo, exec_lo, s0
	s_mov_b32 s0, 0
	s_cbranch_vccnz .LBB143_2087
; %bb.2077:
	v_cmp_lt_i16_e32 vcc_lo, 14, v12
	s_cbranch_vccz .LBB143_2080
; %bb.2078:
	v_cmp_eq_u16_e32 vcc_lo, 15, v12
	s_cbranch_vccz .LBB143_2083
; %bb.2079:
	global_load_u16 v10, v[8:9], off
	s_mov_b32 s12, 0
	s_mov_b32 s13, -1
	s_waitcnt vmcnt(0)
	v_and_b32_e32 v10, 0x7fff, v10
	s_delay_alu instid0(VALU_DEP_1)
	v_cmp_ne_u16_e32 vcc_lo, 0, v10
	s_and_b32 s11, vcc_lo, exec_lo
	s_branch .LBB143_2085
.LBB143_2080:
	s_mov_b32 s0, -1
	s_branch .LBB143_2084
.LBB143_2081:
	s_and_not1_saveexec_b32 s13, s13
	s_cbranch_execz .LBB143_2062
.LBB143_2082:
	v_cmp_ne_u16_e32 vcc_lo, 0, v10
	s_and_not1_b32 s0, s0, exec_lo
	s_and_not1_b32 s11, s11, exec_lo
	s_and_b32 s14, vcc_lo, exec_lo
	s_delay_alu instid0(SALU_CYCLE_1)
	s_or_b32 s0, s0, s14
	s_or_b32 exec_lo, exec_lo, s13
	s_and_saveexec_b32 s13, s0
	s_cbranch_execnz .LBB143_2063
	s_branch .LBB143_2064
.LBB143_2083:
	s_mov_b32 s12, -1
.LBB143_2084:
                                        ; implicit-def: $sgpr11
.LBB143_2085:
	s_and_b32 vcc_lo, exec_lo, s0
	s_mov_b32 s0, 0
	s_cbranch_vccz .LBB143_2087
; %bb.2086:
	v_cmp_ne_u16_e64 s12, 11, v12
	s_mov_b32 s0, -1
	s_and_not1_b32 s11, s11, exec_lo
.LBB143_2087:
	s_delay_alu instid0(VALU_DEP_1)
	s_and_b32 vcc_lo, exec_lo, s12
	s_cbranch_vccnz .LBB143_2152
; %bb.2088:
	s_and_not1_b32 vcc_lo, exec_lo, s0
	s_cbranch_vccnz .LBB143_2090
.LBB143_2089:
	global_load_u8 v10, v[8:9], off
	s_and_not1_b32 s0, s11, exec_lo
	s_mov_b32 s13, -1
	s_waitcnt vmcnt(0)
	v_cmp_ne_u16_e32 vcc_lo, 0, v10
	s_and_b32 s11, vcc_lo, exec_lo
	s_delay_alu instid0(SALU_CYCLE_1)
	s_or_b32 s11, s0, s11
.LBB143_2090:
	s_mov_b32 s0, 0
.LBB143_2091:
	s_delay_alu instid0(SALU_CYCLE_1)
	s_and_b32 vcc_lo, exec_lo, s0
	s_cbranch_vccz .LBB143_2140
; %bb.2092:
	v_cmp_gt_i16_e32 vcc_lo, 5, v12
	s_cbranch_vccnz .LBB143_2097
; %bb.2093:
	v_cmp_gt_i16_e32 vcc_lo, 8, v12
	s_cbranch_vccnz .LBB143_2098
	;; [unrolled: 3-line block ×3, first 2 shown]
; %bb.2095:
	v_cmp_lt_i16_e32 vcc_lo, 9, v12
	s_cbranch_vccz .LBB143_2100
; %bb.2096:
	global_load_b128 v[15:18], v[8:9], off
	s_waitcnt vmcnt(0)
	v_cmp_neq_f64_e32 vcc_lo, 0, v[15:16]
	v_cmp_neq_f64_e64 s0, 0, v[17:18]
	s_delay_alu instid0(VALU_DEP_1)
	s_or_b32 s11, vcc_lo, s0
	s_mov_b32 s0, 0
	s_and_b32 s11, s11, exec_lo
	s_branch .LBB143_2101
.LBB143_2097:
	s_mov_b32 s0, -1
                                        ; implicit-def: $sgpr11
	s_branch .LBB143_2119
.LBB143_2098:
	s_mov_b32 s0, -1
                                        ; implicit-def: $sgpr11
	s_branch .LBB143_2107
.LBB143_2099:
	s_mov_b32 s0, -1
                                        ; implicit-def: $sgpr11
	s_branch .LBB143_2104
.LBB143_2100:
	s_mov_b32 s0, -1
                                        ; implicit-def: $sgpr11
.LBB143_2101:
	s_delay_alu instid0(SALU_CYCLE_1)
	s_and_not1_b32 vcc_lo, exec_lo, s0
	s_cbranch_vccnz .LBB143_2103
; %bb.2102:
	global_load_b64 v[15:16], v[8:9], off
	s_and_not1_b32 s0, s11, exec_lo
	s_waitcnt vmcnt(0)
	v_or_b32_e32 v10, v15, v16
	s_delay_alu instid0(VALU_DEP_1) | instskip(NEXT) | instid1(VALU_DEP_1)
	v_and_b32_e32 v10, 0x7fffffff, v10
	v_cmp_ne_u32_e32 vcc_lo, 0, v10
	s_and_b32 s11, vcc_lo, exec_lo
	s_delay_alu instid0(SALU_CYCLE_1)
	s_or_b32 s11, s0, s11
.LBB143_2103:
	s_mov_b32 s0, 0
.LBB143_2104:
	s_delay_alu instid0(SALU_CYCLE_1)
	s_and_not1_b32 vcc_lo, exec_lo, s0
	s_cbranch_vccnz .LBB143_2106
; %bb.2105:
	global_load_b32 v10, v[8:9], off
	s_and_not1_b32 s0, s11, exec_lo
	s_waitcnt vmcnt(0)
	v_and_b32_e32 v10, 0x7fff7fff, v10
	s_delay_alu instid0(VALU_DEP_1) | instskip(SKIP_1) | instid1(SALU_CYCLE_1)
	v_cmp_ne_u32_e32 vcc_lo, 0, v10
	s_and_b32 s11, vcc_lo, exec_lo
	s_or_b32 s11, s0, s11
.LBB143_2106:
	s_mov_b32 s0, 0
.LBB143_2107:
	s_delay_alu instid0(SALU_CYCLE_1)
	s_and_not1_b32 vcc_lo, exec_lo, s0
	s_cbranch_vccnz .LBB143_2118
; %bb.2108:
	v_cmp_gt_i16_e32 vcc_lo, 6, v12
	s_cbranch_vccnz .LBB143_2111
; %bb.2109:
	v_cmp_lt_i16_e32 vcc_lo, 6, v12
	s_cbranch_vccz .LBB143_2112
; %bb.2110:
	global_load_b64 v[15:16], v[8:9], off
	s_mov_b32 s0, 0
	s_waitcnt vmcnt(0)
	v_cmp_neq_f64_e32 vcc_lo, 0, v[15:16]
	s_and_b32 s11, vcc_lo, exec_lo
	s_branch .LBB143_2113
.LBB143_2111:
	s_mov_b32 s0, -1
                                        ; implicit-def: $sgpr11
	s_branch .LBB143_2116
.LBB143_2112:
	s_mov_b32 s0, -1
                                        ; implicit-def: $sgpr11
.LBB143_2113:
	s_delay_alu instid0(SALU_CYCLE_1)
	s_and_not1_b32 vcc_lo, exec_lo, s0
	s_cbranch_vccnz .LBB143_2115
; %bb.2114:
	global_load_b32 v10, v[8:9], off
	s_and_not1_b32 s0, s11, exec_lo
	s_waitcnt vmcnt(0)
	v_cmp_neq_f32_e32 vcc_lo, 0, v10
	s_and_b32 s11, vcc_lo, exec_lo
	s_delay_alu instid0(SALU_CYCLE_1)
	s_or_b32 s11, s0, s11
.LBB143_2115:
	s_mov_b32 s0, 0
.LBB143_2116:
	s_delay_alu instid0(SALU_CYCLE_1)
	s_and_not1_b32 vcc_lo, exec_lo, s0
	s_cbranch_vccnz .LBB143_2118
; %bb.2117:
	global_load_u16 v10, v[8:9], off
	s_and_not1_b32 s0, s11, exec_lo
	s_waitcnt vmcnt(0)
	v_and_b32_e32 v10, 0x7fff, v10
	s_delay_alu instid0(VALU_DEP_1) | instskip(SKIP_1) | instid1(SALU_CYCLE_1)
	v_cmp_ne_u16_e32 vcc_lo, 0, v10
	s_and_b32 s11, vcc_lo, exec_lo
	s_or_b32 s11, s0, s11
.LBB143_2118:
	s_mov_b32 s0, 0
.LBB143_2119:
	s_delay_alu instid0(SALU_CYCLE_1)
	s_and_not1_b32 vcc_lo, exec_lo, s0
	s_cbranch_vccnz .LBB143_2139
; %bb.2120:
	v_cmp_gt_i16_e32 vcc_lo, 2, v12
	s_cbranch_vccnz .LBB143_2124
; %bb.2121:
	v_cmp_gt_i16_e32 vcc_lo, 3, v12
	s_cbranch_vccnz .LBB143_2125
; %bb.2122:
	v_cmp_lt_i16_e32 vcc_lo, 3, v12
	s_cbranch_vccz .LBB143_2126
; %bb.2123:
	global_load_b64 v[15:16], v[8:9], off
	s_mov_b32 s0, 0
	s_waitcnt vmcnt(0)
	v_cmp_ne_u64_e32 vcc_lo, 0, v[15:16]
	s_and_b32 s11, vcc_lo, exec_lo
	s_branch .LBB143_2127
.LBB143_2124:
	s_mov_b32 s0, -1
                                        ; implicit-def: $sgpr11
	s_branch .LBB143_2133
.LBB143_2125:
	s_mov_b32 s0, -1
                                        ; implicit-def: $sgpr11
	s_branch .LBB143_2130
.LBB143_2126:
	s_mov_b32 s0, -1
                                        ; implicit-def: $sgpr11
.LBB143_2127:
	s_delay_alu instid0(SALU_CYCLE_1)
	s_and_not1_b32 vcc_lo, exec_lo, s0
	s_cbranch_vccnz .LBB143_2129
; %bb.2128:
	global_load_b32 v10, v[8:9], off
	s_and_not1_b32 s0, s11, exec_lo
	s_waitcnt vmcnt(0)
	v_cmp_ne_u32_e32 vcc_lo, 0, v10
	s_and_b32 s11, vcc_lo, exec_lo
	s_delay_alu instid0(SALU_CYCLE_1)
	s_or_b32 s11, s0, s11
.LBB143_2129:
	s_mov_b32 s0, 0
.LBB143_2130:
	s_delay_alu instid0(SALU_CYCLE_1)
	s_and_not1_b32 vcc_lo, exec_lo, s0
	s_cbranch_vccnz .LBB143_2132
; %bb.2131:
	global_load_u16 v10, v[8:9], off
	s_and_not1_b32 s0, s11, exec_lo
	s_waitcnt vmcnt(0)
	v_cmp_ne_u16_e32 vcc_lo, 0, v10
	s_and_b32 s11, vcc_lo, exec_lo
	s_delay_alu instid0(SALU_CYCLE_1)
	s_or_b32 s11, s0, s11
.LBB143_2132:
	s_mov_b32 s0, 0
.LBB143_2133:
	s_delay_alu instid0(SALU_CYCLE_1)
	s_and_not1_b32 vcc_lo, exec_lo, s0
	s_cbranch_vccnz .LBB143_2139
; %bb.2134:
	v_cmp_lt_i16_e32 vcc_lo, 0, v12
	s_mov_b32 s0, 0
	s_cbranch_vccz .LBB143_2136
; %bb.2135:
	global_load_u8 v10, v[8:9], off
	s_waitcnt vmcnt(0)
	v_cmp_ne_u16_e32 vcc_lo, 0, v10
	s_and_b32 s11, vcc_lo, exec_lo
	s_branch .LBB143_2137
.LBB143_2136:
	s_mov_b32 s0, -1
                                        ; implicit-def: $sgpr11
.LBB143_2137:
	s_delay_alu instid0(SALU_CYCLE_1)
	s_and_not1_b32 vcc_lo, exec_lo, s0
	s_cbranch_vccnz .LBB143_2139
; %bb.2138:
	global_load_u8 v8, v[8:9], off
	s_and_not1_b32 s0, s11, exec_lo
	s_waitcnt vmcnt(0)
	v_cmp_ne_u16_e32 vcc_lo, 0, v8
	s_and_b32 s11, vcc_lo, exec_lo
	s_delay_alu instid0(SALU_CYCLE_1)
	s_or_b32 s11, s0, s11
.LBB143_2139:
	s_mov_b32 s13, -1
.LBB143_2140:
	s_delay_alu instid0(SALU_CYCLE_1)
	s_and_not1_b32 vcc_lo, exec_lo, s13
	s_cbranch_vccnz .LBB143_3064
; %bb.2141:
	v_cmp_gt_i16_e32 vcc_lo, 11, v14
	v_add_co_u32 v7, s0, s6, v7
	s_delay_alu instid0(VALU_DEP_1)
	v_add_co_ci_u32_e64 v8, null, s7, 0, s0
	s_mov_b32 s13, 0
	s_cbranch_vccnz .LBB143_2148
; %bb.2142:
	v_cmp_lt_i16_e32 vcc_lo, 25, v14
	s_mov_b32 s12, 0
	s_cbranch_vccz .LBB143_2149
; %bb.2143:
	v_cmp_lt_i16_e32 vcc_lo, 28, v14
	s_cbranch_vccz .LBB143_2150
; %bb.2144:
	v_cmp_lt_i16_e32 vcc_lo, 43, v14
	;; [unrolled: 3-line block ×3, first 2 shown]
	s_cbranch_vccz .LBB143_2154
; %bb.2146:
	v_cmp_eq_u16_e32 vcc_lo, 46, v14
	s_mov_b32 s14, 0
	s_cbranch_vccz .LBB143_2157
; %bb.2147:
	global_load_b32 v9, v[7:8], off
	s_mov_b32 s0, 0
	s_mov_b32 s13, -1
	s_branch .LBB143_2159
.LBB143_2148:
	s_mov_b32 s0, -1
                                        ; implicit-def: $vgpr9
	s_branch .LBB143_2225
.LBB143_2149:
	s_mov_b32 s14, -1
	s_mov_b32 s0, 0
                                        ; implicit-def: $vgpr9
	s_branch .LBB143_2188
.LBB143_2150:
	s_mov_b32 s14, -1
	s_mov_b32 s0, 0
                                        ; implicit-def: $vgpr9
	s_branch .LBB143_2169
.LBB143_2151:
	s_mov_b32 s14, -1
	s_mov_b32 s0, 0
                                        ; implicit-def: $vgpr9
	s_branch .LBB143_2164
.LBB143_2152:
	s_cbranch_execnz .LBB143_2155
; %bb.2153:
	s_mov_b32 s13, 0
	s_and_not1_b32 s11, s11, exec_lo
	s_or_b32 s1, s1, exec_lo
	s_cbranch_execz .LBB143_2089
	s_branch .LBB143_2090
.LBB143_2154:
	s_mov_b32 s14, -1
	s_mov_b32 s0, 0
	s_branch .LBB143_2158
.LBB143_2155:
	s_trap 2
	s_sendmsg_rtn_b32 s0, sendmsg(MSG_RTN_GET_DOORBELL)
	s_mov_b32 ttmp2, m0
	s_waitcnt lgkmcnt(0)
	s_and_b32 s0, s0, 0x3ff
	s_delay_alu instid0(SALU_CYCLE_1) | instskip(NEXT) | instid1(SALU_CYCLE_1)
	s_bitset1_b32 s0, 10
	s_mov_b32 m0, s0
	s_sendmsg sendmsg(MSG_INTERRUPT)
	s_mov_b32 m0, ttmp2
.LBB143_2156:                           ; =>This Inner Loop Header: Depth=1
	s_sethalt 5
	s_branch .LBB143_2156
.LBB143_2157:
	s_mov_b32 s0, -1
.LBB143_2158:
                                        ; implicit-def: $vgpr9
.LBB143_2159:
	s_and_b32 vcc_lo, exec_lo, s14
	s_cbranch_vccz .LBB143_2163
; %bb.2160:
	v_cmp_eq_u16_e32 vcc_lo, 44, v14
	s_cbranch_vccz .LBB143_2162
; %bb.2161:
	global_load_u8 v9, v[7:8], off
	s_mov_b32 s0, 0
	s_mov_b32 s13, -1
	s_waitcnt vmcnt(0)
	v_lshlrev_b32_e32 v10, 23, v9
	v_cmp_ne_u32_e32 vcc_lo, 0xff, v9
	s_delay_alu instid0(VALU_DEP_2) | instskip(SKIP_1) | instid1(VALU_DEP_2)
	v_cndmask_b32_e32 v10, 0x7f800001, v10, vcc_lo
	v_cmp_ne_u32_e32 vcc_lo, 0, v9
	v_cndmask_b32_e32 v9, 0x400000, v10, vcc_lo
	s_delay_alu instid0(VALU_DEP_1) | instskip(SKIP_1) | instid1(VALU_DEP_2)
	v_add_nc_u32_e32 v10, 0x7fff, v9
	v_cmp_o_f32_e32 vcc_lo, v9, v9
	v_lshrrev_b32_e32 v10, 16, v10
	s_delay_alu instid0(VALU_DEP_1)
	v_cndmask_b32_e32 v9, 0x7fc0, v10, vcc_lo
	s_branch .LBB143_2163
.LBB143_2162:
	s_mov_b32 s0, -1
                                        ; implicit-def: $vgpr9
.LBB143_2163:
	s_mov_b32 s14, 0
.LBB143_2164:
	s_delay_alu instid0(SALU_CYCLE_1)
	s_and_b32 vcc_lo, exec_lo, s14
	s_cbranch_vccz .LBB143_2168
; %bb.2165:
	v_cmp_eq_u16_e32 vcc_lo, 29, v14
	s_cbranch_vccz .LBB143_2167
; %bb.2166:
	global_load_b64 v[9:10], v[7:8], off
	s_mov_b32 s0, 0
	s_mov_b32 s13, -1
	s_mov_b32 s14, 0
	s_waitcnt vmcnt(0)
	v_clz_i32_u32_e32 v15, v10
	s_delay_alu instid0(VALU_DEP_1) | instskip(NEXT) | instid1(VALU_DEP_1)
	v_min_u32_e32 v15, 32, v15
	v_lshlrev_b64 v[9:10], v15, v[9:10]
	s_delay_alu instid0(VALU_DEP_1) | instskip(NEXT) | instid1(VALU_DEP_1)
	v_min_u32_e32 v9, 1, v9
	v_or_b32_e32 v9, v10, v9
	v_sub_nc_u32_e32 v10, 32, v15
	s_delay_alu instid0(VALU_DEP_2) | instskip(NEXT) | instid1(VALU_DEP_1)
	v_cvt_f32_u32_e32 v9, v9
	v_ldexp_f32 v9, v9, v10
	s_delay_alu instid0(VALU_DEP_1) | instskip(NEXT) | instid1(VALU_DEP_1)
	v_bfe_u32 v10, v9, 16, 1
	v_add3_u32 v9, v9, v10, 0x7fff
	s_delay_alu instid0(VALU_DEP_1)
	v_lshrrev_b32_e32 v9, 16, v9
	s_branch .LBB143_2169
.LBB143_2167:
	s_mov_b32 s0, -1
                                        ; implicit-def: $vgpr9
.LBB143_2168:
	s_mov_b32 s14, 0
.LBB143_2169:
	s_delay_alu instid0(SALU_CYCLE_1)
	s_and_b32 vcc_lo, exec_lo, s14
	s_cbranch_vccz .LBB143_2187
; %bb.2170:
	v_cmp_gt_i16_e32 vcc_lo, 27, v14
	s_cbranch_vccnz .LBB143_2173
; %bb.2171:
	v_cmp_lt_i16_e32 vcc_lo, 27, v14
	s_cbranch_vccz .LBB143_2174
; %bb.2172:
	global_load_b32 v9, v[7:8], off
	s_mov_b32 s13, 0
	s_waitcnt vmcnt(0)
	v_cvt_f32_u32_e32 v9, v9
	s_delay_alu instid0(VALU_DEP_1) | instskip(NEXT) | instid1(VALU_DEP_1)
	v_bfe_u32 v10, v9, 16, 1
	v_add3_u32 v9, v9, v10, 0x7fff
	s_delay_alu instid0(VALU_DEP_1)
	v_lshrrev_b32_e32 v9, 16, v9
	s_branch .LBB143_2175
.LBB143_2173:
	s_mov_b32 s13, -1
                                        ; implicit-def: $vgpr9
	s_branch .LBB143_2178
.LBB143_2174:
	s_mov_b32 s13, -1
                                        ; implicit-def: $vgpr9
.LBB143_2175:
	s_delay_alu instid0(SALU_CYCLE_1)
	s_and_not1_b32 vcc_lo, exec_lo, s13
	s_cbranch_vccnz .LBB143_2177
; %bb.2176:
	global_load_u16 v9, v[7:8], off
	s_waitcnt vmcnt(0)
	v_cvt_f32_u32_e32 v9, v9
	s_delay_alu instid0(VALU_DEP_1) | instskip(NEXT) | instid1(VALU_DEP_1)
	v_bfe_u32 v10, v9, 16, 1
	v_add3_u32 v9, v9, v10, 0x7fff
	s_delay_alu instid0(VALU_DEP_1)
	v_lshrrev_b32_e32 v9, 16, v9
.LBB143_2177:
	s_mov_b32 s13, 0
.LBB143_2178:
	s_delay_alu instid0(SALU_CYCLE_1)
	s_and_not1_b32 vcc_lo, exec_lo, s13
	s_cbranch_vccnz .LBB143_2186
; %bb.2179:
	global_load_u8 v9, v[7:8], off
	s_mov_b32 s13, 0
	s_mov_b32 s15, exec_lo
                                        ; implicit-def: $sgpr14
	s_waitcnt vmcnt(0)
	v_cmpx_lt_i16_e32 0x7f, v9
	s_xor_b32 s15, exec_lo, s15
	s_cbranch_execz .LBB143_2200
; %bb.2180:
	s_mov_b32 s13, -1
	s_mov_b32 s16, exec_lo
                                        ; implicit-def: $sgpr14
	v_cmpx_eq_u16_e32 0x80, v9
; %bb.2181:
	s_mov_b32 s14, 0x7f800001
	s_xor_b32 s13, exec_lo, -1
; %bb.2182:
	s_or_b32 exec_lo, exec_lo, s16
	s_delay_alu instid0(SALU_CYCLE_1)
	s_and_b32 s13, s13, exec_lo
	s_or_saveexec_b32 s15, s15
	v_mov_b32_e32 v10, s14
	s_xor_b32 exec_lo, exec_lo, s15
	s_cbranch_execnz .LBB143_2201
.LBB143_2183:
	s_or_b32 exec_lo, exec_lo, s15
	s_and_saveexec_b32 s14, s13
	s_cbranch_execz .LBB143_2185
.LBB143_2184:
	v_and_b32_e32 v10, 0xffff, v9
	v_lshlrev_b32_e32 v9, 24, v9
	s_delay_alu instid0(VALU_DEP_2) | instskip(NEXT) | instid1(VALU_DEP_2)
	v_and_b32_e32 v15, 7, v10
	v_and_b32_e32 v9, 0x80000000, v9
	s_delay_alu instid0(VALU_DEP_2) | instskip(NEXT) | instid1(VALU_DEP_1)
	v_clz_i32_u32_e32 v16, v15
	v_min_u32_e32 v16, 32, v16
	s_delay_alu instid0(VALU_DEP_1) | instskip(SKIP_1) | instid1(VALU_DEP_2)
	v_subrev_nc_u32_e32 v17, 28, v16
	v_sub_nc_u32_e32 v16, 29, v16
	v_lshlrev_b32_e32 v17, v17, v10
	v_bfe_u32 v10, v10, 3, 4
	s_delay_alu instid0(VALU_DEP_2) | instskip(NEXT) | instid1(VALU_DEP_2)
	v_and_b32_e32 v17, 7, v17
	v_cmp_eq_u32_e32 vcc_lo, 0, v10
	s_delay_alu instid0(VALU_DEP_2) | instskip(NEXT) | instid1(VALU_DEP_1)
	v_dual_cndmask_b32 v10, v10, v16 :: v_dual_cndmask_b32 v15, v15, v17
	v_lshl_add_u32 v10, v10, 23, 0x3b800000
	s_delay_alu instid0(VALU_DEP_2) | instskip(NEXT) | instid1(VALU_DEP_1)
	v_lshlrev_b32_e32 v15, 20, v15
	v_or3_b32 v10, v9, v10, v15
.LBB143_2185:
	s_or_b32 exec_lo, exec_lo, s14
	s_delay_alu instid0(VALU_DEP_1) | instskip(SKIP_1) | instid1(VALU_DEP_2)
	v_bfe_u32 v9, v10, 16, 1
	v_cmp_o_f32_e32 vcc_lo, v10, v10
	v_add3_u32 v9, v10, v9, 0x7fff
	s_delay_alu instid0(VALU_DEP_1) | instskip(NEXT) | instid1(VALU_DEP_1)
	v_lshrrev_b32_e32 v9, 16, v9
	v_cndmask_b32_e32 v9, 0x7fc0, v9, vcc_lo
.LBB143_2186:
	s_mov_b32 s13, -1
.LBB143_2187:
	s_mov_b32 s14, 0
.LBB143_2188:
	s_delay_alu instid0(SALU_CYCLE_1)
	s_and_b32 vcc_lo, exec_lo, s14
	s_cbranch_vccz .LBB143_2221
; %bb.2189:
	v_cmp_lt_i16_e32 vcc_lo, 22, v14
	s_cbranch_vccz .LBB143_2199
; %bb.2190:
	v_cmp_gt_i16_e32 vcc_lo, 24, v14
	s_cbranch_vccnz .LBB143_2202
; %bb.2191:
	v_cmp_lt_i16_e32 vcc_lo, 24, v14
	s_cbranch_vccz .LBB143_2203
; %bb.2192:
	global_load_u8 v9, v[7:8], off
	s_mov_b32 s14, exec_lo
                                        ; implicit-def: $sgpr13
	s_waitcnt vmcnt(0)
	v_cmpx_lt_i16_e32 0x7f, v9
	s_xor_b32 s14, exec_lo, s14
	s_cbranch_execz .LBB143_2215
; %bb.2193:
	s_mov_b32 s12, -1
	s_mov_b32 s15, exec_lo
                                        ; implicit-def: $sgpr13
	v_cmpx_eq_u16_e32 0x80, v9
; %bb.2194:
	s_mov_b32 s13, 0x7f800001
	s_xor_b32 s12, exec_lo, -1
; %bb.2195:
	s_or_b32 exec_lo, exec_lo, s15
	s_delay_alu instid0(SALU_CYCLE_1)
	s_and_b32 s12, s12, exec_lo
	s_or_saveexec_b32 s14, s14
	v_mov_b32_e32 v10, s13
	s_xor_b32 exec_lo, exec_lo, s14
	s_cbranch_execnz .LBB143_2216
.LBB143_2196:
	s_or_b32 exec_lo, exec_lo, s14
	s_and_saveexec_b32 s13, s12
	s_cbranch_execz .LBB143_2198
.LBB143_2197:
	v_and_b32_e32 v10, 0xffff, v9
	v_lshlrev_b32_e32 v9, 24, v9
	s_delay_alu instid0(VALU_DEP_2) | instskip(NEXT) | instid1(VALU_DEP_2)
	v_and_b32_e32 v15, 3, v10
	v_and_b32_e32 v9, 0x80000000, v9
	s_delay_alu instid0(VALU_DEP_2) | instskip(NEXT) | instid1(VALU_DEP_1)
	v_clz_i32_u32_e32 v16, v15
	v_min_u32_e32 v16, 32, v16
	s_delay_alu instid0(VALU_DEP_1) | instskip(SKIP_1) | instid1(VALU_DEP_2)
	v_subrev_nc_u32_e32 v17, 29, v16
	v_sub_nc_u32_e32 v16, 30, v16
	v_lshlrev_b32_e32 v17, v17, v10
	v_bfe_u32 v10, v10, 2, 5
	s_delay_alu instid0(VALU_DEP_2) | instskip(NEXT) | instid1(VALU_DEP_2)
	v_and_b32_e32 v17, 3, v17
	v_cmp_eq_u32_e32 vcc_lo, 0, v10
	s_delay_alu instid0(VALU_DEP_2) | instskip(NEXT) | instid1(VALU_DEP_1)
	v_dual_cndmask_b32 v10, v10, v16 :: v_dual_cndmask_b32 v15, v15, v17
	v_lshl_add_u32 v10, v10, 23, 0x37800000
	s_delay_alu instid0(VALU_DEP_2) | instskip(NEXT) | instid1(VALU_DEP_1)
	v_lshlrev_b32_e32 v15, 21, v15
	v_or3_b32 v10, v9, v10, v15
.LBB143_2198:
	s_or_b32 exec_lo, exec_lo, s13
	s_delay_alu instid0(VALU_DEP_1) | instskip(SKIP_2) | instid1(VALU_DEP_2)
	v_bfe_u32 v9, v10, 16, 1
	v_cmp_o_f32_e32 vcc_lo, v10, v10
	s_mov_b32 s12, 0
	v_add3_u32 v9, v10, v9, 0x7fff
	s_delay_alu instid0(VALU_DEP_1) | instskip(NEXT) | instid1(VALU_DEP_1)
	v_lshrrev_b32_e32 v9, 16, v9
	v_cndmask_b32_e32 v9, 0x7fc0, v9, vcc_lo
	s_branch .LBB143_2204
.LBB143_2199:
	s_mov_b32 s12, -1
                                        ; implicit-def: $vgpr9
	s_branch .LBB143_2210
.LBB143_2200:
	s_or_saveexec_b32 s15, s15
	v_mov_b32_e32 v10, s14
	s_xor_b32 exec_lo, exec_lo, s15
	s_cbranch_execz .LBB143_2183
.LBB143_2201:
	v_cmp_ne_u16_e32 vcc_lo, 0, v9
	v_mov_b32_e32 v10, 0
	s_and_not1_b32 s13, s13, exec_lo
	s_and_b32 s14, vcc_lo, exec_lo
	s_delay_alu instid0(SALU_CYCLE_1)
	s_or_b32 s13, s13, s14
	s_or_b32 exec_lo, exec_lo, s15
	s_and_saveexec_b32 s14, s13
	s_cbranch_execnz .LBB143_2184
	s_branch .LBB143_2185
.LBB143_2202:
	s_mov_b32 s12, -1
                                        ; implicit-def: $vgpr9
	s_branch .LBB143_2207
.LBB143_2203:
	s_mov_b32 s12, -1
                                        ; implicit-def: $vgpr9
.LBB143_2204:
	s_delay_alu instid0(SALU_CYCLE_1)
	s_and_b32 vcc_lo, exec_lo, s12
	s_cbranch_vccz .LBB143_2206
; %bb.2205:
	global_load_u8 v9, v[7:8], off
	s_waitcnt vmcnt(0)
	v_lshlrev_b32_e32 v9, 24, v9
	s_delay_alu instid0(VALU_DEP_1) | instskip(NEXT) | instid1(VALU_DEP_1)
	v_and_b32_e32 v10, 0x7f000000, v9
	v_clz_i32_u32_e32 v15, v10
	v_add_nc_u32_e32 v17, 0x1000000, v10
	v_cmp_ne_u32_e32 vcc_lo, 0, v10
	s_delay_alu instid0(VALU_DEP_3) | instskip(NEXT) | instid1(VALU_DEP_1)
	v_min_u32_e32 v15, 32, v15
	v_sub_nc_u32_e64 v15, v15, 4 clamp
	s_delay_alu instid0(VALU_DEP_1) | instskip(SKIP_1) | instid1(VALU_DEP_2)
	v_lshlrev_b32_e32 v16, v15, v10
	v_lshlrev_b32_e32 v15, 23, v15
	v_lshrrev_b32_e32 v16, 4, v16
	s_delay_alu instid0(VALU_DEP_1) | instskip(SKIP_1) | instid1(VALU_DEP_2)
	v_sub_nc_u32_e32 v15, v16, v15
	v_ashrrev_i32_e32 v16, 8, v17
	v_add_nc_u32_e32 v15, 0x3c000000, v15
	s_delay_alu instid0(VALU_DEP_1) | instskip(NEXT) | instid1(VALU_DEP_1)
	v_and_or_b32 v15, 0x7f800000, v16, v15
	v_cndmask_b32_e32 v10, 0, v15, vcc_lo
	s_delay_alu instid0(VALU_DEP_1) | instskip(SKIP_1) | instid1(VALU_DEP_2)
	v_and_or_b32 v9, 0x80000000, v9, v10
	v_bfe_u32 v10, v10, 16, 1
	v_cmp_o_f32_e32 vcc_lo, v9, v9
	s_delay_alu instid0(VALU_DEP_2) | instskip(NEXT) | instid1(VALU_DEP_1)
	v_add3_u32 v10, v9, v10, 0x7fff
	v_lshrrev_b32_e32 v10, 16, v10
	s_delay_alu instid0(VALU_DEP_1)
	v_cndmask_b32_e32 v9, 0x7fc0, v10, vcc_lo
.LBB143_2206:
	s_mov_b32 s12, 0
.LBB143_2207:
	s_delay_alu instid0(SALU_CYCLE_1)
	s_and_not1_b32 vcc_lo, exec_lo, s12
	s_cbranch_vccnz .LBB143_2209
; %bb.2208:
	global_load_u8 v9, v[7:8], off
	s_waitcnt vmcnt(0)
	v_lshlrev_b32_e32 v10, 25, v9
	v_lshlrev_b16 v9, 8, v9
	s_delay_alu instid0(VALU_DEP_2) | instskip(NEXT) | instid1(VALU_DEP_2)
	v_lshrrev_b32_e32 v15, 4, v10
	v_and_or_b32 v16, 0x7f00, v9, 0.5
	v_bfe_i32 v9, v9, 0, 16
	s_delay_alu instid0(VALU_DEP_3) | instskip(NEXT) | instid1(VALU_DEP_1)
	v_or_b32_e32 v15, 0x70000000, v15
	v_dual_add_f32 v16, -0.5, v16 :: v_dual_mul_f32 v15, 0x7800000, v15
	v_cmp_gt_u32_e32 vcc_lo, 0x8000000, v10
	s_delay_alu instid0(VALU_DEP_2) | instskip(NEXT) | instid1(VALU_DEP_1)
	v_cndmask_b32_e32 v10, v15, v16, vcc_lo
	v_and_or_b32 v9, 0x80000000, v9, v10
	v_bfe_u32 v10, v10, 16, 1
	s_delay_alu instid0(VALU_DEP_2) | instskip(NEXT) | instid1(VALU_DEP_2)
	v_cmp_o_f32_e32 vcc_lo, v9, v9
	v_add3_u32 v10, v9, v10, 0x7fff
	s_delay_alu instid0(VALU_DEP_1) | instskip(NEXT) | instid1(VALU_DEP_1)
	v_lshrrev_b32_e32 v10, 16, v10
	v_cndmask_b32_e32 v9, 0x7fc0, v10, vcc_lo
.LBB143_2209:
	s_mov_b32 s12, 0
	s_mov_b32 s13, -1
.LBB143_2210:
	s_and_not1_b32 vcc_lo, exec_lo, s12
	s_mov_b32 s12, 0
	s_cbranch_vccnz .LBB143_2221
; %bb.2211:
	v_cmp_lt_i16_e32 vcc_lo, 14, v14
	s_cbranch_vccz .LBB143_2214
; %bb.2212:
	v_cmp_eq_u16_e32 vcc_lo, 15, v14
	s_cbranch_vccz .LBB143_2217
; %bb.2213:
	global_load_u16 v9, v[7:8], off
	s_mov_b32 s0, 0
	s_mov_b32 s13, -1
	s_branch .LBB143_2219
.LBB143_2214:
	s_mov_b32 s12, -1
	s_branch .LBB143_2218
.LBB143_2215:
	s_or_saveexec_b32 s14, s14
	v_mov_b32_e32 v10, s13
	s_xor_b32 exec_lo, exec_lo, s14
	s_cbranch_execz .LBB143_2196
.LBB143_2216:
	v_cmp_ne_u16_e32 vcc_lo, 0, v9
	v_mov_b32_e32 v10, 0
	s_and_not1_b32 s12, s12, exec_lo
	s_and_b32 s13, vcc_lo, exec_lo
	s_delay_alu instid0(SALU_CYCLE_1)
	s_or_b32 s12, s12, s13
	s_or_b32 exec_lo, exec_lo, s14
	s_and_saveexec_b32 s13, s12
	s_cbranch_execnz .LBB143_2197
	s_branch .LBB143_2198
.LBB143_2217:
	s_mov_b32 s0, -1
.LBB143_2218:
                                        ; implicit-def: $vgpr9
.LBB143_2219:
	s_and_b32 vcc_lo, exec_lo, s12
	s_mov_b32 s12, 0
	s_cbranch_vccz .LBB143_2221
; %bb.2220:
	v_cmp_ne_u16_e64 s0, 11, v14
	s_mov_b32 s12, -1
                                        ; implicit-def: $vgpr9
.LBB143_2221:
	s_delay_alu instid0(VALU_DEP_1)
	s_and_b32 vcc_lo, exec_lo, s0
	s_cbranch_vccnz .LBB143_2286
; %bb.2222:
	s_and_not1_b32 vcc_lo, exec_lo, s12
	s_cbranch_vccnz .LBB143_2224
.LBB143_2223:
	global_load_u8 v9, v[7:8], off
	s_mov_b32 s13, -1
	s_waitcnt vmcnt(0)
	v_cmp_ne_u16_e32 vcc_lo, 0, v9
	v_cndmask_b32_e64 v9, 0, 1.0, vcc_lo
	s_delay_alu instid0(VALU_DEP_1)
	v_lshrrev_b32_e32 v9, 16, v9
.LBB143_2224:
	s_mov_b32 s0, 0
.LBB143_2225:
	s_delay_alu instid0(SALU_CYCLE_1)
	s_and_b32 vcc_lo, exec_lo, s0
	s_cbranch_vccz .LBB143_2274
; %bb.2226:
	v_cmp_gt_i16_e32 vcc_lo, 5, v14
	s_cbranch_vccnz .LBB143_2231
; %bb.2227:
	v_cmp_gt_i16_e32 vcc_lo, 8, v14
	s_cbranch_vccnz .LBB143_2232
	;; [unrolled: 3-line block ×3, first 2 shown]
; %bb.2229:
	v_cmp_lt_i16_e32 vcc_lo, 9, v14
	s_cbranch_vccz .LBB143_2234
; %bb.2230:
	global_load_b64 v[9:10], v[7:8], off
	s_mov_b32 s0, 0
	s_waitcnt vmcnt(0)
	v_cvt_f32_f64_e32 v9, v[9:10]
	s_delay_alu instid0(VALU_DEP_1) | instskip(SKIP_1) | instid1(VALU_DEP_2)
	v_bfe_u32 v10, v9, 16, 1
	v_cmp_o_f32_e32 vcc_lo, v9, v9
	v_add3_u32 v10, v9, v10, 0x7fff
	s_delay_alu instid0(VALU_DEP_1) | instskip(NEXT) | instid1(VALU_DEP_1)
	v_lshrrev_b32_e32 v10, 16, v10
	v_cndmask_b32_e32 v9, 0x7fc0, v10, vcc_lo
	s_branch .LBB143_2235
.LBB143_2231:
	s_mov_b32 s0, -1
                                        ; implicit-def: $vgpr9
	s_branch .LBB143_2253
.LBB143_2232:
	s_mov_b32 s0, -1
                                        ; implicit-def: $vgpr9
	s_branch .LBB143_2241
.LBB143_2233:
	s_mov_b32 s0, -1
                                        ; implicit-def: $vgpr9
	s_branch .LBB143_2238
.LBB143_2234:
	s_mov_b32 s0, -1
                                        ; implicit-def: $vgpr9
.LBB143_2235:
	s_delay_alu instid0(SALU_CYCLE_1)
	s_and_not1_b32 vcc_lo, exec_lo, s0
	s_cbranch_vccnz .LBB143_2237
; %bb.2236:
	global_load_b32 v9, v[7:8], off
	s_waitcnt vmcnt(0)
	v_bfe_u32 v10, v9, 16, 1
	v_cmp_o_f32_e32 vcc_lo, v9, v9
	s_delay_alu instid0(VALU_DEP_2) | instskip(NEXT) | instid1(VALU_DEP_1)
	v_add3_u32 v10, v9, v10, 0x7fff
	v_lshrrev_b32_e32 v10, 16, v10
	s_delay_alu instid0(VALU_DEP_1)
	v_cndmask_b32_e32 v9, 0x7fc0, v10, vcc_lo
.LBB143_2237:
	s_mov_b32 s0, 0
.LBB143_2238:
	s_delay_alu instid0(SALU_CYCLE_1)
	s_and_not1_b32 vcc_lo, exec_lo, s0
	s_cbranch_vccnz .LBB143_2240
; %bb.2239:
	global_load_b32 v9, v[7:8], off
	s_waitcnt vmcnt(0)
	v_cvt_f32_f16_e32 v10, v9
	v_cmp_o_f16_e32 vcc_lo, v9, v9
	s_delay_alu instid0(VALU_DEP_2) | instskip(NEXT) | instid1(VALU_DEP_1)
	v_bfe_u32 v15, v10, 16, 1
	v_add3_u32 v10, v10, v15, 0x7fff
	s_delay_alu instid0(VALU_DEP_1) | instskip(NEXT) | instid1(VALU_DEP_1)
	v_lshrrev_b32_e32 v10, 16, v10
	v_cndmask_b32_e32 v9, 0x7fc0, v10, vcc_lo
.LBB143_2240:
	s_mov_b32 s0, 0
.LBB143_2241:
	s_delay_alu instid0(SALU_CYCLE_1)
	s_and_not1_b32 vcc_lo, exec_lo, s0
	s_cbranch_vccnz .LBB143_2252
; %bb.2242:
	v_cmp_gt_i16_e32 vcc_lo, 6, v14
	s_cbranch_vccnz .LBB143_2245
; %bb.2243:
	v_cmp_lt_i16_e32 vcc_lo, 6, v14
	s_cbranch_vccz .LBB143_2246
; %bb.2244:
	global_load_b64 v[9:10], v[7:8], off
	s_mov_b32 s0, 0
	s_waitcnt vmcnt(0)
	v_cvt_f32_f64_e32 v9, v[9:10]
	s_delay_alu instid0(VALU_DEP_1) | instskip(SKIP_1) | instid1(VALU_DEP_2)
	v_bfe_u32 v10, v9, 16, 1
	v_cmp_o_f32_e32 vcc_lo, v9, v9
	v_add3_u32 v10, v9, v10, 0x7fff
	s_delay_alu instid0(VALU_DEP_1) | instskip(NEXT) | instid1(VALU_DEP_1)
	v_lshrrev_b32_e32 v10, 16, v10
	v_cndmask_b32_e32 v9, 0x7fc0, v10, vcc_lo
	s_branch .LBB143_2247
.LBB143_2245:
	s_mov_b32 s0, -1
                                        ; implicit-def: $vgpr9
	s_branch .LBB143_2250
.LBB143_2246:
	s_mov_b32 s0, -1
                                        ; implicit-def: $vgpr9
.LBB143_2247:
	s_delay_alu instid0(SALU_CYCLE_1)
	s_and_not1_b32 vcc_lo, exec_lo, s0
	s_cbranch_vccnz .LBB143_2249
; %bb.2248:
	global_load_b32 v9, v[7:8], off
	s_waitcnt vmcnt(0)
	v_bfe_u32 v10, v9, 16, 1
	v_cmp_o_f32_e32 vcc_lo, v9, v9
	s_delay_alu instid0(VALU_DEP_2) | instskip(NEXT) | instid1(VALU_DEP_1)
	v_add3_u32 v10, v9, v10, 0x7fff
	v_lshrrev_b32_e32 v10, 16, v10
	s_delay_alu instid0(VALU_DEP_1)
	v_cndmask_b32_e32 v9, 0x7fc0, v10, vcc_lo
.LBB143_2249:
	s_mov_b32 s0, 0
.LBB143_2250:
	s_delay_alu instid0(SALU_CYCLE_1)
	s_and_not1_b32 vcc_lo, exec_lo, s0
	s_cbranch_vccnz .LBB143_2252
; %bb.2251:
	global_load_u16 v9, v[7:8], off
	s_waitcnt vmcnt(0)
	v_cvt_f32_f16_e32 v10, v9
	v_cmp_o_f16_e32 vcc_lo, v9, v9
	s_delay_alu instid0(VALU_DEP_2) | instskip(NEXT) | instid1(VALU_DEP_1)
	v_bfe_u32 v15, v10, 16, 1
	v_add3_u32 v10, v10, v15, 0x7fff
	s_delay_alu instid0(VALU_DEP_1) | instskip(NEXT) | instid1(VALU_DEP_1)
	v_lshrrev_b32_e32 v10, 16, v10
	v_cndmask_b32_e32 v9, 0x7fc0, v10, vcc_lo
.LBB143_2252:
	s_mov_b32 s0, 0
.LBB143_2253:
	s_delay_alu instid0(SALU_CYCLE_1)
	s_and_not1_b32 vcc_lo, exec_lo, s0
	s_cbranch_vccnz .LBB143_2273
; %bb.2254:
	v_cmp_gt_i16_e32 vcc_lo, 2, v14
	s_cbranch_vccnz .LBB143_2258
; %bb.2255:
	v_cmp_gt_i16_e32 vcc_lo, 3, v14
	s_cbranch_vccnz .LBB143_2259
; %bb.2256:
	v_cmp_lt_i16_e32 vcc_lo, 3, v14
	s_cbranch_vccz .LBB143_2260
; %bb.2257:
	global_load_b64 v[9:10], v[7:8], off
	s_mov_b32 s0, 0
	s_waitcnt vmcnt(0)
	v_xor_b32_e32 v15, v9, v10
	v_cls_i32_e32 v16, v10
	s_delay_alu instid0(VALU_DEP_2) | instskip(NEXT) | instid1(VALU_DEP_2)
	v_ashrrev_i32_e32 v15, 31, v15
	v_add_nc_u32_e32 v16, -1, v16
	s_delay_alu instid0(VALU_DEP_2) | instskip(NEXT) | instid1(VALU_DEP_1)
	v_add_nc_u32_e32 v15, 32, v15
	v_min_u32_e32 v15, v16, v15
	s_delay_alu instid0(VALU_DEP_1) | instskip(NEXT) | instid1(VALU_DEP_1)
	v_lshlrev_b64 v[9:10], v15, v[9:10]
	v_min_u32_e32 v9, 1, v9
	s_delay_alu instid0(VALU_DEP_1) | instskip(SKIP_1) | instid1(VALU_DEP_2)
	v_or_b32_e32 v9, v10, v9
	v_sub_nc_u32_e32 v10, 32, v15
	v_cvt_f32_i32_e32 v9, v9
	s_delay_alu instid0(VALU_DEP_1) | instskip(NEXT) | instid1(VALU_DEP_1)
	v_ldexp_f32 v9, v9, v10
	v_bfe_u32 v10, v9, 16, 1
	s_delay_alu instid0(VALU_DEP_1) | instskip(NEXT) | instid1(VALU_DEP_1)
	v_add3_u32 v9, v9, v10, 0x7fff
	v_lshrrev_b32_e32 v9, 16, v9
	s_branch .LBB143_2261
.LBB143_2258:
	s_mov_b32 s0, -1
                                        ; implicit-def: $vgpr9
	s_branch .LBB143_2267
.LBB143_2259:
	s_mov_b32 s0, -1
                                        ; implicit-def: $vgpr9
	s_branch .LBB143_2264
.LBB143_2260:
	s_mov_b32 s0, -1
                                        ; implicit-def: $vgpr9
.LBB143_2261:
	s_delay_alu instid0(SALU_CYCLE_1)
	s_and_not1_b32 vcc_lo, exec_lo, s0
	s_cbranch_vccnz .LBB143_2263
; %bb.2262:
	global_load_b32 v9, v[7:8], off
	s_waitcnt vmcnt(0)
	v_cvt_f32_i32_e32 v9, v9
	s_delay_alu instid0(VALU_DEP_1) | instskip(NEXT) | instid1(VALU_DEP_1)
	v_bfe_u32 v10, v9, 16, 1
	v_add3_u32 v9, v9, v10, 0x7fff
	s_delay_alu instid0(VALU_DEP_1)
	v_lshrrev_b32_e32 v9, 16, v9
.LBB143_2263:
	s_mov_b32 s0, 0
.LBB143_2264:
	s_delay_alu instid0(SALU_CYCLE_1)
	s_and_not1_b32 vcc_lo, exec_lo, s0
	s_cbranch_vccnz .LBB143_2266
; %bb.2265:
	global_load_i16 v9, v[7:8], off
	s_waitcnt vmcnt(0)
	v_cvt_f32_i32_e32 v9, v9
	s_delay_alu instid0(VALU_DEP_1) | instskip(NEXT) | instid1(VALU_DEP_1)
	v_bfe_u32 v10, v9, 16, 1
	v_add3_u32 v9, v9, v10, 0x7fff
	s_delay_alu instid0(VALU_DEP_1)
	v_lshrrev_b32_e32 v9, 16, v9
.LBB143_2266:
	s_mov_b32 s0, 0
.LBB143_2267:
	s_delay_alu instid0(SALU_CYCLE_1)
	s_and_not1_b32 vcc_lo, exec_lo, s0
	s_cbranch_vccnz .LBB143_2273
; %bb.2268:
	v_cmp_lt_i16_e32 vcc_lo, 0, v14
	s_mov_b32 s0, 0
	s_cbranch_vccz .LBB143_2270
; %bb.2269:
	global_load_i8 v9, v[7:8], off
	s_waitcnt vmcnt(0)
	v_cvt_f32_i32_e32 v9, v9
	s_delay_alu instid0(VALU_DEP_1) | instskip(NEXT) | instid1(VALU_DEP_1)
	v_bfe_u32 v10, v9, 16, 1
	v_add3_u32 v9, v9, v10, 0x7fff
	s_delay_alu instid0(VALU_DEP_1)
	v_lshrrev_b32_e32 v9, 16, v9
	s_branch .LBB143_2271
.LBB143_2270:
	s_mov_b32 s0, -1
                                        ; implicit-def: $vgpr9
.LBB143_2271:
	s_delay_alu instid0(SALU_CYCLE_1)
	s_and_not1_b32 vcc_lo, exec_lo, s0
	s_cbranch_vccnz .LBB143_2273
; %bb.2272:
	global_load_u8 v7, v[7:8], off
	s_waitcnt vmcnt(0)
	v_cvt_f32_ubyte0_e32 v7, v7
	s_delay_alu instid0(VALU_DEP_1) | instskip(NEXT) | instid1(VALU_DEP_1)
	v_bfe_u32 v8, v7, 16, 1
	v_add3_u32 v7, v7, v8, 0x7fff
	s_delay_alu instid0(VALU_DEP_1)
	v_lshrrev_b32_e32 v9, 16, v7
.LBB143_2273:
	s_mov_b32 s13, -1
.LBB143_2274:
	s_delay_alu instid0(SALU_CYCLE_1)
	s_and_not1_b32 vcc_lo, exec_lo, s13
	s_cbranch_vccnz .LBB143_3064
; %bb.2275:
	v_cmp_gt_i16_e32 vcc_lo, 11, v12
	v_add_co_u32 v6, s0, s2, v6
	s_delay_alu instid0(VALU_DEP_1)
	v_add_co_ci_u32_e64 v7, null, s3, 0, s0
	s_mov_b32 s14, 0
	s_cbranch_vccnz .LBB143_2282
; %bb.2276:
	v_cmp_lt_i16_e32 vcc_lo, 25, v12
	s_mov_b32 s0, 0
	s_cbranch_vccz .LBB143_2283
; %bb.2277:
	v_cmp_lt_i16_e32 vcc_lo, 28, v12
	s_cbranch_vccz .LBB143_2284
; %bb.2278:
	v_cmp_lt_i16_e32 vcc_lo, 43, v12
	;; [unrolled: 3-line block ×3, first 2 shown]
	s_cbranch_vccz .LBB143_2288
; %bb.2280:
	v_cmp_eq_u16_e32 vcc_lo, 46, v12
	s_mov_b32 s15, 0
	s_cbranch_vccz .LBB143_2293
; %bb.2281:
	global_load_b32 v8, v[6:7], off
	s_mov_b32 s13, 0
	s_mov_b32 s14, -1
	s_waitcnt vmcnt(0)
	v_and_b32_e32 v8, 0x7fff7fff, v8
	s_delay_alu instid0(VALU_DEP_1)
	v_cmp_ne_u32_e32 vcc_lo, 0, v8
	s_and_b32 s12, vcc_lo, exec_lo
	s_branch .LBB143_2295
.LBB143_2282:
	s_mov_b32 s0, -1
                                        ; implicit-def: $sgpr12
	s_branch .LBB143_2359
.LBB143_2283:
	s_mov_b32 s15, -1
	s_mov_b32 s13, 0
                                        ; implicit-def: $sgpr12
	s_branch .LBB143_2322
.LBB143_2284:
	s_mov_b32 s15, -1
	s_mov_b32 s13, 0
                                        ; implicit-def: $sgpr12
	s_branch .LBB143_2303
.LBB143_2285:
	s_mov_b32 s15, -1
	s_mov_b32 s13, 0
                                        ; implicit-def: $sgpr12
	s_branch .LBB143_2298
.LBB143_2286:
	s_cbranch_execnz .LBB143_2289
; %bb.2287:
	s_or_b32 s1, s1, exec_lo
                                        ; implicit-def: $vgpr9
	s_cbranch_execz .LBB143_2223
	s_branch .LBB143_2224
.LBB143_2288:
	s_mov_b32 s15, -1
	s_mov_b32 s13, 0
	s_branch .LBB143_2294
.LBB143_2289:
	s_trap 2
	s_sendmsg_rtn_b32 s0, sendmsg(MSG_RTN_GET_DOORBELL)
	s_mov_b32 ttmp2, m0
	s_waitcnt lgkmcnt(0)
	s_and_b32 s0, s0, 0x3ff
	s_delay_alu instid0(SALU_CYCLE_1) | instskip(NEXT) | instid1(SALU_CYCLE_1)
	s_bitset1_b32 s0, 10
	s_mov_b32 m0, s0
	s_sendmsg sendmsg(MSG_INTERRUPT)
	s_mov_b32 m0, ttmp2
.LBB143_2290:                           ; =>This Inner Loop Header: Depth=1
	s_sethalt 5
	s_branch .LBB143_2290
.LBB143_2291:
	s_or_saveexec_b32 s49, s49
                                        ; implicit-def: $sgpr50
	s_delay_alu instid0(SALU_CYCLE_1)
	s_xor_b32 exec_lo, exec_lo, s49
	s_cbranch_execz .LBB143_1167
.LBB143_2292:
	v_add_f32_e64 v6, 0x42800000, |v7|
	s_and_not1_b32 s48, s48, exec_lo
	s_mov_b32 s50, 0
	s_delay_alu instid0(VALU_DEP_1) | instskip(NEXT) | instid1(VALU_DEP_1)
	v_and_b32_e32 v6, 0xff, v6
	v_cmp_ne_u32_e32 vcc_lo, 0, v6
	s_and_b32 s51, vcc_lo, exec_lo
	s_delay_alu instid0(SALU_CYCLE_1)
	s_or_b32 s48, s48, s51
	s_or_b32 exec_lo, exec_lo, s49
	v_mov_b32_e32 v8, s50
	s_and_saveexec_b32 s49, s48
	s_cbranch_execnz .LBB143_1168
	s_branch .LBB143_1169
.LBB143_2293:
	s_mov_b32 s13, -1
.LBB143_2294:
                                        ; implicit-def: $sgpr12
.LBB143_2295:
	s_and_b32 vcc_lo, exec_lo, s15
	s_cbranch_vccz .LBB143_2297
; %bb.2296:
	v_cmp_ne_u16_e64 s13, 44, v12
	s_mov_b32 s14, -1
	s_or_b32 s12, s12, exec_lo
.LBB143_2297:
	s_mov_b32 s15, 0
.LBB143_2298:
	s_delay_alu instid0(SALU_CYCLE_1)
	s_and_b32 vcc_lo, exec_lo, s15
	s_cbranch_vccz .LBB143_2302
; %bb.2299:
	v_cmp_eq_u16_e32 vcc_lo, 29, v12
	s_cbranch_vccz .LBB143_2301
; %bb.2300:
	global_load_b64 v[15:16], v[6:7], off
	s_mov_b32 s13, 0
	s_mov_b32 s14, -1
	s_mov_b32 s15, 0
	s_waitcnt vmcnt(0)
	v_cmp_ne_u64_e32 vcc_lo, 0, v[15:16]
	s_and_b32 s12, vcc_lo, exec_lo
	s_branch .LBB143_2303
.LBB143_2301:
	s_mov_b32 s13, -1
                                        ; implicit-def: $sgpr12
.LBB143_2302:
	s_mov_b32 s15, 0
.LBB143_2303:
	s_delay_alu instid0(SALU_CYCLE_1)
	s_and_b32 vcc_lo, exec_lo, s15
	s_cbranch_vccz .LBB143_2321
; %bb.2304:
	v_cmp_gt_i16_e32 vcc_lo, 27, v12
	s_cbranch_vccnz .LBB143_2307
; %bb.2305:
	v_cmp_lt_i16_e32 vcc_lo, 27, v12
	s_cbranch_vccz .LBB143_2308
; %bb.2306:
	global_load_b32 v8, v[6:7], off
	s_mov_b32 s14, 0
	s_waitcnt vmcnt(0)
	v_cmp_ne_u32_e32 vcc_lo, 0, v8
	s_and_b32 s12, vcc_lo, exec_lo
	s_branch .LBB143_2309
.LBB143_2307:
	s_mov_b32 s14, -1
                                        ; implicit-def: $sgpr12
	s_branch .LBB143_2312
.LBB143_2308:
	s_mov_b32 s14, -1
                                        ; implicit-def: $sgpr12
.LBB143_2309:
	s_delay_alu instid0(SALU_CYCLE_1)
	s_and_not1_b32 vcc_lo, exec_lo, s14
	s_cbranch_vccnz .LBB143_2311
; %bb.2310:
	global_load_u16 v8, v[6:7], off
	s_and_not1_b32 s12, s12, exec_lo
	s_waitcnt vmcnt(0)
	v_cmp_ne_u16_e32 vcc_lo, 0, v8
	s_and_b32 s14, vcc_lo, exec_lo
	s_delay_alu instid0(SALU_CYCLE_1)
	s_or_b32 s12, s12, s14
.LBB143_2311:
	s_mov_b32 s14, 0
.LBB143_2312:
	s_delay_alu instid0(SALU_CYCLE_1)
	s_and_not1_b32 vcc_lo, exec_lo, s14
	s_cbranch_vccnz .LBB143_2320
; %bb.2313:
	global_load_u8 v8, v[6:7], off
	s_mov_b32 s14, 0
	s_mov_b32 s15, exec_lo
                                        ; implicit-def: $sgpr12
	s_waitcnt vmcnt(0)
	v_cmpx_lt_i16_e32 0x7f, v8
	s_xor_b32 s15, exec_lo, s15
	s_cbranch_execz .LBB143_2334
; %bb.2314:
	s_mov_b32 s14, -1
	s_mov_b32 s16, exec_lo
                                        ; implicit-def: $sgpr12
	v_cmpx_eq_u16_e32 0x80, v8
; %bb.2315:
	s_mov_b32 s12, -1
	s_xor_b32 s14, exec_lo, -1
; %bb.2316:
	s_or_b32 exec_lo, exec_lo, s16
	s_delay_alu instid0(SALU_CYCLE_1)
	s_and_b32 s14, s14, exec_lo
	s_and_not1_saveexec_b32 s15, s15
	s_cbranch_execnz .LBB143_2335
.LBB143_2317:
	s_or_b32 exec_lo, exec_lo, s15
	s_and_saveexec_b32 s15, s14
	s_cbranch_execz .LBB143_2319
.LBB143_2318:
	v_and_b32_e32 v8, 0xffff, v8
	s_and_not1_b32 s12, s12, exec_lo
	s_delay_alu instid0(VALU_DEP_1) | instskip(NEXT) | instid1(VALU_DEP_1)
	v_and_b32_e32 v10, 7, v8
	v_clz_i32_u32_e32 v15, v10
	s_delay_alu instid0(VALU_DEP_1) | instskip(NEXT) | instid1(VALU_DEP_1)
	v_min_u32_e32 v15, 32, v15
	v_subrev_nc_u32_e32 v16, 28, v15
	v_sub_nc_u32_e32 v15, 29, v15
	s_delay_alu instid0(VALU_DEP_2) | instskip(SKIP_1) | instid1(VALU_DEP_2)
	v_lshlrev_b32_e32 v16, v16, v8
	v_bfe_u32 v8, v8, 3, 4
	v_and_b32_e32 v16, 7, v16
	s_delay_alu instid0(VALU_DEP_2) | instskip(SKIP_1) | instid1(VALU_DEP_3)
	v_cmp_eq_u32_e32 vcc_lo, 0, v8
	v_cndmask_b32_e32 v8, v8, v15, vcc_lo
	v_cndmask_b32_e32 v10, v10, v16, vcc_lo
	s_delay_alu instid0(VALU_DEP_2) | instskip(NEXT) | instid1(VALU_DEP_2)
	v_lshl_add_u32 v8, v8, 23, 0x3b800000
	v_lshlrev_b32_e32 v10, 20, v10
	s_delay_alu instid0(VALU_DEP_1) | instskip(NEXT) | instid1(VALU_DEP_1)
	v_and_or_b32 v8, 0x7f800000, v8, v10
	v_cmp_ne_u32_e32 vcc_lo, 0, v8
	s_and_b32 s14, vcc_lo, exec_lo
	s_delay_alu instid0(SALU_CYCLE_1)
	s_or_b32 s12, s12, s14
.LBB143_2319:
	s_or_b32 exec_lo, exec_lo, s15
.LBB143_2320:
	s_mov_b32 s14, -1
.LBB143_2321:
	s_mov_b32 s15, 0
.LBB143_2322:
	s_delay_alu instid0(SALU_CYCLE_1)
	s_and_b32 vcc_lo, exec_lo, s15
	s_cbranch_vccz .LBB143_2355
; %bb.2323:
	v_cmp_lt_i16_e32 vcc_lo, 22, v12
	s_cbranch_vccz .LBB143_2333
; %bb.2324:
	v_cmp_gt_i16_e32 vcc_lo, 24, v12
	s_cbranch_vccnz .LBB143_2336
; %bb.2325:
	v_cmp_lt_i16_e32 vcc_lo, 24, v12
	s_cbranch_vccz .LBB143_2337
; %bb.2326:
	global_load_u8 v8, v[6:7], off
	s_mov_b32 s14, exec_lo
                                        ; implicit-def: $sgpr12
	s_waitcnt vmcnt(0)
	v_cmpx_lt_i16_e32 0x7f, v8
	s_xor_b32 s14, exec_lo, s14
	s_cbranch_execz .LBB143_2349
; %bb.2327:
	s_mov_b32 s0, -1
	s_mov_b32 s15, exec_lo
                                        ; implicit-def: $sgpr12
	v_cmpx_eq_u16_e32 0x80, v8
; %bb.2328:
	s_mov_b32 s12, -1
	s_xor_b32 s0, exec_lo, -1
; %bb.2329:
	s_or_b32 exec_lo, exec_lo, s15
	s_delay_alu instid0(SALU_CYCLE_1)
	s_and_b32 s0, s0, exec_lo
	s_and_not1_saveexec_b32 s14, s14
	s_cbranch_execnz .LBB143_2350
.LBB143_2330:
	s_or_b32 exec_lo, exec_lo, s14
	s_and_saveexec_b32 s14, s0
	s_cbranch_execz .LBB143_2332
.LBB143_2331:
	v_and_b32_e32 v8, 0xffff, v8
	s_and_not1_b32 s0, s12, exec_lo
	s_delay_alu instid0(VALU_DEP_1) | instskip(NEXT) | instid1(VALU_DEP_1)
	v_and_b32_e32 v10, 3, v8
	v_clz_i32_u32_e32 v15, v10
	s_delay_alu instid0(VALU_DEP_1) | instskip(NEXT) | instid1(VALU_DEP_1)
	v_min_u32_e32 v15, 32, v15
	v_subrev_nc_u32_e32 v16, 29, v15
	v_sub_nc_u32_e32 v15, 30, v15
	s_delay_alu instid0(VALU_DEP_2) | instskip(SKIP_1) | instid1(VALU_DEP_2)
	v_lshlrev_b32_e32 v16, v16, v8
	v_bfe_u32 v8, v8, 2, 5
	v_and_b32_e32 v16, 3, v16
	s_delay_alu instid0(VALU_DEP_2) | instskip(SKIP_1) | instid1(VALU_DEP_3)
	v_cmp_eq_u32_e32 vcc_lo, 0, v8
	v_cndmask_b32_e32 v8, v8, v15, vcc_lo
	v_cndmask_b32_e32 v10, v10, v16, vcc_lo
	s_delay_alu instid0(VALU_DEP_2) | instskip(NEXT) | instid1(VALU_DEP_2)
	v_lshl_add_u32 v8, v8, 23, 0x37800000
	v_lshlrev_b32_e32 v10, 21, v10
	s_delay_alu instid0(VALU_DEP_1) | instskip(NEXT) | instid1(VALU_DEP_1)
	v_and_or_b32 v8, 0x7f800000, v8, v10
	v_cmp_ne_u32_e32 vcc_lo, 0, v8
	s_and_b32 s12, vcc_lo, exec_lo
	s_delay_alu instid0(SALU_CYCLE_1)
	s_or_b32 s12, s0, s12
.LBB143_2332:
	s_or_b32 exec_lo, exec_lo, s14
	s_mov_b32 s0, 0
	s_branch .LBB143_2338
.LBB143_2333:
	s_mov_b32 s0, -1
                                        ; implicit-def: $sgpr12
	s_branch .LBB143_2344
.LBB143_2334:
	s_and_not1_saveexec_b32 s15, s15
	s_cbranch_execz .LBB143_2317
.LBB143_2335:
	v_cmp_ne_u16_e32 vcc_lo, 0, v8
	s_and_not1_b32 s14, s14, exec_lo
	s_and_not1_b32 s12, s12, exec_lo
	s_and_b32 s16, vcc_lo, exec_lo
	s_delay_alu instid0(SALU_CYCLE_1)
	s_or_b32 s14, s14, s16
	s_or_b32 exec_lo, exec_lo, s15
	s_and_saveexec_b32 s15, s14
	s_cbranch_execnz .LBB143_2318
	s_branch .LBB143_2319
.LBB143_2336:
	s_mov_b32 s0, -1
                                        ; implicit-def: $sgpr12
	s_branch .LBB143_2341
.LBB143_2337:
	s_mov_b32 s0, -1
                                        ; implicit-def: $sgpr12
.LBB143_2338:
	s_delay_alu instid0(SALU_CYCLE_1)
	s_and_b32 vcc_lo, exec_lo, s0
	s_cbranch_vccz .LBB143_2340
; %bb.2339:
	global_load_u8 v8, v[6:7], off
	s_and_not1_b32 s12, s12, exec_lo
	s_waitcnt vmcnt(0)
	v_lshlrev_b32_e32 v8, 24, v8
	s_delay_alu instid0(VALU_DEP_1) | instskip(NEXT) | instid1(VALU_DEP_1)
	v_and_b32_e32 v8, 0x7f000000, v8
	v_clz_i32_u32_e32 v10, v8
	v_add_nc_u32_e32 v16, 0x1000000, v8
	v_cmp_ne_u32_e32 vcc_lo, 0, v8
	s_delay_alu instid0(VALU_DEP_3) | instskip(NEXT) | instid1(VALU_DEP_3)
	v_min_u32_e32 v10, 32, v10
	v_ashrrev_i32_e32 v16, 8, v16
	s_delay_alu instid0(VALU_DEP_2) | instskip(NEXT) | instid1(VALU_DEP_1)
	v_sub_nc_u32_e64 v10, v10, 4 clamp
	v_lshlrev_b32_e32 v15, v10, v8
	v_lshlrev_b32_e32 v10, 23, v10
	s_delay_alu instid0(VALU_DEP_2) | instskip(NEXT) | instid1(VALU_DEP_1)
	v_lshrrev_b32_e32 v15, 4, v15
	v_sub_nc_u32_e32 v10, v15, v10
	v_and_b32_e32 v15, 0x7f800000, v16
	s_delay_alu instid0(VALU_DEP_2) | instskip(NEXT) | instid1(VALU_DEP_1)
	v_add_nc_u32_e32 v10, 0x3c000000, v10
	v_and_or_b32 v10, 0x7ff00000, v10, v15
	s_delay_alu instid0(VALU_DEP_1) | instskip(NEXT) | instid1(VALU_DEP_1)
	v_cmp_ne_u32_e64 s0, 0, v10
	s_and_b32 s0, vcc_lo, s0
	s_delay_alu instid0(SALU_CYCLE_1) | instskip(NEXT) | instid1(SALU_CYCLE_1)
	s_and_b32 s0, s0, exec_lo
	s_or_b32 s12, s12, s0
.LBB143_2340:
	s_mov_b32 s0, 0
.LBB143_2341:
	s_delay_alu instid0(SALU_CYCLE_1)
	s_and_not1_b32 vcc_lo, exec_lo, s0
	s_cbranch_vccnz .LBB143_2343
; %bb.2342:
	global_load_u8 v8, v[6:7], off
	s_and_not1_b32 s0, s12, exec_lo
	s_waitcnt vmcnt(0)
	v_lshlrev_b32_e32 v10, 25, v8
	v_lshlrev_b32_e32 v8, 8, v8
	s_delay_alu instid0(VALU_DEP_2) | instskip(NEXT) | instid1(VALU_DEP_2)
	v_lshrrev_b32_e32 v15, 4, v10
	v_and_or_b32 v8, 0x7f00, v8, 0.5
	s_delay_alu instid0(VALU_DEP_2) | instskip(NEXT) | instid1(VALU_DEP_1)
	v_or_b32_e32 v15, 0x70000000, v15
	v_dual_add_f32 v8, -0.5, v8 :: v_dual_mul_f32 v15, 0x7800000, v15
	v_cmp_gt_u32_e32 vcc_lo, 0x8000000, v10
	s_delay_alu instid0(VALU_DEP_2) | instskip(NEXT) | instid1(VALU_DEP_1)
	v_cndmask_b32_e32 v8, v15, v8, vcc_lo
	v_cmp_neq_f32_e32 vcc_lo, 0, v8
	s_and_b32 s12, vcc_lo, exec_lo
	s_delay_alu instid0(SALU_CYCLE_1)
	s_or_b32 s12, s0, s12
.LBB143_2343:
	s_mov_b32 s0, 0
	s_mov_b32 s14, -1
.LBB143_2344:
	s_and_not1_b32 vcc_lo, exec_lo, s0
	s_mov_b32 s0, 0
	s_cbranch_vccnz .LBB143_2355
; %bb.2345:
	v_cmp_lt_i16_e32 vcc_lo, 14, v12
	s_cbranch_vccz .LBB143_2348
; %bb.2346:
	v_cmp_eq_u16_e32 vcc_lo, 15, v12
	s_cbranch_vccz .LBB143_2351
; %bb.2347:
	global_load_u16 v8, v[6:7], off
	s_mov_b32 s13, 0
	s_mov_b32 s14, -1
	s_waitcnt vmcnt(0)
	v_and_b32_e32 v8, 0x7fff, v8
	s_delay_alu instid0(VALU_DEP_1)
	v_cmp_ne_u16_e32 vcc_lo, 0, v8
	s_and_b32 s12, vcc_lo, exec_lo
	s_branch .LBB143_2353
.LBB143_2348:
	s_mov_b32 s0, -1
	s_branch .LBB143_2352
.LBB143_2349:
	s_and_not1_saveexec_b32 s14, s14
	s_cbranch_execz .LBB143_2330
.LBB143_2350:
	v_cmp_ne_u16_e32 vcc_lo, 0, v8
	s_and_not1_b32 s0, s0, exec_lo
	s_and_not1_b32 s12, s12, exec_lo
	s_and_b32 s15, vcc_lo, exec_lo
	s_delay_alu instid0(SALU_CYCLE_1)
	s_or_b32 s0, s0, s15
	s_or_b32 exec_lo, exec_lo, s14
	s_and_saveexec_b32 s14, s0
	s_cbranch_execnz .LBB143_2331
	s_branch .LBB143_2332
.LBB143_2351:
	s_mov_b32 s13, -1
.LBB143_2352:
                                        ; implicit-def: $sgpr12
.LBB143_2353:
	s_and_b32 vcc_lo, exec_lo, s0
	s_mov_b32 s0, 0
	s_cbranch_vccz .LBB143_2355
; %bb.2354:
	v_cmp_ne_u16_e64 s13, 11, v12
	s_mov_b32 s0, -1
	s_and_not1_b32 s12, s12, exec_lo
.LBB143_2355:
	s_delay_alu instid0(VALU_DEP_1)
	s_and_b32 vcc_lo, exec_lo, s13
	s_cbranch_vccnz .LBB143_2420
; %bb.2356:
	s_and_not1_b32 vcc_lo, exec_lo, s0
	s_cbranch_vccnz .LBB143_2358
.LBB143_2357:
	global_load_u8 v8, v[6:7], off
	s_and_not1_b32 s0, s12, exec_lo
	s_mov_b32 s14, -1
	s_waitcnt vmcnt(0)
	v_cmp_ne_u16_e32 vcc_lo, 0, v8
	s_and_b32 s12, vcc_lo, exec_lo
	s_delay_alu instid0(SALU_CYCLE_1)
	s_or_b32 s12, s0, s12
.LBB143_2358:
	s_mov_b32 s0, 0
.LBB143_2359:
	s_delay_alu instid0(SALU_CYCLE_1)
	s_and_b32 vcc_lo, exec_lo, s0
	s_cbranch_vccz .LBB143_2408
; %bb.2360:
	v_cmp_gt_i16_e32 vcc_lo, 5, v12
	s_cbranch_vccnz .LBB143_2365
; %bb.2361:
	v_cmp_gt_i16_e32 vcc_lo, 8, v12
	s_cbranch_vccnz .LBB143_2366
	;; [unrolled: 3-line block ×3, first 2 shown]
; %bb.2363:
	v_cmp_lt_i16_e32 vcc_lo, 9, v12
	s_cbranch_vccz .LBB143_2368
; %bb.2364:
	global_load_b128 v[15:18], v[6:7], off
	s_waitcnt vmcnt(0)
	v_cmp_neq_f64_e32 vcc_lo, 0, v[15:16]
	v_cmp_neq_f64_e64 s0, 0, v[17:18]
	s_delay_alu instid0(VALU_DEP_1)
	s_or_b32 s12, vcc_lo, s0
	s_mov_b32 s0, 0
	s_and_b32 s12, s12, exec_lo
	s_branch .LBB143_2369
.LBB143_2365:
	s_mov_b32 s0, -1
                                        ; implicit-def: $sgpr12
	s_branch .LBB143_2387
.LBB143_2366:
	s_mov_b32 s0, -1
                                        ; implicit-def: $sgpr12
	s_branch .LBB143_2375
.LBB143_2367:
	s_mov_b32 s0, -1
                                        ; implicit-def: $sgpr12
	s_branch .LBB143_2372
.LBB143_2368:
	s_mov_b32 s0, -1
                                        ; implicit-def: $sgpr12
.LBB143_2369:
	s_delay_alu instid0(SALU_CYCLE_1)
	s_and_not1_b32 vcc_lo, exec_lo, s0
	s_cbranch_vccnz .LBB143_2371
; %bb.2370:
	global_load_b64 v[15:16], v[6:7], off
	s_and_not1_b32 s0, s12, exec_lo
	s_waitcnt vmcnt(0)
	v_or_b32_e32 v8, v15, v16
	s_delay_alu instid0(VALU_DEP_1) | instskip(NEXT) | instid1(VALU_DEP_1)
	v_and_b32_e32 v8, 0x7fffffff, v8
	v_cmp_ne_u32_e32 vcc_lo, 0, v8
	s_and_b32 s12, vcc_lo, exec_lo
	s_delay_alu instid0(SALU_CYCLE_1)
	s_or_b32 s12, s0, s12
.LBB143_2371:
	s_mov_b32 s0, 0
.LBB143_2372:
	s_delay_alu instid0(SALU_CYCLE_1)
	s_and_not1_b32 vcc_lo, exec_lo, s0
	s_cbranch_vccnz .LBB143_2374
; %bb.2373:
	global_load_b32 v8, v[6:7], off
	s_and_not1_b32 s0, s12, exec_lo
	s_waitcnt vmcnt(0)
	v_and_b32_e32 v8, 0x7fff7fff, v8
	s_delay_alu instid0(VALU_DEP_1) | instskip(SKIP_1) | instid1(SALU_CYCLE_1)
	v_cmp_ne_u32_e32 vcc_lo, 0, v8
	s_and_b32 s12, vcc_lo, exec_lo
	s_or_b32 s12, s0, s12
.LBB143_2374:
	s_mov_b32 s0, 0
.LBB143_2375:
	s_delay_alu instid0(SALU_CYCLE_1)
	s_and_not1_b32 vcc_lo, exec_lo, s0
	s_cbranch_vccnz .LBB143_2386
; %bb.2376:
	v_cmp_gt_i16_e32 vcc_lo, 6, v12
	s_cbranch_vccnz .LBB143_2379
; %bb.2377:
	v_cmp_lt_i16_e32 vcc_lo, 6, v12
	s_cbranch_vccz .LBB143_2380
; %bb.2378:
	global_load_b64 v[15:16], v[6:7], off
	s_mov_b32 s0, 0
	s_waitcnt vmcnt(0)
	v_cmp_neq_f64_e32 vcc_lo, 0, v[15:16]
	s_and_b32 s12, vcc_lo, exec_lo
	s_branch .LBB143_2381
.LBB143_2379:
	s_mov_b32 s0, -1
                                        ; implicit-def: $sgpr12
	s_branch .LBB143_2384
.LBB143_2380:
	s_mov_b32 s0, -1
                                        ; implicit-def: $sgpr12
.LBB143_2381:
	s_delay_alu instid0(SALU_CYCLE_1)
	s_and_not1_b32 vcc_lo, exec_lo, s0
	s_cbranch_vccnz .LBB143_2383
; %bb.2382:
	global_load_b32 v8, v[6:7], off
	s_and_not1_b32 s0, s12, exec_lo
	s_waitcnt vmcnt(0)
	v_cmp_neq_f32_e32 vcc_lo, 0, v8
	s_and_b32 s12, vcc_lo, exec_lo
	s_delay_alu instid0(SALU_CYCLE_1)
	s_or_b32 s12, s0, s12
.LBB143_2383:
	s_mov_b32 s0, 0
.LBB143_2384:
	s_delay_alu instid0(SALU_CYCLE_1)
	s_and_not1_b32 vcc_lo, exec_lo, s0
	s_cbranch_vccnz .LBB143_2386
; %bb.2385:
	global_load_u16 v8, v[6:7], off
	s_and_not1_b32 s0, s12, exec_lo
	s_waitcnt vmcnt(0)
	v_and_b32_e32 v8, 0x7fff, v8
	s_delay_alu instid0(VALU_DEP_1) | instskip(SKIP_1) | instid1(SALU_CYCLE_1)
	v_cmp_ne_u16_e32 vcc_lo, 0, v8
	s_and_b32 s12, vcc_lo, exec_lo
	s_or_b32 s12, s0, s12
.LBB143_2386:
	s_mov_b32 s0, 0
.LBB143_2387:
	s_delay_alu instid0(SALU_CYCLE_1)
	s_and_not1_b32 vcc_lo, exec_lo, s0
	s_cbranch_vccnz .LBB143_2407
; %bb.2388:
	v_cmp_gt_i16_e32 vcc_lo, 2, v12
	s_cbranch_vccnz .LBB143_2392
; %bb.2389:
	v_cmp_gt_i16_e32 vcc_lo, 3, v12
	s_cbranch_vccnz .LBB143_2393
; %bb.2390:
	v_cmp_lt_i16_e32 vcc_lo, 3, v12
	s_cbranch_vccz .LBB143_2394
; %bb.2391:
	global_load_b64 v[15:16], v[6:7], off
	s_mov_b32 s0, 0
	s_waitcnt vmcnt(0)
	v_cmp_ne_u64_e32 vcc_lo, 0, v[15:16]
	s_and_b32 s12, vcc_lo, exec_lo
	s_branch .LBB143_2395
.LBB143_2392:
	s_mov_b32 s0, -1
                                        ; implicit-def: $sgpr12
	s_branch .LBB143_2401
.LBB143_2393:
	s_mov_b32 s0, -1
                                        ; implicit-def: $sgpr12
	s_branch .LBB143_2398
.LBB143_2394:
	s_mov_b32 s0, -1
                                        ; implicit-def: $sgpr12
.LBB143_2395:
	s_delay_alu instid0(SALU_CYCLE_1)
	s_and_not1_b32 vcc_lo, exec_lo, s0
	s_cbranch_vccnz .LBB143_2397
; %bb.2396:
	global_load_b32 v8, v[6:7], off
	s_and_not1_b32 s0, s12, exec_lo
	s_waitcnt vmcnt(0)
	v_cmp_ne_u32_e32 vcc_lo, 0, v8
	s_and_b32 s12, vcc_lo, exec_lo
	s_delay_alu instid0(SALU_CYCLE_1)
	s_or_b32 s12, s0, s12
.LBB143_2397:
	s_mov_b32 s0, 0
.LBB143_2398:
	s_delay_alu instid0(SALU_CYCLE_1)
	s_and_not1_b32 vcc_lo, exec_lo, s0
	s_cbranch_vccnz .LBB143_2400
; %bb.2399:
	global_load_u16 v8, v[6:7], off
	s_and_not1_b32 s0, s12, exec_lo
	s_waitcnt vmcnt(0)
	v_cmp_ne_u16_e32 vcc_lo, 0, v8
	s_and_b32 s12, vcc_lo, exec_lo
	s_delay_alu instid0(SALU_CYCLE_1)
	s_or_b32 s12, s0, s12
.LBB143_2400:
	s_mov_b32 s0, 0
.LBB143_2401:
	s_delay_alu instid0(SALU_CYCLE_1)
	s_and_not1_b32 vcc_lo, exec_lo, s0
	s_cbranch_vccnz .LBB143_2407
; %bb.2402:
	v_cmp_lt_i16_e32 vcc_lo, 0, v12
	s_mov_b32 s0, 0
	s_cbranch_vccz .LBB143_2404
; %bb.2403:
	global_load_u8 v8, v[6:7], off
	s_waitcnt vmcnt(0)
	v_cmp_ne_u16_e32 vcc_lo, 0, v8
	s_and_b32 s12, vcc_lo, exec_lo
	s_branch .LBB143_2405
.LBB143_2404:
	s_mov_b32 s0, -1
                                        ; implicit-def: $sgpr12
.LBB143_2405:
	s_delay_alu instid0(SALU_CYCLE_1)
	s_and_not1_b32 vcc_lo, exec_lo, s0
	s_cbranch_vccnz .LBB143_2407
; %bb.2406:
	global_load_u8 v6, v[6:7], off
	s_and_not1_b32 s0, s12, exec_lo
	s_waitcnt vmcnt(0)
	v_cmp_ne_u16_e32 vcc_lo, 0, v6
	s_and_b32 s12, vcc_lo, exec_lo
	s_delay_alu instid0(SALU_CYCLE_1)
	s_or_b32 s12, s0, s12
.LBB143_2407:
	s_mov_b32 s14, -1
.LBB143_2408:
	s_delay_alu instid0(SALU_CYCLE_1)
	s_and_not1_b32 vcc_lo, exec_lo, s14
	s_cbranch_vccnz .LBB143_3064
; %bb.2409:
	v_cmp_gt_i16_e32 vcc_lo, 11, v14
	s_waitcnt vmcnt(0)
	v_add_co_u32 v5, s0, s6, v5
	s_delay_alu instid0(VALU_DEP_1)
	v_add_co_ci_u32_e64 v6, null, s7, 0, s0
	s_mov_b32 s7, 0
	s_cbranch_vccnz .LBB143_2416
; %bb.2410:
	v_cmp_lt_i16_e32 vcc_lo, 25, v14
	s_mov_b32 s6, 0
	s_cbranch_vccz .LBB143_2417
; %bb.2411:
	v_cmp_lt_i16_e32 vcc_lo, 28, v14
	s_cbranch_vccz .LBB143_2418
; %bb.2412:
	v_cmp_lt_i16_e32 vcc_lo, 43, v14
	;; [unrolled: 3-line block ×3, first 2 shown]
	s_cbranch_vccz .LBB143_2422
; %bb.2414:
	v_cmp_eq_u16_e32 vcc_lo, 46, v14
	s_mov_b32 s13, 0
	s_cbranch_vccz .LBB143_2425
; %bb.2415:
	global_load_b32 v7, v[5:6], off
	s_mov_b32 s0, 0
	s_mov_b32 s7, -1
	s_branch .LBB143_2427
.LBB143_2416:
	s_mov_b32 s0, -1
                                        ; implicit-def: $vgpr7
	s_branch .LBB143_2493
.LBB143_2417:
	s_mov_b32 s13, -1
	s_mov_b32 s0, 0
                                        ; implicit-def: $vgpr7
	s_branch .LBB143_2456
.LBB143_2418:
	s_mov_b32 s13, -1
	s_mov_b32 s0, 0
                                        ; implicit-def: $vgpr7
	s_branch .LBB143_2437
.LBB143_2419:
	s_mov_b32 s13, -1
	s_mov_b32 s0, 0
                                        ; implicit-def: $vgpr7
	s_branch .LBB143_2432
.LBB143_2420:
	s_cbranch_execnz .LBB143_2423
; %bb.2421:
	s_mov_b32 s14, 0
	s_and_not1_b32 s12, s12, exec_lo
	s_or_b32 s1, s1, exec_lo
	s_cbranch_execz .LBB143_2357
	s_branch .LBB143_2358
.LBB143_2422:
	s_mov_b32 s13, -1
	s_mov_b32 s0, 0
	s_branch .LBB143_2426
.LBB143_2423:
	s_trap 2
	s_sendmsg_rtn_b32 s0, sendmsg(MSG_RTN_GET_DOORBELL)
	s_mov_b32 ttmp2, m0
	s_waitcnt lgkmcnt(0)
	s_and_b32 s0, s0, 0x3ff
	s_delay_alu instid0(SALU_CYCLE_1) | instskip(NEXT) | instid1(SALU_CYCLE_1)
	s_bitset1_b32 s0, 10
	s_mov_b32 m0, s0
	s_sendmsg sendmsg(MSG_INTERRUPT)
	s_mov_b32 m0, ttmp2
.LBB143_2424:                           ; =>This Inner Loop Header: Depth=1
	s_sethalt 5
	s_branch .LBB143_2424
.LBB143_2425:
	s_mov_b32 s0, -1
.LBB143_2426:
                                        ; implicit-def: $vgpr7
.LBB143_2427:
	s_and_b32 vcc_lo, exec_lo, s13
	s_cbranch_vccz .LBB143_2431
; %bb.2428:
	v_cmp_eq_u16_e32 vcc_lo, 44, v14
	s_cbranch_vccz .LBB143_2430
; %bb.2429:
	global_load_u8 v7, v[5:6], off
	s_mov_b32 s0, 0
	s_mov_b32 s7, -1
	s_waitcnt vmcnt(0)
	v_lshlrev_b32_e32 v8, 23, v7
	v_cmp_ne_u32_e32 vcc_lo, 0xff, v7
	s_delay_alu instid0(VALU_DEP_2) | instskip(SKIP_1) | instid1(VALU_DEP_2)
	v_cndmask_b32_e32 v8, 0x7f800001, v8, vcc_lo
	v_cmp_ne_u32_e32 vcc_lo, 0, v7
	v_cndmask_b32_e32 v7, 0x400000, v8, vcc_lo
	s_delay_alu instid0(VALU_DEP_1) | instskip(SKIP_1) | instid1(VALU_DEP_2)
	v_add_nc_u32_e32 v8, 0x7fff, v7
	v_cmp_o_f32_e32 vcc_lo, v7, v7
	v_lshrrev_b32_e32 v8, 16, v8
	s_delay_alu instid0(VALU_DEP_1)
	v_cndmask_b32_e32 v7, 0x7fc0, v8, vcc_lo
	s_branch .LBB143_2431
.LBB143_2430:
	s_mov_b32 s0, -1
                                        ; implicit-def: $vgpr7
.LBB143_2431:
	s_mov_b32 s13, 0
.LBB143_2432:
	s_delay_alu instid0(SALU_CYCLE_1)
	s_and_b32 vcc_lo, exec_lo, s13
	s_cbranch_vccz .LBB143_2436
; %bb.2433:
	v_cmp_eq_u16_e32 vcc_lo, 29, v14
	s_cbranch_vccz .LBB143_2435
; %bb.2434:
	global_load_b64 v[7:8], v[5:6], off
	s_mov_b32 s0, 0
	s_mov_b32 s7, -1
	s_mov_b32 s13, 0
	s_waitcnt vmcnt(0)
	v_clz_i32_u32_e32 v10, v8
	s_delay_alu instid0(VALU_DEP_1) | instskip(NEXT) | instid1(VALU_DEP_1)
	v_min_u32_e32 v10, 32, v10
	v_lshlrev_b64 v[7:8], v10, v[7:8]
	s_delay_alu instid0(VALU_DEP_1) | instskip(NEXT) | instid1(VALU_DEP_1)
	v_min_u32_e32 v7, 1, v7
	v_or_b32_e32 v7, v8, v7
	v_sub_nc_u32_e32 v8, 32, v10
	s_delay_alu instid0(VALU_DEP_2) | instskip(NEXT) | instid1(VALU_DEP_1)
	v_cvt_f32_u32_e32 v7, v7
	v_ldexp_f32 v7, v7, v8
	s_delay_alu instid0(VALU_DEP_1) | instskip(NEXT) | instid1(VALU_DEP_1)
	v_bfe_u32 v8, v7, 16, 1
	v_add3_u32 v7, v7, v8, 0x7fff
	s_delay_alu instid0(VALU_DEP_1)
	v_lshrrev_b32_e32 v7, 16, v7
	s_branch .LBB143_2437
.LBB143_2435:
	s_mov_b32 s0, -1
                                        ; implicit-def: $vgpr7
.LBB143_2436:
	s_mov_b32 s13, 0
.LBB143_2437:
	s_delay_alu instid0(SALU_CYCLE_1)
	s_and_b32 vcc_lo, exec_lo, s13
	s_cbranch_vccz .LBB143_2455
; %bb.2438:
	v_cmp_gt_i16_e32 vcc_lo, 27, v14
	s_cbranch_vccnz .LBB143_2441
; %bb.2439:
	v_cmp_lt_i16_e32 vcc_lo, 27, v14
	s_cbranch_vccz .LBB143_2442
; %bb.2440:
	global_load_b32 v7, v[5:6], off
	s_mov_b32 s7, 0
	s_waitcnt vmcnt(0)
	v_cvt_f32_u32_e32 v7, v7
	s_delay_alu instid0(VALU_DEP_1) | instskip(NEXT) | instid1(VALU_DEP_1)
	v_bfe_u32 v8, v7, 16, 1
	v_add3_u32 v7, v7, v8, 0x7fff
	s_delay_alu instid0(VALU_DEP_1)
	v_lshrrev_b32_e32 v7, 16, v7
	s_branch .LBB143_2443
.LBB143_2441:
	s_mov_b32 s7, -1
                                        ; implicit-def: $vgpr7
	s_branch .LBB143_2446
.LBB143_2442:
	s_mov_b32 s7, -1
                                        ; implicit-def: $vgpr7
.LBB143_2443:
	s_delay_alu instid0(SALU_CYCLE_1)
	s_and_not1_b32 vcc_lo, exec_lo, s7
	s_cbranch_vccnz .LBB143_2445
; %bb.2444:
	global_load_u16 v7, v[5:6], off
	s_waitcnt vmcnt(0)
	v_cvt_f32_u32_e32 v7, v7
	s_delay_alu instid0(VALU_DEP_1) | instskip(NEXT) | instid1(VALU_DEP_1)
	v_bfe_u32 v8, v7, 16, 1
	v_add3_u32 v7, v7, v8, 0x7fff
	s_delay_alu instid0(VALU_DEP_1)
	v_lshrrev_b32_e32 v7, 16, v7
.LBB143_2445:
	s_mov_b32 s7, 0
.LBB143_2446:
	s_delay_alu instid0(SALU_CYCLE_1)
	s_and_not1_b32 vcc_lo, exec_lo, s7
	s_cbranch_vccnz .LBB143_2454
; %bb.2447:
	global_load_u8 v7, v[5:6], off
	s_mov_b32 s7, 0
	s_mov_b32 s14, exec_lo
                                        ; implicit-def: $sgpr13
	s_waitcnt vmcnt(0)
	v_cmpx_lt_i16_e32 0x7f, v7
	s_xor_b32 s14, exec_lo, s14
	s_cbranch_execz .LBB143_2468
; %bb.2448:
	s_mov_b32 s7, -1
	s_mov_b32 s15, exec_lo
                                        ; implicit-def: $sgpr13
	v_cmpx_eq_u16_e32 0x80, v7
; %bb.2449:
	s_mov_b32 s13, 0x7f800001
	s_xor_b32 s7, exec_lo, -1
; %bb.2450:
	s_or_b32 exec_lo, exec_lo, s15
	s_delay_alu instid0(SALU_CYCLE_1)
	s_and_b32 s7, s7, exec_lo
	s_or_saveexec_b32 s14, s14
	v_mov_b32_e32 v8, s13
	s_xor_b32 exec_lo, exec_lo, s14
	s_cbranch_execnz .LBB143_2469
.LBB143_2451:
	s_or_b32 exec_lo, exec_lo, s14
	s_and_saveexec_b32 s13, s7
	s_cbranch_execz .LBB143_2453
.LBB143_2452:
	v_and_b32_e32 v8, 0xffff, v7
	s_delay_alu instid0(VALU_DEP_1) | instskip(NEXT) | instid1(VALU_DEP_1)
	v_and_b32_e32 v10, 7, v8
	v_clz_i32_u32_e32 v15, v10
	s_delay_alu instid0(VALU_DEP_1) | instskip(NEXT) | instid1(VALU_DEP_1)
	v_min_u32_e32 v15, 32, v15
	v_subrev_nc_u32_e32 v16, 28, v15
	v_sub_nc_u32_e32 v15, 29, v15
	s_delay_alu instid0(VALU_DEP_2) | instskip(SKIP_1) | instid1(VALU_DEP_2)
	v_lshlrev_b32_e32 v16, v16, v8
	v_bfe_u32 v8, v8, 3, 4
	v_and_b32_e32 v16, 7, v16
	s_delay_alu instid0(VALU_DEP_2) | instskip(NEXT) | instid1(VALU_DEP_2)
	v_cmp_eq_u32_e32 vcc_lo, 0, v8
	v_dual_cndmask_b32 v10, v10, v16 :: v_dual_lshlrev_b32 v7, 24, v7
	v_cndmask_b32_e32 v8, v8, v15, vcc_lo
	s_delay_alu instid0(VALU_DEP_2) | instskip(NEXT) | instid1(VALU_DEP_3)
	v_and_b32_e32 v7, 0x80000000, v7
	v_lshlrev_b32_e32 v10, 20, v10
	s_delay_alu instid0(VALU_DEP_3) | instskip(NEXT) | instid1(VALU_DEP_1)
	v_lshl_add_u32 v8, v8, 23, 0x3b800000
	v_or3_b32 v8, v7, v8, v10
.LBB143_2453:
	s_or_b32 exec_lo, exec_lo, s13
	s_delay_alu instid0(VALU_DEP_1) | instskip(SKIP_1) | instid1(VALU_DEP_2)
	v_bfe_u32 v7, v8, 16, 1
	v_cmp_o_f32_e32 vcc_lo, v8, v8
	v_add3_u32 v7, v8, v7, 0x7fff
	s_delay_alu instid0(VALU_DEP_1) | instskip(NEXT) | instid1(VALU_DEP_1)
	v_lshrrev_b32_e32 v7, 16, v7
	v_cndmask_b32_e32 v7, 0x7fc0, v7, vcc_lo
.LBB143_2454:
	s_mov_b32 s7, -1
.LBB143_2455:
	s_mov_b32 s13, 0
.LBB143_2456:
	s_delay_alu instid0(SALU_CYCLE_1)
	s_and_b32 vcc_lo, exec_lo, s13
	s_cbranch_vccz .LBB143_2489
; %bb.2457:
	v_cmp_lt_i16_e32 vcc_lo, 22, v14
	s_cbranch_vccz .LBB143_2467
; %bb.2458:
	v_cmp_gt_i16_e32 vcc_lo, 24, v14
	s_cbranch_vccnz .LBB143_2470
; %bb.2459:
	v_cmp_lt_i16_e32 vcc_lo, 24, v14
	s_cbranch_vccz .LBB143_2471
; %bb.2460:
	global_load_u8 v7, v[5:6], off
	s_mov_b32 s13, exec_lo
                                        ; implicit-def: $sgpr7
	s_waitcnt vmcnt(0)
	v_cmpx_lt_i16_e32 0x7f, v7
	s_xor_b32 s13, exec_lo, s13
	s_cbranch_execz .LBB143_2483
; %bb.2461:
	s_mov_b32 s6, -1
	s_mov_b32 s14, exec_lo
                                        ; implicit-def: $sgpr7
	v_cmpx_eq_u16_e32 0x80, v7
; %bb.2462:
	s_mov_b32 s7, 0x7f800001
	s_xor_b32 s6, exec_lo, -1
; %bb.2463:
	s_or_b32 exec_lo, exec_lo, s14
	s_delay_alu instid0(SALU_CYCLE_1)
	s_and_b32 s6, s6, exec_lo
	s_or_saveexec_b32 s13, s13
	v_mov_b32_e32 v8, s7
	s_xor_b32 exec_lo, exec_lo, s13
	s_cbranch_execnz .LBB143_2484
.LBB143_2464:
	s_or_b32 exec_lo, exec_lo, s13
	s_and_saveexec_b32 s7, s6
	s_cbranch_execz .LBB143_2466
.LBB143_2465:
	v_and_b32_e32 v8, 0xffff, v7
	s_delay_alu instid0(VALU_DEP_1) | instskip(NEXT) | instid1(VALU_DEP_1)
	v_and_b32_e32 v10, 3, v8
	v_clz_i32_u32_e32 v15, v10
	s_delay_alu instid0(VALU_DEP_1) | instskip(NEXT) | instid1(VALU_DEP_1)
	v_min_u32_e32 v15, 32, v15
	v_subrev_nc_u32_e32 v16, 29, v15
	v_sub_nc_u32_e32 v15, 30, v15
	s_delay_alu instid0(VALU_DEP_2) | instskip(SKIP_1) | instid1(VALU_DEP_2)
	v_lshlrev_b32_e32 v16, v16, v8
	v_bfe_u32 v8, v8, 2, 5
	v_and_b32_e32 v16, 3, v16
	s_delay_alu instid0(VALU_DEP_2) | instskip(NEXT) | instid1(VALU_DEP_2)
	v_cmp_eq_u32_e32 vcc_lo, 0, v8
	v_dual_cndmask_b32 v10, v10, v16 :: v_dual_lshlrev_b32 v7, 24, v7
	v_cndmask_b32_e32 v8, v8, v15, vcc_lo
	s_delay_alu instid0(VALU_DEP_2) | instskip(NEXT) | instid1(VALU_DEP_3)
	v_and_b32_e32 v7, 0x80000000, v7
	v_lshlrev_b32_e32 v10, 21, v10
	s_delay_alu instid0(VALU_DEP_3) | instskip(NEXT) | instid1(VALU_DEP_1)
	v_lshl_add_u32 v8, v8, 23, 0x37800000
	v_or3_b32 v8, v7, v8, v10
.LBB143_2466:
	s_or_b32 exec_lo, exec_lo, s7
	s_delay_alu instid0(VALU_DEP_1) | instskip(SKIP_2) | instid1(VALU_DEP_2)
	v_bfe_u32 v7, v8, 16, 1
	v_cmp_o_f32_e32 vcc_lo, v8, v8
	s_mov_b32 s6, 0
	v_add3_u32 v7, v8, v7, 0x7fff
	s_delay_alu instid0(VALU_DEP_1) | instskip(NEXT) | instid1(VALU_DEP_1)
	v_lshrrev_b32_e32 v7, 16, v7
	v_cndmask_b32_e32 v7, 0x7fc0, v7, vcc_lo
	s_branch .LBB143_2472
.LBB143_2467:
	s_mov_b32 s6, -1
                                        ; implicit-def: $vgpr7
	s_branch .LBB143_2478
.LBB143_2468:
	s_or_saveexec_b32 s14, s14
	v_mov_b32_e32 v8, s13
	s_xor_b32 exec_lo, exec_lo, s14
	s_cbranch_execz .LBB143_2451
.LBB143_2469:
	v_cmp_ne_u16_e32 vcc_lo, 0, v7
	v_mov_b32_e32 v8, 0
	s_and_not1_b32 s7, s7, exec_lo
	s_and_b32 s13, vcc_lo, exec_lo
	s_delay_alu instid0(SALU_CYCLE_1)
	s_or_b32 s7, s7, s13
	s_or_b32 exec_lo, exec_lo, s14
	s_and_saveexec_b32 s13, s7
	s_cbranch_execnz .LBB143_2452
	s_branch .LBB143_2453
.LBB143_2470:
	s_mov_b32 s6, -1
                                        ; implicit-def: $vgpr7
	s_branch .LBB143_2475
.LBB143_2471:
	s_mov_b32 s6, -1
                                        ; implicit-def: $vgpr7
.LBB143_2472:
	s_delay_alu instid0(SALU_CYCLE_1)
	s_and_b32 vcc_lo, exec_lo, s6
	s_cbranch_vccz .LBB143_2474
; %bb.2473:
	global_load_u8 v7, v[5:6], off
	s_waitcnt vmcnt(0)
	v_lshlrev_b32_e32 v7, 24, v7
	s_delay_alu instid0(VALU_DEP_1) | instskip(NEXT) | instid1(VALU_DEP_1)
	v_and_b32_e32 v8, 0x7f000000, v7
	v_clz_i32_u32_e32 v10, v8
	v_add_nc_u32_e32 v16, 0x1000000, v8
	v_cmp_ne_u32_e32 vcc_lo, 0, v8
	s_delay_alu instid0(VALU_DEP_3) | instskip(NEXT) | instid1(VALU_DEP_1)
	v_min_u32_e32 v10, 32, v10
	v_sub_nc_u32_e64 v10, v10, 4 clamp
	s_delay_alu instid0(VALU_DEP_1) | instskip(SKIP_1) | instid1(VALU_DEP_2)
	v_lshlrev_b32_e32 v15, v10, v8
	v_lshlrev_b32_e32 v10, 23, v10
	v_lshrrev_b32_e32 v15, 4, v15
	s_delay_alu instid0(VALU_DEP_1) | instskip(SKIP_1) | instid1(VALU_DEP_2)
	v_sub_nc_u32_e32 v10, v15, v10
	v_ashrrev_i32_e32 v15, 8, v16
	v_add_nc_u32_e32 v10, 0x3c000000, v10
	s_delay_alu instid0(VALU_DEP_1) | instskip(NEXT) | instid1(VALU_DEP_1)
	v_and_or_b32 v10, 0x7f800000, v15, v10
	v_cndmask_b32_e32 v8, 0, v10, vcc_lo
	s_delay_alu instid0(VALU_DEP_1) | instskip(SKIP_1) | instid1(VALU_DEP_2)
	v_and_or_b32 v7, 0x80000000, v7, v8
	v_bfe_u32 v8, v8, 16, 1
	v_cmp_o_f32_e32 vcc_lo, v7, v7
	s_delay_alu instid0(VALU_DEP_2) | instskip(NEXT) | instid1(VALU_DEP_1)
	v_add3_u32 v8, v7, v8, 0x7fff
	v_lshrrev_b32_e32 v8, 16, v8
	s_delay_alu instid0(VALU_DEP_1)
	v_cndmask_b32_e32 v7, 0x7fc0, v8, vcc_lo
.LBB143_2474:
	s_mov_b32 s6, 0
.LBB143_2475:
	s_delay_alu instid0(SALU_CYCLE_1)
	s_and_not1_b32 vcc_lo, exec_lo, s6
	s_cbranch_vccnz .LBB143_2477
; %bb.2476:
	global_load_u8 v7, v[5:6], off
	s_waitcnt vmcnt(0)
	v_lshlrev_b32_e32 v8, 25, v7
	v_lshlrev_b16 v7, 8, v7
	s_delay_alu instid0(VALU_DEP_2) | instskip(NEXT) | instid1(VALU_DEP_2)
	v_lshrrev_b32_e32 v10, 4, v8
	v_and_or_b32 v15, 0x7f00, v7, 0.5
	v_cmp_gt_u32_e32 vcc_lo, 0x8000000, v8
	v_bfe_i32 v7, v7, 0, 16
	s_delay_alu instid0(VALU_DEP_4) | instskip(NEXT) | instid1(VALU_DEP_1)
	v_or_b32_e32 v10, 0x70000000, v10
	v_dual_add_f32 v15, -0.5, v15 :: v_dual_mul_f32 v10, 0x7800000, v10
	s_delay_alu instid0(VALU_DEP_1) | instskip(NEXT) | instid1(VALU_DEP_1)
	v_cndmask_b32_e32 v8, v10, v15, vcc_lo
	v_and_or_b32 v7, 0x80000000, v7, v8
	v_bfe_u32 v8, v8, 16, 1
	s_delay_alu instid0(VALU_DEP_2) | instskip(NEXT) | instid1(VALU_DEP_2)
	v_cmp_o_f32_e32 vcc_lo, v7, v7
	v_add3_u32 v8, v7, v8, 0x7fff
	s_delay_alu instid0(VALU_DEP_1) | instskip(NEXT) | instid1(VALU_DEP_1)
	v_lshrrev_b32_e32 v8, 16, v8
	v_cndmask_b32_e32 v7, 0x7fc0, v8, vcc_lo
.LBB143_2477:
	s_mov_b32 s6, 0
	s_mov_b32 s7, -1
.LBB143_2478:
	s_and_not1_b32 vcc_lo, exec_lo, s6
	s_mov_b32 s6, 0
	s_cbranch_vccnz .LBB143_2489
; %bb.2479:
	v_cmp_lt_i16_e32 vcc_lo, 14, v14
	s_cbranch_vccz .LBB143_2482
; %bb.2480:
	v_cmp_eq_u16_e32 vcc_lo, 15, v14
	s_cbranch_vccz .LBB143_2485
; %bb.2481:
	global_load_u16 v7, v[5:6], off
	s_mov_b32 s0, 0
	s_mov_b32 s7, -1
	s_branch .LBB143_2487
.LBB143_2482:
	s_mov_b32 s6, -1
	s_branch .LBB143_2486
.LBB143_2483:
	s_or_saveexec_b32 s13, s13
	v_mov_b32_e32 v8, s7
	s_xor_b32 exec_lo, exec_lo, s13
	s_cbranch_execz .LBB143_2464
.LBB143_2484:
	v_cmp_ne_u16_e32 vcc_lo, 0, v7
	v_mov_b32_e32 v8, 0
	s_and_not1_b32 s6, s6, exec_lo
	s_and_b32 s7, vcc_lo, exec_lo
	s_delay_alu instid0(SALU_CYCLE_1)
	s_or_b32 s6, s6, s7
	s_or_b32 exec_lo, exec_lo, s13
	s_and_saveexec_b32 s7, s6
	s_cbranch_execnz .LBB143_2465
	s_branch .LBB143_2466
.LBB143_2485:
	s_mov_b32 s0, -1
.LBB143_2486:
                                        ; implicit-def: $vgpr7
.LBB143_2487:
	s_and_b32 vcc_lo, exec_lo, s6
	s_mov_b32 s6, 0
	s_cbranch_vccz .LBB143_2489
; %bb.2488:
	v_cmp_ne_u16_e64 s0, 11, v14
	s_mov_b32 s6, -1
                                        ; implicit-def: $vgpr7
.LBB143_2489:
	s_delay_alu instid0(VALU_DEP_1)
	s_and_b32 vcc_lo, exec_lo, s0
	s_cbranch_vccnz .LBB143_2554
; %bb.2490:
	s_and_not1_b32 vcc_lo, exec_lo, s6
	s_cbranch_vccnz .LBB143_2492
.LBB143_2491:
	global_load_u8 v7, v[5:6], off
	s_mov_b32 s7, -1
	s_waitcnt vmcnt(0)
	v_cmp_ne_u16_e32 vcc_lo, 0, v7
	v_cndmask_b32_e64 v7, 0, 1.0, vcc_lo
	s_delay_alu instid0(VALU_DEP_1)
	v_lshrrev_b32_e32 v7, 16, v7
.LBB143_2492:
	s_mov_b32 s0, 0
.LBB143_2493:
	s_delay_alu instid0(SALU_CYCLE_1)
	s_and_b32 vcc_lo, exec_lo, s0
	s_cbranch_vccz .LBB143_2542
; %bb.2494:
	v_cmp_gt_i16_e32 vcc_lo, 5, v14
	s_cbranch_vccnz .LBB143_2499
; %bb.2495:
	v_cmp_gt_i16_e32 vcc_lo, 8, v14
	s_cbranch_vccnz .LBB143_2500
	;; [unrolled: 3-line block ×3, first 2 shown]
; %bb.2497:
	v_cmp_lt_i16_e32 vcc_lo, 9, v14
	s_cbranch_vccz .LBB143_2502
; %bb.2498:
	global_load_b64 v[7:8], v[5:6], off
	s_mov_b32 s0, 0
	s_waitcnt vmcnt(0)
	v_cvt_f32_f64_e32 v7, v[7:8]
	s_delay_alu instid0(VALU_DEP_1) | instskip(SKIP_1) | instid1(VALU_DEP_2)
	v_bfe_u32 v8, v7, 16, 1
	v_cmp_o_f32_e32 vcc_lo, v7, v7
	v_add3_u32 v8, v7, v8, 0x7fff
	s_delay_alu instid0(VALU_DEP_1) | instskip(NEXT) | instid1(VALU_DEP_1)
	v_lshrrev_b32_e32 v8, 16, v8
	v_cndmask_b32_e32 v7, 0x7fc0, v8, vcc_lo
	s_branch .LBB143_2503
.LBB143_2499:
	s_mov_b32 s0, -1
                                        ; implicit-def: $vgpr7
	s_branch .LBB143_2521
.LBB143_2500:
	s_mov_b32 s0, -1
                                        ; implicit-def: $vgpr7
	s_branch .LBB143_2509
.LBB143_2501:
	s_mov_b32 s0, -1
                                        ; implicit-def: $vgpr7
	s_branch .LBB143_2506
.LBB143_2502:
	s_mov_b32 s0, -1
                                        ; implicit-def: $vgpr7
.LBB143_2503:
	s_delay_alu instid0(SALU_CYCLE_1)
	s_and_not1_b32 vcc_lo, exec_lo, s0
	s_cbranch_vccnz .LBB143_2505
; %bb.2504:
	global_load_b32 v7, v[5:6], off
	s_waitcnt vmcnt(0)
	v_bfe_u32 v8, v7, 16, 1
	v_cmp_o_f32_e32 vcc_lo, v7, v7
	s_delay_alu instid0(VALU_DEP_2) | instskip(NEXT) | instid1(VALU_DEP_1)
	v_add3_u32 v8, v7, v8, 0x7fff
	v_lshrrev_b32_e32 v8, 16, v8
	s_delay_alu instid0(VALU_DEP_1)
	v_cndmask_b32_e32 v7, 0x7fc0, v8, vcc_lo
.LBB143_2505:
	s_mov_b32 s0, 0
.LBB143_2506:
	s_delay_alu instid0(SALU_CYCLE_1)
	s_and_not1_b32 vcc_lo, exec_lo, s0
	s_cbranch_vccnz .LBB143_2508
; %bb.2507:
	global_load_b32 v7, v[5:6], off
	s_waitcnt vmcnt(0)
	v_cvt_f32_f16_e32 v8, v7
	v_cmp_o_f16_e32 vcc_lo, v7, v7
	s_delay_alu instid0(VALU_DEP_2) | instskip(NEXT) | instid1(VALU_DEP_1)
	v_bfe_u32 v10, v8, 16, 1
	v_add3_u32 v8, v8, v10, 0x7fff
	s_delay_alu instid0(VALU_DEP_1) | instskip(NEXT) | instid1(VALU_DEP_1)
	v_lshrrev_b32_e32 v8, 16, v8
	v_cndmask_b32_e32 v7, 0x7fc0, v8, vcc_lo
.LBB143_2508:
	s_mov_b32 s0, 0
.LBB143_2509:
	s_delay_alu instid0(SALU_CYCLE_1)
	s_and_not1_b32 vcc_lo, exec_lo, s0
	s_cbranch_vccnz .LBB143_2520
; %bb.2510:
	v_cmp_gt_i16_e32 vcc_lo, 6, v14
	s_cbranch_vccnz .LBB143_2513
; %bb.2511:
	v_cmp_lt_i16_e32 vcc_lo, 6, v14
	s_cbranch_vccz .LBB143_2514
; %bb.2512:
	global_load_b64 v[7:8], v[5:6], off
	s_mov_b32 s0, 0
	s_waitcnt vmcnt(0)
	v_cvt_f32_f64_e32 v7, v[7:8]
	s_delay_alu instid0(VALU_DEP_1) | instskip(SKIP_1) | instid1(VALU_DEP_2)
	v_bfe_u32 v8, v7, 16, 1
	v_cmp_o_f32_e32 vcc_lo, v7, v7
	v_add3_u32 v8, v7, v8, 0x7fff
	s_delay_alu instid0(VALU_DEP_1) | instskip(NEXT) | instid1(VALU_DEP_1)
	v_lshrrev_b32_e32 v8, 16, v8
	v_cndmask_b32_e32 v7, 0x7fc0, v8, vcc_lo
	s_branch .LBB143_2515
.LBB143_2513:
	s_mov_b32 s0, -1
                                        ; implicit-def: $vgpr7
	s_branch .LBB143_2518
.LBB143_2514:
	s_mov_b32 s0, -1
                                        ; implicit-def: $vgpr7
.LBB143_2515:
	s_delay_alu instid0(SALU_CYCLE_1)
	s_and_not1_b32 vcc_lo, exec_lo, s0
	s_cbranch_vccnz .LBB143_2517
; %bb.2516:
	global_load_b32 v7, v[5:6], off
	s_waitcnt vmcnt(0)
	v_bfe_u32 v8, v7, 16, 1
	v_cmp_o_f32_e32 vcc_lo, v7, v7
	s_delay_alu instid0(VALU_DEP_2) | instskip(NEXT) | instid1(VALU_DEP_1)
	v_add3_u32 v8, v7, v8, 0x7fff
	v_lshrrev_b32_e32 v8, 16, v8
	s_delay_alu instid0(VALU_DEP_1)
	v_cndmask_b32_e32 v7, 0x7fc0, v8, vcc_lo
.LBB143_2517:
	s_mov_b32 s0, 0
.LBB143_2518:
	s_delay_alu instid0(SALU_CYCLE_1)
	s_and_not1_b32 vcc_lo, exec_lo, s0
	s_cbranch_vccnz .LBB143_2520
; %bb.2519:
	global_load_u16 v7, v[5:6], off
	s_waitcnt vmcnt(0)
	v_cvt_f32_f16_e32 v8, v7
	v_cmp_o_f16_e32 vcc_lo, v7, v7
	s_delay_alu instid0(VALU_DEP_2) | instskip(NEXT) | instid1(VALU_DEP_1)
	v_bfe_u32 v10, v8, 16, 1
	v_add3_u32 v8, v8, v10, 0x7fff
	s_delay_alu instid0(VALU_DEP_1) | instskip(NEXT) | instid1(VALU_DEP_1)
	v_lshrrev_b32_e32 v8, 16, v8
	v_cndmask_b32_e32 v7, 0x7fc0, v8, vcc_lo
.LBB143_2520:
	s_mov_b32 s0, 0
.LBB143_2521:
	s_delay_alu instid0(SALU_CYCLE_1)
	s_and_not1_b32 vcc_lo, exec_lo, s0
	s_cbranch_vccnz .LBB143_2541
; %bb.2522:
	v_cmp_gt_i16_e32 vcc_lo, 2, v14
	s_cbranch_vccnz .LBB143_2526
; %bb.2523:
	v_cmp_gt_i16_e32 vcc_lo, 3, v14
	s_cbranch_vccnz .LBB143_2527
; %bb.2524:
	v_cmp_lt_i16_e32 vcc_lo, 3, v14
	s_cbranch_vccz .LBB143_2528
; %bb.2525:
	global_load_b64 v[7:8], v[5:6], off
	s_mov_b32 s0, 0
	s_waitcnt vmcnt(0)
	v_xor_b32_e32 v10, v7, v8
	v_cls_i32_e32 v15, v8
	s_delay_alu instid0(VALU_DEP_2) | instskip(NEXT) | instid1(VALU_DEP_2)
	v_ashrrev_i32_e32 v10, 31, v10
	v_add_nc_u32_e32 v15, -1, v15
	s_delay_alu instid0(VALU_DEP_2) | instskip(NEXT) | instid1(VALU_DEP_1)
	v_add_nc_u32_e32 v10, 32, v10
	v_min_u32_e32 v10, v15, v10
	s_delay_alu instid0(VALU_DEP_1) | instskip(NEXT) | instid1(VALU_DEP_1)
	v_lshlrev_b64 v[7:8], v10, v[7:8]
	v_min_u32_e32 v7, 1, v7
	s_delay_alu instid0(VALU_DEP_1) | instskip(SKIP_1) | instid1(VALU_DEP_2)
	v_or_b32_e32 v7, v8, v7
	v_sub_nc_u32_e32 v8, 32, v10
	v_cvt_f32_i32_e32 v7, v7
	s_delay_alu instid0(VALU_DEP_1) | instskip(NEXT) | instid1(VALU_DEP_1)
	v_ldexp_f32 v7, v7, v8
	v_bfe_u32 v8, v7, 16, 1
	s_delay_alu instid0(VALU_DEP_1) | instskip(NEXT) | instid1(VALU_DEP_1)
	v_add3_u32 v7, v7, v8, 0x7fff
	v_lshrrev_b32_e32 v7, 16, v7
	s_branch .LBB143_2529
.LBB143_2526:
	s_mov_b32 s0, -1
                                        ; implicit-def: $vgpr7
	s_branch .LBB143_2535
.LBB143_2527:
	s_mov_b32 s0, -1
                                        ; implicit-def: $vgpr7
	s_branch .LBB143_2532
.LBB143_2528:
	s_mov_b32 s0, -1
                                        ; implicit-def: $vgpr7
.LBB143_2529:
	s_delay_alu instid0(SALU_CYCLE_1)
	s_and_not1_b32 vcc_lo, exec_lo, s0
	s_cbranch_vccnz .LBB143_2531
; %bb.2530:
	global_load_b32 v7, v[5:6], off
	s_waitcnt vmcnt(0)
	v_cvt_f32_i32_e32 v7, v7
	s_delay_alu instid0(VALU_DEP_1) | instskip(NEXT) | instid1(VALU_DEP_1)
	v_bfe_u32 v8, v7, 16, 1
	v_add3_u32 v7, v7, v8, 0x7fff
	s_delay_alu instid0(VALU_DEP_1)
	v_lshrrev_b32_e32 v7, 16, v7
.LBB143_2531:
	s_mov_b32 s0, 0
.LBB143_2532:
	s_delay_alu instid0(SALU_CYCLE_1)
	s_and_not1_b32 vcc_lo, exec_lo, s0
	s_cbranch_vccnz .LBB143_2534
; %bb.2533:
	global_load_i16 v7, v[5:6], off
	s_waitcnt vmcnt(0)
	v_cvt_f32_i32_e32 v7, v7
	s_delay_alu instid0(VALU_DEP_1) | instskip(NEXT) | instid1(VALU_DEP_1)
	v_bfe_u32 v8, v7, 16, 1
	v_add3_u32 v7, v7, v8, 0x7fff
	s_delay_alu instid0(VALU_DEP_1)
	v_lshrrev_b32_e32 v7, 16, v7
.LBB143_2534:
	s_mov_b32 s0, 0
.LBB143_2535:
	s_delay_alu instid0(SALU_CYCLE_1)
	s_and_not1_b32 vcc_lo, exec_lo, s0
	s_cbranch_vccnz .LBB143_2541
; %bb.2536:
	v_cmp_lt_i16_e32 vcc_lo, 0, v14
	s_mov_b32 s0, 0
	s_cbranch_vccz .LBB143_2538
; %bb.2537:
	global_load_i8 v7, v[5:6], off
	s_waitcnt vmcnt(0)
	v_cvt_f32_i32_e32 v7, v7
	s_delay_alu instid0(VALU_DEP_1) | instskip(NEXT) | instid1(VALU_DEP_1)
	v_bfe_u32 v8, v7, 16, 1
	v_add3_u32 v7, v7, v8, 0x7fff
	s_delay_alu instid0(VALU_DEP_1)
	v_lshrrev_b32_e32 v7, 16, v7
	s_branch .LBB143_2539
.LBB143_2538:
	s_mov_b32 s0, -1
                                        ; implicit-def: $vgpr7
.LBB143_2539:
	s_delay_alu instid0(SALU_CYCLE_1)
	s_and_not1_b32 vcc_lo, exec_lo, s0
	s_cbranch_vccnz .LBB143_2541
; %bb.2540:
	global_load_u8 v5, v[5:6], off
	s_waitcnt vmcnt(0)
	v_cvt_f32_ubyte0_e32 v5, v5
	s_delay_alu instid0(VALU_DEP_1) | instskip(NEXT) | instid1(VALU_DEP_1)
	v_bfe_u32 v6, v5, 16, 1
	v_add3_u32 v5, v5, v6, 0x7fff
	s_delay_alu instid0(VALU_DEP_1)
	v_lshrrev_b32_e32 v7, 16, v5
.LBB143_2541:
	s_mov_b32 s7, -1
.LBB143_2542:
	s_delay_alu instid0(SALU_CYCLE_1)
	s_and_not1_b32 vcc_lo, exec_lo, s7
	s_cbranch_vccnz .LBB143_3064
; %bb.2543:
	v_cmp_gt_i16_e32 vcc_lo, 11, v12
	v_add_co_u32 v4, s0, s2, v4
	s_delay_alu instid0(VALU_DEP_1)
	v_add_co_ci_u32_e64 v5, null, s3, 0, s0
	s_mov_b32 s3, 0
	s_cbranch_vccnz .LBB143_2550
; %bb.2544:
	v_cmp_lt_i16_e32 vcc_lo, 25, v12
	s_mov_b32 s0, 0
	s_cbranch_vccz .LBB143_2551
; %bb.2545:
	v_cmp_lt_i16_e32 vcc_lo, 28, v12
	s_cbranch_vccz .LBB143_2552
; %bb.2546:
	v_cmp_lt_i16_e32 vcc_lo, 43, v12
	;; [unrolled: 3-line block ×3, first 2 shown]
	s_cbranch_vccz .LBB143_2556
; %bb.2548:
	v_cmp_eq_u16_e32 vcc_lo, 46, v12
	s_mov_b32 s7, 0
	s_cbranch_vccz .LBB143_2559
; %bb.2549:
	global_load_b32 v6, v[4:5], off
	s_mov_b32 s2, 0
	s_mov_b32 s3, -1
	s_waitcnt vmcnt(0)
	v_and_b32_e32 v6, 0x7fff7fff, v6
	s_delay_alu instid0(VALU_DEP_1)
	v_cmp_ne_u32_e32 vcc_lo, 0, v6
	s_and_b32 s6, vcc_lo, exec_lo
	s_branch .LBB143_2561
.LBB143_2550:
	s_mov_b32 s0, -1
                                        ; implicit-def: $sgpr6
	s_branch .LBB143_2625
.LBB143_2551:
	s_mov_b32 s7, -1
	s_mov_b32 s2, 0
                                        ; implicit-def: $sgpr6
	s_branch .LBB143_2588
.LBB143_2552:
	s_mov_b32 s7, -1
	s_mov_b32 s2, 0
                                        ; implicit-def: $sgpr6
	s_branch .LBB143_2569
.LBB143_2553:
	s_mov_b32 s7, -1
	s_mov_b32 s2, 0
                                        ; implicit-def: $sgpr6
	s_branch .LBB143_2564
.LBB143_2554:
	s_cbranch_execnz .LBB143_2557
; %bb.2555:
	s_or_b32 s1, s1, exec_lo
                                        ; implicit-def: $vgpr7
	s_cbranch_execz .LBB143_2491
	s_branch .LBB143_2492
.LBB143_2556:
	s_mov_b32 s7, -1
	s_mov_b32 s2, 0
	s_branch .LBB143_2560
.LBB143_2557:
	s_trap 2
	s_sendmsg_rtn_b32 s0, sendmsg(MSG_RTN_GET_DOORBELL)
	s_mov_b32 ttmp2, m0
	s_waitcnt lgkmcnt(0)
	s_and_b32 s0, s0, 0x3ff
	s_delay_alu instid0(SALU_CYCLE_1) | instskip(NEXT) | instid1(SALU_CYCLE_1)
	s_bitset1_b32 s0, 10
	s_mov_b32 m0, s0
	s_sendmsg sendmsg(MSG_INTERRUPT)
	s_mov_b32 m0, ttmp2
.LBB143_2558:                           ; =>This Inner Loop Header: Depth=1
	s_sethalt 5
	s_branch .LBB143_2558
.LBB143_2559:
	s_mov_b32 s2, -1
.LBB143_2560:
                                        ; implicit-def: $sgpr6
.LBB143_2561:
	s_and_b32 vcc_lo, exec_lo, s7
	s_cbranch_vccz .LBB143_2563
; %bb.2562:
	v_cmp_ne_u16_e64 s2, 44, v12
	s_mov_b32 s3, -1
	s_or_b32 s6, s6, exec_lo
.LBB143_2563:
	s_mov_b32 s7, 0
.LBB143_2564:
	s_delay_alu instid0(SALU_CYCLE_1)
	s_and_b32 vcc_lo, exec_lo, s7
	s_cbranch_vccz .LBB143_2568
; %bb.2565:
	v_cmp_eq_u16_e32 vcc_lo, 29, v12
	s_cbranch_vccz .LBB143_2567
; %bb.2566:
	global_load_b64 v[14:15], v[4:5], off
	s_mov_b32 s2, 0
	s_mov_b32 s3, -1
	s_mov_b32 s7, 0
	s_waitcnt vmcnt(0)
	v_cmp_ne_u64_e32 vcc_lo, 0, v[14:15]
	s_and_b32 s6, vcc_lo, exec_lo
	s_branch .LBB143_2569
.LBB143_2567:
	s_mov_b32 s2, -1
                                        ; implicit-def: $sgpr6
.LBB143_2568:
	s_mov_b32 s7, 0
.LBB143_2569:
	s_delay_alu instid0(SALU_CYCLE_1)
	s_and_b32 vcc_lo, exec_lo, s7
	s_cbranch_vccz .LBB143_2587
; %bb.2570:
	v_cmp_gt_i16_e32 vcc_lo, 27, v12
	s_cbranch_vccnz .LBB143_2573
; %bb.2571:
	v_cmp_lt_i16_e32 vcc_lo, 27, v12
	s_cbranch_vccz .LBB143_2574
; %bb.2572:
	global_load_b32 v6, v[4:5], off
	s_mov_b32 s3, 0
	s_waitcnt vmcnt(0)
	v_cmp_ne_u32_e32 vcc_lo, 0, v6
	s_and_b32 s6, vcc_lo, exec_lo
	s_branch .LBB143_2575
.LBB143_2573:
	s_mov_b32 s3, -1
                                        ; implicit-def: $sgpr6
	s_branch .LBB143_2578
.LBB143_2574:
	s_mov_b32 s3, -1
                                        ; implicit-def: $sgpr6
.LBB143_2575:
	s_delay_alu instid0(SALU_CYCLE_1)
	s_and_not1_b32 vcc_lo, exec_lo, s3
	s_cbranch_vccnz .LBB143_2577
; %bb.2576:
	global_load_u16 v6, v[4:5], off
	s_and_not1_b32 s3, s6, exec_lo
	s_waitcnt vmcnt(0)
	v_cmp_ne_u16_e32 vcc_lo, 0, v6
	s_and_b32 s6, vcc_lo, exec_lo
	s_delay_alu instid0(SALU_CYCLE_1)
	s_or_b32 s6, s3, s6
.LBB143_2577:
	s_mov_b32 s3, 0
.LBB143_2578:
	s_delay_alu instid0(SALU_CYCLE_1)
	s_and_not1_b32 vcc_lo, exec_lo, s3
	s_cbranch_vccnz .LBB143_2586
; %bb.2579:
	global_load_u8 v6, v[4:5], off
	s_mov_b32 s3, 0
	s_mov_b32 s7, exec_lo
                                        ; implicit-def: $sgpr6
	s_waitcnt vmcnt(0)
	v_cmpx_lt_i16_e32 0x7f, v6
	s_xor_b32 s7, exec_lo, s7
	s_cbranch_execz .LBB143_2600
; %bb.2580:
	s_mov_b32 s3, -1
	s_mov_b32 s13, exec_lo
                                        ; implicit-def: $sgpr6
	v_cmpx_eq_u16_e32 0x80, v6
; %bb.2581:
	s_mov_b32 s6, -1
	s_xor_b32 s3, exec_lo, -1
; %bb.2582:
	s_or_b32 exec_lo, exec_lo, s13
	s_delay_alu instid0(SALU_CYCLE_1)
	s_and_b32 s3, s3, exec_lo
	s_and_not1_saveexec_b32 s7, s7
	s_cbranch_execnz .LBB143_2601
.LBB143_2583:
	s_or_b32 exec_lo, exec_lo, s7
	s_and_saveexec_b32 s7, s3
	s_cbranch_execz .LBB143_2585
.LBB143_2584:
	v_and_b32_e32 v6, 0xffff, v6
	s_and_not1_b32 s3, s6, exec_lo
	s_delay_alu instid0(VALU_DEP_1) | instskip(NEXT) | instid1(VALU_DEP_1)
	v_and_b32_e32 v8, 7, v6
	v_clz_i32_u32_e32 v10, v8
	s_delay_alu instid0(VALU_DEP_1) | instskip(NEXT) | instid1(VALU_DEP_1)
	v_min_u32_e32 v10, 32, v10
	v_subrev_nc_u32_e32 v14, 28, v10
	v_sub_nc_u32_e32 v10, 29, v10
	s_delay_alu instid0(VALU_DEP_2) | instskip(SKIP_1) | instid1(VALU_DEP_2)
	v_lshlrev_b32_e32 v14, v14, v6
	v_bfe_u32 v6, v6, 3, 4
	v_and_b32_e32 v14, 7, v14
	s_delay_alu instid0(VALU_DEP_2) | instskip(SKIP_1) | instid1(VALU_DEP_3)
	v_cmp_eq_u32_e32 vcc_lo, 0, v6
	v_cndmask_b32_e32 v6, v6, v10, vcc_lo
	v_cndmask_b32_e32 v8, v8, v14, vcc_lo
	s_delay_alu instid0(VALU_DEP_2) | instskip(NEXT) | instid1(VALU_DEP_2)
	v_lshl_add_u32 v6, v6, 23, 0x3b800000
	v_lshlrev_b32_e32 v8, 20, v8
	s_delay_alu instid0(VALU_DEP_1) | instskip(NEXT) | instid1(VALU_DEP_1)
	v_and_or_b32 v6, 0x7f800000, v6, v8
	v_cmp_ne_u32_e32 vcc_lo, 0, v6
	s_and_b32 s6, vcc_lo, exec_lo
	s_delay_alu instid0(SALU_CYCLE_1)
	s_or_b32 s6, s3, s6
.LBB143_2585:
	s_or_b32 exec_lo, exec_lo, s7
.LBB143_2586:
	s_mov_b32 s3, -1
.LBB143_2587:
	s_mov_b32 s7, 0
.LBB143_2588:
	s_delay_alu instid0(SALU_CYCLE_1)
	s_and_b32 vcc_lo, exec_lo, s7
	s_cbranch_vccz .LBB143_2621
; %bb.2589:
	v_cmp_lt_i16_e32 vcc_lo, 22, v12
	s_cbranch_vccz .LBB143_2599
; %bb.2590:
	v_cmp_gt_i16_e32 vcc_lo, 24, v12
	s_cbranch_vccnz .LBB143_2602
; %bb.2591:
	v_cmp_lt_i16_e32 vcc_lo, 24, v12
	s_cbranch_vccz .LBB143_2603
; %bb.2592:
	global_load_u8 v6, v[4:5], off
	s_mov_b32 s3, exec_lo
                                        ; implicit-def: $sgpr6
	s_waitcnt vmcnt(0)
	v_cmpx_lt_i16_e32 0x7f, v6
	s_xor_b32 s3, exec_lo, s3
	s_cbranch_execz .LBB143_2615
; %bb.2593:
	s_mov_b32 s0, -1
	s_mov_b32 s7, exec_lo
                                        ; implicit-def: $sgpr6
	v_cmpx_eq_u16_e32 0x80, v6
; %bb.2594:
	s_mov_b32 s6, -1
	s_xor_b32 s0, exec_lo, -1
; %bb.2595:
	s_or_b32 exec_lo, exec_lo, s7
	s_delay_alu instid0(SALU_CYCLE_1)
	s_and_b32 s0, s0, exec_lo
	s_and_not1_saveexec_b32 s3, s3
	s_cbranch_execnz .LBB143_2616
.LBB143_2596:
	s_or_b32 exec_lo, exec_lo, s3
	s_and_saveexec_b32 s3, s0
	s_cbranch_execz .LBB143_2598
.LBB143_2597:
	v_and_b32_e32 v6, 0xffff, v6
	s_and_not1_b32 s0, s6, exec_lo
	s_delay_alu instid0(VALU_DEP_1) | instskip(NEXT) | instid1(VALU_DEP_1)
	v_and_b32_e32 v8, 3, v6
	v_clz_i32_u32_e32 v10, v8
	s_delay_alu instid0(VALU_DEP_1) | instskip(NEXT) | instid1(VALU_DEP_1)
	v_min_u32_e32 v10, 32, v10
	v_subrev_nc_u32_e32 v14, 29, v10
	v_sub_nc_u32_e32 v10, 30, v10
	s_delay_alu instid0(VALU_DEP_2) | instskip(SKIP_1) | instid1(VALU_DEP_2)
	v_lshlrev_b32_e32 v14, v14, v6
	v_bfe_u32 v6, v6, 2, 5
	v_and_b32_e32 v14, 3, v14
	s_delay_alu instid0(VALU_DEP_2) | instskip(SKIP_1) | instid1(VALU_DEP_3)
	v_cmp_eq_u32_e32 vcc_lo, 0, v6
	v_cndmask_b32_e32 v6, v6, v10, vcc_lo
	v_cndmask_b32_e32 v8, v8, v14, vcc_lo
	s_delay_alu instid0(VALU_DEP_2) | instskip(NEXT) | instid1(VALU_DEP_2)
	v_lshl_add_u32 v6, v6, 23, 0x37800000
	v_lshlrev_b32_e32 v8, 21, v8
	s_delay_alu instid0(VALU_DEP_1) | instskip(NEXT) | instid1(VALU_DEP_1)
	v_and_or_b32 v6, 0x7f800000, v6, v8
	v_cmp_ne_u32_e32 vcc_lo, 0, v6
	s_and_b32 s6, vcc_lo, exec_lo
	s_delay_alu instid0(SALU_CYCLE_1)
	s_or_b32 s6, s0, s6
.LBB143_2598:
	s_or_b32 exec_lo, exec_lo, s3
	s_mov_b32 s0, 0
	s_branch .LBB143_2604
.LBB143_2599:
	s_mov_b32 s0, -1
                                        ; implicit-def: $sgpr6
	s_branch .LBB143_2610
.LBB143_2600:
	s_and_not1_saveexec_b32 s7, s7
	s_cbranch_execz .LBB143_2583
.LBB143_2601:
	v_cmp_ne_u16_e32 vcc_lo, 0, v6
	s_and_not1_b32 s3, s3, exec_lo
	s_and_not1_b32 s6, s6, exec_lo
	s_and_b32 s13, vcc_lo, exec_lo
	s_delay_alu instid0(SALU_CYCLE_1)
	s_or_b32 s3, s3, s13
	s_or_b32 exec_lo, exec_lo, s7
	s_and_saveexec_b32 s7, s3
	s_cbranch_execnz .LBB143_2584
	s_branch .LBB143_2585
.LBB143_2602:
	s_mov_b32 s0, -1
                                        ; implicit-def: $sgpr6
	s_branch .LBB143_2607
.LBB143_2603:
	s_mov_b32 s0, -1
                                        ; implicit-def: $sgpr6
.LBB143_2604:
	s_delay_alu instid0(SALU_CYCLE_1)
	s_and_b32 vcc_lo, exec_lo, s0
	s_cbranch_vccz .LBB143_2606
; %bb.2605:
	global_load_u8 v6, v[4:5], off
	s_and_not1_b32 s3, s6, exec_lo
	s_waitcnt vmcnt(0)
	v_lshlrev_b32_e32 v6, 24, v6
	s_delay_alu instid0(VALU_DEP_1) | instskip(NEXT) | instid1(VALU_DEP_1)
	v_and_b32_e32 v6, 0x7f000000, v6
	v_clz_i32_u32_e32 v8, v6
	v_add_nc_u32_e32 v14, 0x1000000, v6
	v_cmp_ne_u32_e32 vcc_lo, 0, v6
	s_delay_alu instid0(VALU_DEP_3) | instskip(NEXT) | instid1(VALU_DEP_3)
	v_min_u32_e32 v8, 32, v8
	v_ashrrev_i32_e32 v14, 8, v14
	s_delay_alu instid0(VALU_DEP_2) | instskip(NEXT) | instid1(VALU_DEP_1)
	v_sub_nc_u32_e64 v8, v8, 4 clamp
	v_lshlrev_b32_e32 v10, v8, v6
	v_lshlrev_b32_e32 v8, 23, v8
	s_delay_alu instid0(VALU_DEP_2) | instskip(NEXT) | instid1(VALU_DEP_1)
	v_lshrrev_b32_e32 v10, 4, v10
	v_sub_nc_u32_e32 v8, v10, v8
	v_and_b32_e32 v10, 0x7f800000, v14
	s_delay_alu instid0(VALU_DEP_2) | instskip(NEXT) | instid1(VALU_DEP_1)
	v_add_nc_u32_e32 v8, 0x3c000000, v8
	v_and_or_b32 v8, 0x7ff00000, v8, v10
	s_delay_alu instid0(VALU_DEP_1) | instskip(NEXT) | instid1(VALU_DEP_1)
	v_cmp_ne_u32_e64 s0, 0, v8
	s_and_b32 s0, vcc_lo, s0
	s_delay_alu instid0(SALU_CYCLE_1) | instskip(NEXT) | instid1(SALU_CYCLE_1)
	s_and_b32 s0, s0, exec_lo
	s_or_b32 s6, s3, s0
.LBB143_2606:
	s_mov_b32 s0, 0
.LBB143_2607:
	s_delay_alu instid0(SALU_CYCLE_1)
	s_and_not1_b32 vcc_lo, exec_lo, s0
	s_cbranch_vccnz .LBB143_2609
; %bb.2608:
	global_load_u8 v6, v[4:5], off
	s_and_not1_b32 s0, s6, exec_lo
	s_waitcnt vmcnt(0)
	v_lshlrev_b32_e32 v8, 25, v6
	v_lshlrev_b32_e32 v6, 8, v6
	s_delay_alu instid0(VALU_DEP_2) | instskip(NEXT) | instid1(VALU_DEP_2)
	v_lshrrev_b32_e32 v10, 4, v8
	v_and_or_b32 v6, 0x7f00, v6, 0.5
	v_cmp_gt_u32_e32 vcc_lo, 0x8000000, v8
	s_delay_alu instid0(VALU_DEP_3) | instskip(NEXT) | instid1(VALU_DEP_3)
	v_or_b32_e32 v10, 0x70000000, v10
	v_add_f32_e32 v6, -0.5, v6
	s_delay_alu instid0(VALU_DEP_2) | instskip(NEXT) | instid1(VALU_DEP_1)
	v_mul_f32_e32 v10, 0x7800000, v10
	v_cndmask_b32_e32 v6, v10, v6, vcc_lo
	s_delay_alu instid0(VALU_DEP_1) | instskip(SKIP_1) | instid1(SALU_CYCLE_1)
	v_cmp_neq_f32_e32 vcc_lo, 0, v6
	s_and_b32 s3, vcc_lo, exec_lo
	s_or_b32 s6, s0, s3
.LBB143_2609:
	s_mov_b32 s0, 0
	s_mov_b32 s3, -1
.LBB143_2610:
	s_and_not1_b32 vcc_lo, exec_lo, s0
	s_mov_b32 s0, 0
	s_cbranch_vccnz .LBB143_2621
; %bb.2611:
	v_cmp_lt_i16_e32 vcc_lo, 14, v12
	s_cbranch_vccz .LBB143_2614
; %bb.2612:
	v_cmp_eq_u16_e32 vcc_lo, 15, v12
	s_cbranch_vccz .LBB143_2617
; %bb.2613:
	global_load_u16 v6, v[4:5], off
	s_mov_b32 s2, 0
	s_mov_b32 s3, -1
	s_waitcnt vmcnt(0)
	v_and_b32_e32 v6, 0x7fff, v6
	s_delay_alu instid0(VALU_DEP_1)
	v_cmp_ne_u16_e32 vcc_lo, 0, v6
	s_and_b32 s6, vcc_lo, exec_lo
	s_branch .LBB143_2619
.LBB143_2614:
	s_mov_b32 s0, -1
	s_branch .LBB143_2618
.LBB143_2615:
	s_and_not1_saveexec_b32 s3, s3
	s_cbranch_execz .LBB143_2596
.LBB143_2616:
	v_cmp_ne_u16_e32 vcc_lo, 0, v6
	s_and_not1_b32 s0, s0, exec_lo
	s_and_not1_b32 s6, s6, exec_lo
	s_and_b32 s7, vcc_lo, exec_lo
	s_delay_alu instid0(SALU_CYCLE_1)
	s_or_b32 s0, s0, s7
	s_or_b32 exec_lo, exec_lo, s3
	s_and_saveexec_b32 s3, s0
	s_cbranch_execnz .LBB143_2597
	s_branch .LBB143_2598
.LBB143_2617:
	s_mov_b32 s2, -1
.LBB143_2618:
                                        ; implicit-def: $sgpr6
.LBB143_2619:
	s_and_b32 vcc_lo, exec_lo, s0
	s_mov_b32 s0, 0
	s_cbranch_vccz .LBB143_2621
; %bb.2620:
	v_cmp_ne_u16_e64 s2, 11, v12
	s_mov_b32 s0, -1
	s_and_not1_b32 s6, s6, exec_lo
.LBB143_2621:
	s_delay_alu instid0(VALU_DEP_1)
	s_and_b32 vcc_lo, exec_lo, s2
	s_cbranch_vccnz .LBB143_2684
; %bb.2622:
	s_and_not1_b32 vcc_lo, exec_lo, s0
	s_cbranch_vccnz .LBB143_2624
.LBB143_2623:
	global_load_u8 v6, v[4:5], off
	s_and_not1_b32 s0, s6, exec_lo
	s_mov_b32 s3, -1
	s_waitcnt vmcnt(0)
	v_cmp_ne_u16_e32 vcc_lo, 0, v6
	s_and_b32 s2, vcc_lo, exec_lo
	s_delay_alu instid0(SALU_CYCLE_1)
	s_or_b32 s6, s0, s2
.LBB143_2624:
	s_mov_b32 s0, 0
.LBB143_2625:
	s_delay_alu instid0(SALU_CYCLE_1)
	s_and_b32 vcc_lo, exec_lo, s0
	s_cbranch_vccz .LBB143_2674
; %bb.2626:
	v_cmp_gt_i16_e32 vcc_lo, 5, v12
	s_cbranch_vccnz .LBB143_2631
; %bb.2627:
	v_cmp_gt_i16_e32 vcc_lo, 8, v12
	s_cbranch_vccnz .LBB143_2632
	;; [unrolled: 3-line block ×3, first 2 shown]
; %bb.2629:
	v_cmp_lt_i16_e32 vcc_lo, 9, v12
	s_cbranch_vccz .LBB143_2634
; %bb.2630:
	global_load_b128 v[14:17], v[4:5], off
	s_waitcnt vmcnt(0)
	v_cmp_neq_f64_e32 vcc_lo, 0, v[14:15]
	v_cmp_neq_f64_e64 s0, 0, v[16:17]
	s_delay_alu instid0(VALU_DEP_1)
	s_or_b32 s2, vcc_lo, s0
	s_mov_b32 s0, 0
	s_and_b32 s6, s2, exec_lo
	s_branch .LBB143_2635
.LBB143_2631:
	s_mov_b32 s0, -1
                                        ; implicit-def: $sgpr6
	s_branch .LBB143_2653
.LBB143_2632:
	s_mov_b32 s0, -1
                                        ; implicit-def: $sgpr6
	s_branch .LBB143_2641
.LBB143_2633:
	s_mov_b32 s0, -1
                                        ; implicit-def: $sgpr6
	s_branch .LBB143_2638
.LBB143_2634:
	s_mov_b32 s0, -1
                                        ; implicit-def: $sgpr6
.LBB143_2635:
	s_delay_alu instid0(SALU_CYCLE_1)
	s_and_not1_b32 vcc_lo, exec_lo, s0
	s_cbranch_vccnz .LBB143_2637
; %bb.2636:
	global_load_b64 v[14:15], v[4:5], off
	s_and_not1_b32 s0, s6, exec_lo
	s_waitcnt vmcnt(0)
	v_or_b32_e32 v6, v14, v15
	s_delay_alu instid0(VALU_DEP_1) | instskip(NEXT) | instid1(VALU_DEP_1)
	v_and_b32_e32 v6, 0x7fffffff, v6
	v_cmp_ne_u32_e32 vcc_lo, 0, v6
	s_and_b32 s2, vcc_lo, exec_lo
	s_delay_alu instid0(SALU_CYCLE_1)
	s_or_b32 s6, s0, s2
.LBB143_2637:
	s_mov_b32 s0, 0
.LBB143_2638:
	s_delay_alu instid0(SALU_CYCLE_1)
	s_and_not1_b32 vcc_lo, exec_lo, s0
	s_cbranch_vccnz .LBB143_2640
; %bb.2639:
	global_load_b32 v6, v[4:5], off
	s_and_not1_b32 s0, s6, exec_lo
	s_waitcnt vmcnt(0)
	v_and_b32_e32 v6, 0x7fff7fff, v6
	s_delay_alu instid0(VALU_DEP_1) | instskip(SKIP_1) | instid1(SALU_CYCLE_1)
	v_cmp_ne_u32_e32 vcc_lo, 0, v6
	s_and_b32 s2, vcc_lo, exec_lo
	s_or_b32 s6, s0, s2
.LBB143_2640:
	s_mov_b32 s0, 0
.LBB143_2641:
	s_delay_alu instid0(SALU_CYCLE_1)
	s_and_not1_b32 vcc_lo, exec_lo, s0
	s_cbranch_vccnz .LBB143_2652
; %bb.2642:
	v_cmp_gt_i16_e32 vcc_lo, 6, v12
	s_cbranch_vccnz .LBB143_2645
; %bb.2643:
	v_cmp_lt_i16_e32 vcc_lo, 6, v12
	s_cbranch_vccz .LBB143_2646
; %bb.2644:
	global_load_b64 v[14:15], v[4:5], off
	s_mov_b32 s0, 0
	s_waitcnt vmcnt(0)
	v_cmp_neq_f64_e32 vcc_lo, 0, v[14:15]
	s_and_b32 s6, vcc_lo, exec_lo
	s_branch .LBB143_2647
.LBB143_2645:
	s_mov_b32 s0, -1
                                        ; implicit-def: $sgpr6
	s_branch .LBB143_2650
.LBB143_2646:
	s_mov_b32 s0, -1
                                        ; implicit-def: $sgpr6
.LBB143_2647:
	s_delay_alu instid0(SALU_CYCLE_1)
	s_and_not1_b32 vcc_lo, exec_lo, s0
	s_cbranch_vccnz .LBB143_2649
; %bb.2648:
	global_load_b32 v6, v[4:5], off
	s_and_not1_b32 s0, s6, exec_lo
	s_waitcnt vmcnt(0)
	v_cmp_neq_f32_e32 vcc_lo, 0, v6
	s_and_b32 s2, vcc_lo, exec_lo
	s_delay_alu instid0(SALU_CYCLE_1)
	s_or_b32 s6, s0, s2
.LBB143_2649:
	s_mov_b32 s0, 0
.LBB143_2650:
	s_delay_alu instid0(SALU_CYCLE_1)
	s_and_not1_b32 vcc_lo, exec_lo, s0
	s_cbranch_vccnz .LBB143_2652
; %bb.2651:
	global_load_u16 v6, v[4:5], off
	s_and_not1_b32 s0, s6, exec_lo
	s_waitcnt vmcnt(0)
	v_and_b32_e32 v6, 0x7fff, v6
	s_delay_alu instid0(VALU_DEP_1) | instskip(SKIP_1) | instid1(SALU_CYCLE_1)
	v_cmp_ne_u16_e32 vcc_lo, 0, v6
	s_and_b32 s2, vcc_lo, exec_lo
	s_or_b32 s6, s0, s2
.LBB143_2652:
	s_mov_b32 s0, 0
.LBB143_2653:
	s_delay_alu instid0(SALU_CYCLE_1)
	s_and_not1_b32 vcc_lo, exec_lo, s0
	s_cbranch_vccnz .LBB143_2673
; %bb.2654:
	v_cmp_gt_i16_e32 vcc_lo, 2, v12
	s_cbranch_vccnz .LBB143_2658
; %bb.2655:
	v_cmp_gt_i16_e32 vcc_lo, 3, v12
	s_cbranch_vccnz .LBB143_2659
; %bb.2656:
	v_cmp_lt_i16_e32 vcc_lo, 3, v12
	s_cbranch_vccz .LBB143_2660
; %bb.2657:
	global_load_b64 v[14:15], v[4:5], off
	s_mov_b32 s0, 0
	s_waitcnt vmcnt(0)
	v_cmp_ne_u64_e32 vcc_lo, 0, v[14:15]
	s_and_b32 s6, vcc_lo, exec_lo
	s_branch .LBB143_2661
.LBB143_2658:
	s_mov_b32 s0, -1
                                        ; implicit-def: $sgpr6
	s_branch .LBB143_2667
.LBB143_2659:
	s_mov_b32 s0, -1
                                        ; implicit-def: $sgpr6
	s_branch .LBB143_2664
.LBB143_2660:
	s_mov_b32 s0, -1
                                        ; implicit-def: $sgpr6
.LBB143_2661:
	s_delay_alu instid0(SALU_CYCLE_1)
	s_and_not1_b32 vcc_lo, exec_lo, s0
	s_cbranch_vccnz .LBB143_2663
; %bb.2662:
	global_load_b32 v6, v[4:5], off
	s_and_not1_b32 s0, s6, exec_lo
	s_waitcnt vmcnt(0)
	v_cmp_ne_u32_e32 vcc_lo, 0, v6
	s_and_b32 s2, vcc_lo, exec_lo
	s_delay_alu instid0(SALU_CYCLE_1)
	s_or_b32 s6, s0, s2
.LBB143_2663:
	s_mov_b32 s0, 0
.LBB143_2664:
	s_delay_alu instid0(SALU_CYCLE_1)
	s_and_not1_b32 vcc_lo, exec_lo, s0
	s_cbranch_vccnz .LBB143_2666
; %bb.2665:
	global_load_u16 v6, v[4:5], off
	s_and_not1_b32 s0, s6, exec_lo
	s_waitcnt vmcnt(0)
	v_cmp_ne_u16_e32 vcc_lo, 0, v6
	s_and_b32 s2, vcc_lo, exec_lo
	s_delay_alu instid0(SALU_CYCLE_1)
	s_or_b32 s6, s0, s2
.LBB143_2666:
	s_mov_b32 s0, 0
.LBB143_2667:
	s_delay_alu instid0(SALU_CYCLE_1)
	s_and_not1_b32 vcc_lo, exec_lo, s0
	s_cbranch_vccnz .LBB143_2673
; %bb.2668:
	v_cmp_lt_i16_e32 vcc_lo, 0, v12
	s_mov_b32 s0, 0
	s_cbranch_vccz .LBB143_2670
; %bb.2669:
	global_load_u8 v6, v[4:5], off
	s_waitcnt vmcnt(0)
	v_cmp_ne_u16_e32 vcc_lo, 0, v6
	s_and_b32 s6, vcc_lo, exec_lo
	s_branch .LBB143_2671
.LBB143_2670:
	s_mov_b32 s0, -1
                                        ; implicit-def: $sgpr6
.LBB143_2671:
	s_delay_alu instid0(SALU_CYCLE_1)
	s_and_not1_b32 vcc_lo, exec_lo, s0
	s_cbranch_vccnz .LBB143_2673
; %bb.2672:
	global_load_u8 v4, v[4:5], off
	s_and_not1_b32 s0, s6, exec_lo
	s_waitcnt vmcnt(0)
	v_cmp_ne_u16_e32 vcc_lo, 0, v4
	s_and_b32 s2, vcc_lo, exec_lo
	s_delay_alu instid0(SALU_CYCLE_1)
	s_or_b32 s6, s0, s2
.LBB143_2673:
	s_mov_b32 s3, -1
.LBB143_2674:
	s_delay_alu instid0(SALU_CYCLE_1)
	s_and_not1_b32 vcc_lo, exec_lo, s3
	s_cbranch_vccnz .LBB143_3064
; %bb.2675:
	s_load_b64 s[2:3], s[20:21], 0x1a0
	v_cndmask_b32_e64 v4, 0, 1.0, s10
	v_lshlrev_b32_e32 v5, 16, v13
	v_add_co_u32 v3, s7, s4, v3
	s_mov_b32 s10, 0
	s_delay_alu instid0(VALU_DEP_2) | instskip(SKIP_1) | instid1(VALU_DEP_1)
	v_mul_f32_e32 v4, v5, v4
	s_waitcnt lgkmcnt(0)
	v_mul_f32_e32 v5, s2, v4
	s_and_b32 s3, s3, 0xff
	s_delay_alu instid0(SALU_CYCLE_1) | instskip(NEXT) | instid1(VALU_DEP_2)
	v_cmp_lt_i16_e64 s0, s3, 11
	v_bfe_u32 v4, v5, 16, 1
	v_cmp_o_f32_e32 vcc_lo, v5, v5
	s_delay_alu instid0(VALU_DEP_2) | instskip(NEXT) | instid1(VALU_DEP_1)
	v_add3_u32 v4, v5, v4, 0x7fff
	v_lshrrev_b32_e32 v6, 16, v4
	v_add_co_ci_u32_e64 v4, null, s5, 0, s7
	s_delay_alu instid0(VALU_DEP_2)
	v_cndmask_b32_e32 v5, 0x7fc0, v6, vcc_lo
	s_and_b32 vcc_lo, exec_lo, s0
	s_mov_b32 s0, -1
	s_cbranch_vccnz .LBB143_2758
; %bb.2676:
	v_cmp_gt_i16_e64 s0, s3, 25
	s_mov_b32 s13, -1
	s_mov_b32 s7, 0
	s_delay_alu instid0(VALU_DEP_1)
	s_and_b32 vcc_lo, exec_lo, s0
	s_mov_b32 s0, 0
	s_cbranch_vccz .LBB143_2714
; %bb.2677:
	v_cmp_gt_i16_e64 s0, s3, 28
	s_delay_alu instid0(VALU_DEP_1)
	s_and_b32 vcc_lo, exec_lo, s0
	s_cbranch_vccz .LBB143_2682
; %bb.2678:
	v_cmp_gt_i16_e64 s0, s3, 43
	s_delay_alu instid0(VALU_DEP_1)
	s_and_b32 vcc_lo, exec_lo, s0
	;; [unrolled: 5-line block ×3, first 2 shown]
	s_cbranch_vccz .LBB143_2686
; %bb.2680:
	v_cmp_eq_u16_e64 s10, s3, 46
	s_mov_b32 s0, -1
	s_mov_b32 s13, 0
	s_delay_alu instid0(VALU_DEP_1)
	s_and_b32 vcc_lo, exec_lo, s10
	s_mov_b32 s10, 0
	s_cbranch_vccz .LBB143_2687
; %bb.2681:
	v_and_b32_e32 v6, 0xffff, v5
	s_mov_b32 s0, 0
	s_mov_b32 s10, -1
	global_store_b32 v[3:4], v6, off
	s_branch .LBB143_2687
.LBB143_2682:
	s_mov_b32 s0, 0
	s_branch .LBB143_2697
.LBB143_2683:
	s_mov_b32 s0, 0
	s_branch .LBB143_2693
.LBB143_2684:
	s_cbranch_execnz .LBB143_2809
; %bb.2685:
	s_mov_b32 s3, 0
	s_and_not1_b32 s6, s6, exec_lo
	s_or_b32 s1, s1, exec_lo
	s_cbranch_execz .LBB143_2623
	s_branch .LBB143_2624
.LBB143_2686:
	s_mov_b32 s0, 0
.LBB143_2687:
	s_and_b32 vcc_lo, exec_lo, s13
	s_cbranch_vccz .LBB143_2692
; %bb.2688:
	v_cmp_eq_u16_e64 s0, s3, 44
	s_delay_alu instid0(VALU_DEP_1)
	s_and_b32 vcc_lo, exec_lo, s0
	s_mov_b32 s0, -1
	s_cbranch_vccz .LBB143_2692
; %bb.2689:
	v_and_b32_e32 v6, 0xffff, v5
	v_mov_b32_e32 v8, 0xff
	s_mov_b32 s10, exec_lo
	s_delay_alu instid0(VALU_DEP_2) | instskip(NEXT) | instid1(VALU_DEP_1)
	v_bfe_u32 v10, v6, 7, 8
	v_cmpx_ne_u32_e32 0xff, v10
; %bb.2690:
	v_lshlrev_b32_e32 v8, 16, v6
	v_and_b32_e32 v12, 64, v6
	v_lshrrev_b32_e32 v6, 7, v6
	s_delay_alu instid0(VALU_DEP_3) | instskip(NEXT) | instid1(VALU_DEP_3)
	v_and_or_b32 v8, 0x3f0000, v8, v10
	v_cmp_ne_u32_e32 vcc_lo, 0, v12
	s_delay_alu instid0(VALU_DEP_2) | instskip(NEXT) | instid1(VALU_DEP_1)
	v_cmp_ne_u32_e64 s0, 0, v8
	s_and_b32 s0, vcc_lo, s0
	s_delay_alu instid0(SALU_CYCLE_1) | instskip(NEXT) | instid1(VALU_DEP_1)
	v_cndmask_b32_e64 v8, 0, 1, s0
	v_add_nc_u32_e32 v8, v6, v8
; %bb.2691:
	s_or_b32 exec_lo, exec_lo, s10
	s_mov_b32 s0, 0
	s_mov_b32 s10, -1
	global_store_b8 v[3:4], v8, off
.LBB143_2692:
	s_mov_b32 s13, 0
.LBB143_2693:
	s_delay_alu instid0(SALU_CYCLE_1)
	s_and_b32 vcc_lo, exec_lo, s13
	s_cbranch_vccz .LBB143_2696
; %bb.2694:
	v_cmp_eq_u16_e64 s0, s3, 29
	s_delay_alu instid0(VALU_DEP_1)
	s_and_b32 vcc_lo, exec_lo, s0
	s_mov_b32 s0, -1
	s_cbranch_vccz .LBB143_2696
; %bb.2695:
	v_lshlrev_b32_e32 v6, 16, v5
	s_mov_b32 s0, 0
	s_mov_b32 s10, -1
	s_mov_b32 s13, 0
	s_delay_alu instid0(VALU_DEP_1) | instskip(NEXT) | instid1(VALU_DEP_1)
	v_trunc_f32_e32 v6, v6
	v_mul_f32_e32 v8, 0x2f800000, v6
	s_delay_alu instid0(VALU_DEP_1) | instskip(NEXT) | instid1(VALU_DEP_1)
	v_floor_f32_e32 v8, v8
	v_fmamk_f32 v6, v8, 0xcf800000, v6
	v_cvt_u32_f32_e32 v13, v8
	s_delay_alu instid0(VALU_DEP_2)
	v_cvt_u32_f32_e32 v12, v6
	global_store_b64 v[3:4], v[12:13], off
	s_branch .LBB143_2697
.LBB143_2696:
	s_mov_b32 s13, 0
.LBB143_2697:
	s_delay_alu instid0(SALU_CYCLE_1)
	s_and_b32 vcc_lo, exec_lo, s13
	s_cbranch_vccz .LBB143_2713
; %bb.2698:
	v_cmp_lt_i16_e64 s10, s3, 27
	s_delay_alu instid0(VALU_DEP_1)
	s_and_b32 vcc_lo, exec_lo, s10
	s_mov_b32 s10, -1
	s_cbranch_vccnz .LBB143_2704
; %bb.2699:
	v_cmp_gt_i16_e64 s10, s3, 27
	s_delay_alu instid0(VALU_DEP_1)
	s_and_b32 vcc_lo, exec_lo, s10
	s_mov_b32 s10, -1
	s_cbranch_vccz .LBB143_2701
; %bb.2700:
	v_lshlrev_b32_e32 v6, 16, v5
	s_mov_b32 s10, 0
	s_delay_alu instid0(VALU_DEP_1)
	v_cvt_u32_f32_e32 v6, v6
	global_store_b32 v[3:4], v6, off
.LBB143_2701:
	s_and_not1_b32 vcc_lo, exec_lo, s10
	s_cbranch_vccnz .LBB143_2703
; %bb.2702:
	v_lshlrev_b32_e32 v6, 16, v5
	s_delay_alu instid0(VALU_DEP_1)
	v_cvt_u32_f32_e32 v6, v6
	global_store_b16 v[3:4], v6, off
.LBB143_2703:
	s_mov_b32 s10, 0
.LBB143_2704:
	s_delay_alu instid0(SALU_CYCLE_1)
	s_and_not1_b32 vcc_lo, exec_lo, s10
	s_cbranch_vccnz .LBB143_2712
; %bb.2705:
	v_lshlrev_b32_e32 v10, 16, v5
	v_mov_b32_e32 v12, 0x80
	s_mov_b32 s10, exec_lo
	s_delay_alu instid0(VALU_DEP_2) | instskip(NEXT) | instid1(VALU_DEP_1)
	v_and_b32_e32 v8, 0x7fffffff, v10
	v_cmpx_gt_u32_e32 0x43800000, v8
	s_cbranch_execz .LBB143_2711
; %bb.2706:
	v_and_b32_e32 v6, 0xffff, v5
	v_cmp_lt_u32_e32 vcc_lo, 0x3bffffff, v8
	s_mov_b32 s13, 0
                                        ; implicit-def: $vgpr8
	s_and_saveexec_b32 s14, vcc_lo
	s_delay_alu instid0(SALU_CYCLE_1)
	s_xor_b32 s14, exec_lo, s14
	s_cbranch_execz .LBB143_2806
; %bb.2707:
	v_bfe_u32 v8, v6, 4, 1
	s_mov_b32 s13, exec_lo
	s_delay_alu instid0(VALU_DEP_1) | instskip(NEXT) | instid1(VALU_DEP_1)
	v_add3_u32 v8, v10, v8, 0x487ffff
                                        ; implicit-def: $vgpr10
	v_lshrrev_b32_e32 v8, 20, v8
	s_or_saveexec_b32 s14, s14
                                        ; implicit-def: $sgpr15
	s_delay_alu instid0(SALU_CYCLE_1)
	s_xor_b32 exec_lo, exec_lo, s14
	s_cbranch_execnz .LBB143_2807
.LBB143_2708:
	s_or_b32 exec_lo, exec_lo, s14
	v_mov_b32_e32 v12, s15
	s_and_saveexec_b32 s14, s13
.LBB143_2709:
	v_lshrrev_b32_e32 v6, 8, v6
	s_delay_alu instid0(VALU_DEP_1)
	v_and_or_b32 v12, 0x80, v6, v8
.LBB143_2710:
	s_or_b32 exec_lo, exec_lo, s14
.LBB143_2711:
	s_delay_alu instid0(SALU_CYCLE_1)
	s_or_b32 exec_lo, exec_lo, s10
	global_store_b8 v[3:4], v12, off
.LBB143_2712:
	s_mov_b32 s10, -1
.LBB143_2713:
	s_mov_b32 s13, 0
.LBB143_2714:
	s_delay_alu instid0(SALU_CYCLE_1)
	s_and_b32 vcc_lo, exec_lo, s13
	s_cbranch_vccz .LBB143_2754
; %bb.2715:
	v_cmp_gt_i16_e64 s7, s3, 22
	s_delay_alu instid0(VALU_DEP_1)
	s_and_b32 vcc_lo, exec_lo, s7
	s_mov_b32 s7, -1
	s_cbranch_vccz .LBB143_2747
; %bb.2716:
	v_cmp_lt_i16_e64 s7, s3, 24
	s_delay_alu instid0(VALU_DEP_1)
	s_and_b32 vcc_lo, exec_lo, s7
	s_mov_b32 s7, -1
	s_cbranch_vccnz .LBB143_2736
; %bb.2717:
	v_cmp_gt_i16_e64 s7, s3, 24
	s_delay_alu instid0(VALU_DEP_1)
	s_and_b32 vcc_lo, exec_lo, s7
	s_mov_b32 s7, -1
	s_cbranch_vccz .LBB143_2725
; %bb.2718:
	v_lshlrev_b32_e32 v10, 16, v5
	v_mov_b32_e32 v12, 0x80
	s_mov_b32 s7, exec_lo
	s_delay_alu instid0(VALU_DEP_2) | instskip(NEXT) | instid1(VALU_DEP_1)
	v_and_b32_e32 v8, 0x7fffffff, v10
	v_cmpx_gt_u32_e32 0x47800000, v8
	s_cbranch_execz .LBB143_2724
; %bb.2719:
	v_and_b32_e32 v6, 0xffff, v5
	v_cmp_lt_u32_e32 vcc_lo, 0x37ffffff, v8
	s_mov_b32 s10, 0
                                        ; implicit-def: $vgpr8
	s_and_saveexec_b32 s13, vcc_lo
	s_delay_alu instid0(SALU_CYCLE_1)
	s_xor_b32 s13, exec_lo, s13
	s_cbranch_execz .LBB143_2813
; %bb.2720:
	v_bfe_u32 v8, v6, 5, 1
	s_mov_b32 s10, exec_lo
	s_delay_alu instid0(VALU_DEP_1) | instskip(NEXT) | instid1(VALU_DEP_1)
	v_add3_u32 v8, v10, v8, 0x88fffff
                                        ; implicit-def: $vgpr10
	v_lshrrev_b32_e32 v8, 21, v8
	s_or_saveexec_b32 s13, s13
                                        ; implicit-def: $sgpr14
	s_delay_alu instid0(SALU_CYCLE_1)
	s_xor_b32 exec_lo, exec_lo, s13
	s_cbranch_execnz .LBB143_2814
.LBB143_2721:
	s_or_b32 exec_lo, exec_lo, s13
	v_mov_b32_e32 v12, s14
	s_and_saveexec_b32 s13, s10
.LBB143_2722:
	v_lshrrev_b32_e32 v6, 8, v6
	s_delay_alu instid0(VALU_DEP_1)
	v_and_or_b32 v12, 0x80, v6, v8
.LBB143_2723:
	s_or_b32 exec_lo, exec_lo, s13
.LBB143_2724:
	s_delay_alu instid0(SALU_CYCLE_1)
	s_or_b32 exec_lo, exec_lo, s7
	s_mov_b32 s7, 0
	global_store_b8 v[3:4], v12, off
.LBB143_2725:
	s_and_b32 vcc_lo, exec_lo, s7
	s_cbranch_vccz .LBB143_2735
; %bb.2726:
	v_lshlrev_b32_e32 v10, 16, v5
	v_and_b32_e32 v6, 0xffff, v5
	s_mov_b32 s7, exec_lo
                                        ; implicit-def: $vgpr8
	s_delay_alu instid0(VALU_DEP_2) | instskip(NEXT) | instid1(VALU_DEP_1)
	v_and_b32_e32 v12, 0x7fffffff, v10
	v_cmpx_gt_u32_e32 0x43f00000, v12
	s_xor_b32 s7, exec_lo, s7
	s_cbranch_execz .LBB143_2732
; %bb.2727:
	s_mov_b32 s10, exec_lo
                                        ; implicit-def: $vgpr8
	v_cmpx_lt_u32_e32 0x3c7fffff, v12
	s_xor_b32 s10, exec_lo, s10
; %bb.2728:
	v_bfe_u32 v8, v6, 4, 1
	s_delay_alu instid0(VALU_DEP_1) | instskip(NEXT) | instid1(VALU_DEP_1)
	v_add3_u32 v8, v10, v8, 0x407ffff
	v_and_b32_e32 v10, 0xff00000, v8
	v_lshrrev_b32_e32 v8, 20, v8
	s_delay_alu instid0(VALU_DEP_2) | instskip(NEXT) | instid1(VALU_DEP_2)
	v_cmp_ne_u32_e32 vcc_lo, 0x7f00000, v10
                                        ; implicit-def: $vgpr10
	v_cndmask_b32_e32 v8, 0x7e, v8, vcc_lo
; %bb.2729:
	s_and_not1_saveexec_b32 s10, s10
; %bb.2730:
	v_add_f32_e64 v8, 0x46800000, |v10|
; %bb.2731:
	s_or_b32 exec_lo, exec_lo, s10
                                        ; implicit-def: $vgpr12
.LBB143_2732:
	s_and_not1_saveexec_b32 s7, s7
; %bb.2733:
	v_mov_b32_e32 v8, 0x7f
	v_cmp_lt_u32_e32 vcc_lo, 0x7f800000, v12
	s_delay_alu instid0(VALU_DEP_2)
	v_cndmask_b32_e32 v8, 0x7e, v8, vcc_lo
; %bb.2734:
	s_or_b32 exec_lo, exec_lo, s7
	v_lshrrev_b32_e32 v6, 8, v6
	s_delay_alu instid0(VALU_DEP_1)
	v_and_or_b32 v6, 0x80, v6, v8
	global_store_b8 v[3:4], v6, off
.LBB143_2735:
	s_mov_b32 s7, 0
.LBB143_2736:
	s_delay_alu instid0(SALU_CYCLE_1)
	s_and_not1_b32 vcc_lo, exec_lo, s7
	s_cbranch_vccnz .LBB143_2746
; %bb.2737:
	v_lshlrev_b32_e32 v10, 16, v5
	v_and_b32_e32 v6, 0xffff, v5
	s_mov_b32 s7, exec_lo
                                        ; implicit-def: $vgpr8
	s_delay_alu instid0(VALU_DEP_2) | instskip(NEXT) | instid1(VALU_DEP_1)
	v_and_b32_e32 v12, 0x7fffffff, v10
	v_cmpx_gt_u32_e32 0x47800000, v12
	s_xor_b32 s7, exec_lo, s7
	s_cbranch_execz .LBB143_2743
; %bb.2738:
	s_mov_b32 s10, exec_lo
                                        ; implicit-def: $vgpr8
	v_cmpx_lt_u32_e32 0x387fffff, v12
	s_xor_b32 s10, exec_lo, s10
; %bb.2739:
	v_bfe_u32 v8, v6, 5, 1
	s_delay_alu instid0(VALU_DEP_1) | instskip(NEXT) | instid1(VALU_DEP_1)
	v_add3_u32 v8, v10, v8, 0x80fffff
                                        ; implicit-def: $vgpr10
	v_lshrrev_b32_e32 v8, 21, v8
; %bb.2740:
	s_and_not1_saveexec_b32 s10, s10
; %bb.2741:
	v_add_f32_e64 v8, 0x43000000, |v10|
; %bb.2742:
	s_or_b32 exec_lo, exec_lo, s10
                                        ; implicit-def: $vgpr12
.LBB143_2743:
	s_and_not1_saveexec_b32 s7, s7
; %bb.2744:
	v_mov_b32_e32 v8, 0x7f
	v_cmp_lt_u32_e32 vcc_lo, 0x7f800000, v12
	s_delay_alu instid0(VALU_DEP_2)
	v_cndmask_b32_e32 v8, 0x7c, v8, vcc_lo
; %bb.2745:
	s_or_b32 exec_lo, exec_lo, s7
	v_lshrrev_b32_e32 v6, 8, v6
	s_delay_alu instid0(VALU_DEP_1)
	v_and_or_b32 v6, 0x80, v6, v8
	global_store_b8 v[3:4], v6, off
.LBB143_2746:
	s_mov_b32 s7, 0
	s_mov_b32 s10, -1
.LBB143_2747:
	s_and_not1_b32 vcc_lo, exec_lo, s7
	s_mov_b32 s7, 0
	s_cbranch_vccnz .LBB143_2754
; %bb.2748:
	v_cmp_gt_i16_e64 s7, s3, 14
	s_delay_alu instid0(VALU_DEP_1)
	s_and_b32 vcc_lo, exec_lo, s7
	s_mov_b32 s7, -1
	s_cbranch_vccz .LBB143_2752
; %bb.2749:
	v_cmp_eq_u16_e64 s0, s3, 15
	s_delay_alu instid0(VALU_DEP_1)
	s_and_b32 vcc_lo, exec_lo, s0
	s_mov_b32 s0, -1
	s_cbranch_vccz .LBB143_2751
; %bb.2750:
	s_mov_b32 s0, 0
	s_mov_b32 s10, -1
	global_store_b16 v[3:4], v5, off
.LBB143_2751:
	s_mov_b32 s7, 0
.LBB143_2752:
	s_delay_alu instid0(SALU_CYCLE_1)
	s_and_b32 vcc_lo, exec_lo, s7
	s_mov_b32 s7, 0
	s_cbranch_vccz .LBB143_2754
; %bb.2753:
	v_cmp_ne_u16_e64 s0, s3, 11
	s_mov_b32 s7, -1
.LBB143_2754:
	s_delay_alu instid0(VALU_DEP_1)
	s_and_b32 vcc_lo, exec_lo, s0
	s_cbranch_vccnz .LBB143_2811
; %bb.2755:
	s_and_not1_b32 vcc_lo, exec_lo, s7
	s_cbranch_vccnz .LBB143_2757
.LBB143_2756:
	v_and_b32_e32 v6, 0x7fff, v5
	s_mov_b32 s10, -1
	s_delay_alu instid0(VALU_DEP_1)
	v_cmp_ne_u16_e32 vcc_lo, 0, v6
	v_cndmask_b32_e64 v6, 0, 1, vcc_lo
	global_store_b8 v[3:4], v6, off
.LBB143_2757:
	s_mov_b32 s0, 0
.LBB143_2758:
	s_delay_alu instid0(SALU_CYCLE_1)
	s_and_b32 vcc_lo, exec_lo, s0
	s_cbranch_vccz .LBB143_2797
; %bb.2759:
	v_cmp_lt_i16_e64 s0, s3, 5
	s_delay_alu instid0(VALU_DEP_1)
	s_and_b32 vcc_lo, exec_lo, s0
	s_mov_b32 s0, -1
	s_cbranch_vccnz .LBB143_2780
; %bb.2760:
	v_cmp_lt_i16_e64 s0, s3, 8
	s_delay_alu instid0(VALU_DEP_1)
	s_and_b32 vcc_lo, exec_lo, s0
	s_mov_b32 s0, -1
	s_cbranch_vccnz .LBB143_2770
	;; [unrolled: 6-line block ×3, first 2 shown]
; %bb.2762:
	v_cmp_gt_i16_e64 s0, s3, 9
	s_delay_alu instid0(VALU_DEP_1)
	s_and_b32 vcc_lo, exec_lo, s0
	s_mov_b32 s0, -1
	s_cbranch_vccz .LBB143_2764
; %bb.2763:
	v_mov_b32_e32 v14, 0
	v_lshlrev_b32_e32 v6, 16, v5
	s_mov_b32 s0, 0
	s_delay_alu instid0(VALU_DEP_2) | instskip(NEXT) | instid1(VALU_DEP_2)
	v_mov_b32_e32 v15, v14
	v_cvt_f64_f32_e32 v[12:13], v6
	global_store_b128 v[3:4], v[12:15], off
.LBB143_2764:
	s_and_not1_b32 vcc_lo, exec_lo, s0
	s_cbranch_vccnz .LBB143_2766
; %bb.2765:
	v_dual_mov_b32 v13, 0 :: v_dual_lshlrev_b32 v12, 16, v5
	global_store_b64 v[3:4], v[12:13], off
.LBB143_2766:
	s_mov_b32 s0, 0
.LBB143_2767:
	s_delay_alu instid0(SALU_CYCLE_1)
	s_and_not1_b32 vcc_lo, exec_lo, s0
	s_cbranch_vccnz .LBB143_2769
; %bb.2768:
	v_lshlrev_b32_e32 v6, 16, v5
	s_delay_alu instid0(VALU_DEP_1) | instskip(NEXT) | instid1(VALU_DEP_1)
	v_cvt_f16_f32_e32 v6, v6
	v_and_b32_e32 v6, 0xffff, v6
	global_store_b32 v[3:4], v6, off
.LBB143_2769:
	s_mov_b32 s0, 0
.LBB143_2770:
	s_delay_alu instid0(SALU_CYCLE_1)
	s_and_not1_b32 vcc_lo, exec_lo, s0
	s_cbranch_vccnz .LBB143_2779
; %bb.2771:
	v_cmp_lt_i16_e64 s0, s3, 6
	s_delay_alu instid0(VALU_DEP_1)
	s_and_b32 vcc_lo, exec_lo, s0
	s_mov_b32 s0, -1
	s_cbranch_vccnz .LBB143_2777
; %bb.2772:
	v_cmp_gt_i16_e64 s0, s3, 6
	s_delay_alu instid0(VALU_DEP_1)
	s_and_b32 vcc_lo, exec_lo, s0
	s_mov_b32 s0, -1
	s_cbranch_vccz .LBB143_2774
; %bb.2773:
	v_lshlrev_b32_e32 v6, 16, v5
	s_mov_b32 s0, 0
	s_delay_alu instid0(VALU_DEP_1)
	v_cvt_f64_f32_e32 v[12:13], v6
	global_store_b64 v[3:4], v[12:13], off
.LBB143_2774:
	s_and_not1_b32 vcc_lo, exec_lo, s0
	s_cbranch_vccnz .LBB143_2776
; %bb.2775:
	v_lshlrev_b32_e32 v6, 16, v5
	global_store_b32 v[3:4], v6, off
.LBB143_2776:
	s_mov_b32 s0, 0
.LBB143_2777:
	s_delay_alu instid0(SALU_CYCLE_1)
	s_and_not1_b32 vcc_lo, exec_lo, s0
	s_cbranch_vccnz .LBB143_2779
; %bb.2778:
	v_lshlrev_b32_e32 v6, 16, v5
	s_delay_alu instid0(VALU_DEP_1)
	v_cvt_f16_f32_e32 v6, v6
	global_store_b16 v[3:4], v6, off
.LBB143_2779:
	s_mov_b32 s0, 0
.LBB143_2780:
	s_delay_alu instid0(SALU_CYCLE_1)
	s_and_not1_b32 vcc_lo, exec_lo, s0
	s_cbranch_vccnz .LBB143_2796
; %bb.2781:
	v_cmp_lt_i16_e64 s0, s3, 2
	s_delay_alu instid0(VALU_DEP_1)
	s_and_b32 vcc_lo, exec_lo, s0
	s_mov_b32 s0, -1
	s_cbranch_vccnz .LBB143_2791
; %bb.2782:
	v_cmp_lt_i16_e64 s0, s3, 3
	s_delay_alu instid0(VALU_DEP_1)
	s_and_b32 vcc_lo, exec_lo, s0
	s_mov_b32 s0, -1
	s_cbranch_vccnz .LBB143_2788
; %bb.2783:
	v_cmp_gt_i16_e64 s0, s3, 3
	s_delay_alu instid0(VALU_DEP_1)
	s_and_b32 vcc_lo, exec_lo, s0
	s_mov_b32 s0, -1
	s_cbranch_vccz .LBB143_2785
; %bb.2784:
	v_lshlrev_b32_e32 v6, 16, v5
	s_mov_b32 s0, 0
	s_delay_alu instid0(VALU_DEP_1) | instskip(NEXT) | instid1(VALU_DEP_1)
	v_trunc_f32_e32 v6, v6
	v_mul_f32_e64 v8, 0x2f800000, |v6|
	s_delay_alu instid0(VALU_DEP_1) | instskip(NEXT) | instid1(VALU_DEP_1)
	v_floor_f32_e32 v8, v8
	v_fma_f32 v10, 0xcf800000, v8, |v6|
	v_ashrrev_i32_e32 v6, 31, v6
	v_cvt_u32_f32_e32 v8, v8
	s_delay_alu instid0(VALU_DEP_3) | instskip(NEXT) | instid1(VALU_DEP_2)
	v_cvt_u32_f32_e32 v10, v10
	v_xor_b32_e32 v8, v8, v6
	s_delay_alu instid0(VALU_DEP_2) | instskip(NEXT) | instid1(VALU_DEP_1)
	v_xor_b32_e32 v10, v10, v6
	v_sub_co_u32 v12, vcc_lo, v10, v6
	s_delay_alu instid0(VALU_DEP_3)
	v_sub_co_ci_u32_e32 v13, vcc_lo, v8, v6, vcc_lo
	global_store_b64 v[3:4], v[12:13], off
.LBB143_2785:
	s_and_not1_b32 vcc_lo, exec_lo, s0
	s_cbranch_vccnz .LBB143_2787
; %bb.2786:
	v_lshlrev_b32_e32 v6, 16, v5
	s_delay_alu instid0(VALU_DEP_1)
	v_cvt_i32_f32_e32 v6, v6
	global_store_b32 v[3:4], v6, off
.LBB143_2787:
	s_mov_b32 s0, 0
.LBB143_2788:
	s_delay_alu instid0(SALU_CYCLE_1)
	s_and_not1_b32 vcc_lo, exec_lo, s0
	s_cbranch_vccnz .LBB143_2790
; %bb.2789:
	v_lshlrev_b32_e32 v6, 16, v5
	s_delay_alu instid0(VALU_DEP_1)
	v_cvt_i32_f32_e32 v6, v6
	global_store_b16 v[3:4], v6, off
.LBB143_2790:
	s_mov_b32 s0, 0
.LBB143_2791:
	s_delay_alu instid0(SALU_CYCLE_1)
	s_and_not1_b32 vcc_lo, exec_lo, s0
	s_cbranch_vccnz .LBB143_2796
; %bb.2792:
	v_cmp_gt_i16_e64 s0, s3, 0
	s_delay_alu instid0(VALU_DEP_1)
	s_and_b32 vcc_lo, exec_lo, s0
	s_mov_b32 s0, -1
	s_cbranch_vccz .LBB143_2794
; %bb.2793:
	v_lshlrev_b32_e32 v6, 16, v5
	s_mov_b32 s0, 0
	s_delay_alu instid0(VALU_DEP_1)
	v_cvt_i32_f32_e32 v6, v6
	global_store_b8 v[3:4], v6, off
.LBB143_2794:
	s_and_not1_b32 vcc_lo, exec_lo, s0
	s_cbranch_vccnz .LBB143_2796
; %bb.2795:
	v_lshlrev_b32_e32 v5, 16, v5
	s_delay_alu instid0(VALU_DEP_1) | instskip(NEXT) | instid1(VALU_DEP_1)
	v_trunc_f32_e32 v5, v5
	v_mul_f32_e64 v6, 0x2f800000, |v5|
	s_delay_alu instid0(VALU_DEP_1) | instskip(NEXT) | instid1(VALU_DEP_1)
	v_floor_f32_e32 v6, v6
	v_fma_f32 v6, 0xcf800000, v6, |v5|
	v_ashrrev_i32_e32 v5, 31, v5
	s_delay_alu instid0(VALU_DEP_2) | instskip(NEXT) | instid1(VALU_DEP_1)
	v_cvt_u32_f32_e32 v6, v6
	v_xor_b32_e32 v6, v6, v5
	s_delay_alu instid0(VALU_DEP_1)
	v_sub_nc_u32_e32 v5, v6, v5
	global_store_b8 v[3:4], v5, off
.LBB143_2796:
	s_mov_b32 s10, -1
.LBB143_2797:
	s_delay_alu instid0(SALU_CYCLE_1)
	s_and_not1_b32 vcc_lo, exec_lo, s10
	s_cbranch_vccnz .LBB143_3064
; %bb.2798:
	v_cndmask_b32_e64 v3, 0, 1.0, s11
	v_lshlrev_b32_e32 v4, 16, v11
	v_cmp_lt_i16_e64 s0, s3, 11
	v_add_co_u32 v2, s7, s4, v2
	s_mov_b32 s10, 0
	s_delay_alu instid0(VALU_DEP_3) | instskip(NEXT) | instid1(VALU_DEP_1)
	v_mul_f32_e32 v3, v4, v3
	v_mul_f32_e32 v4, s2, v3
	s_delay_alu instid0(VALU_DEP_1) | instskip(SKIP_1) | instid1(VALU_DEP_2)
	v_bfe_u32 v3, v4, 16, 1
	v_cmp_o_f32_e32 vcc_lo, v4, v4
	v_add3_u32 v3, v4, v3, 0x7fff
	s_delay_alu instid0(VALU_DEP_1) | instskip(SKIP_1) | instid1(VALU_DEP_2)
	v_lshrrev_b32_e32 v5, 16, v3
	v_add_co_ci_u32_e64 v3, null, s5, 0, s7
	v_cndmask_b32_e32 v4, 0x7fc0, v5, vcc_lo
	s_and_b32 vcc_lo, exec_lo, s0
	s_mov_b32 s0, -1
	s_cbranch_vccnz .LBB143_2887
; %bb.2799:
	v_cmp_gt_i16_e64 s0, s3, 25
	s_mov_b32 s11, -1
	s_mov_b32 s7, 0
	s_delay_alu instid0(VALU_DEP_1)
	s_and_b32 vcc_lo, exec_lo, s0
	s_mov_b32 s0, 0
	s_cbranch_vccz .LBB143_2843
; %bb.2800:
	v_cmp_gt_i16_e64 s0, s3, 28
	s_delay_alu instid0(VALU_DEP_1)
	s_and_b32 vcc_lo, exec_lo, s0
	s_cbranch_vccz .LBB143_2805
; %bb.2801:
	v_cmp_gt_i16_e64 s0, s3, 43
	s_delay_alu instid0(VALU_DEP_1)
	s_and_b32 vcc_lo, exec_lo, s0
	;; [unrolled: 5-line block ×3, first 2 shown]
	s_cbranch_vccz .LBB143_2815
; %bb.2803:
	v_cmp_eq_u16_e64 s10, s3, 46
	s_mov_b32 s0, -1
	s_mov_b32 s11, 0
	s_delay_alu instid0(VALU_DEP_1)
	s_and_b32 vcc_lo, exec_lo, s10
	s_mov_b32 s10, 0
	s_cbranch_vccz .LBB143_2816
; %bb.2804:
	v_and_b32_e32 v5, 0xffff, v4
	s_mov_b32 s0, 0
	s_mov_b32 s10, -1
	global_store_b32 v[2:3], v5, off
	s_branch .LBB143_2816
.LBB143_2805:
	s_mov_b32 s0, 0
	s_branch .LBB143_2826
.LBB143_2806:
	s_or_saveexec_b32 s14, s14
                                        ; implicit-def: $sgpr15
	s_delay_alu instid0(SALU_CYCLE_1)
	s_xor_b32 exec_lo, exec_lo, s14
	s_cbranch_execz .LBB143_2708
.LBB143_2807:
	v_add_f32_e64 v8, 0x46000000, |v10|
	s_and_not1_b32 s13, s13, exec_lo
	s_mov_b32 s15, 0
	s_delay_alu instid0(VALU_DEP_1) | instskip(NEXT) | instid1(VALU_DEP_1)
	v_and_b32_e32 v8, 0xff, v8
	v_cmp_ne_u32_e32 vcc_lo, 0, v8
	s_and_b32 s16, vcc_lo, exec_lo
	s_delay_alu instid0(SALU_CYCLE_1)
	s_or_b32 s13, s13, s16
	s_or_b32 exec_lo, exec_lo, s14
	v_mov_b32_e32 v12, s15
	s_and_saveexec_b32 s14, s13
	s_cbranch_execnz .LBB143_2709
	s_branch .LBB143_2710
.LBB143_2808:
	s_mov_b32 s0, 0
	s_branch .LBB143_2822
.LBB143_2809:
	s_trap 2
	s_sendmsg_rtn_b32 s0, sendmsg(MSG_RTN_GET_DOORBELL)
	s_mov_b32 ttmp2, m0
	s_waitcnt lgkmcnt(0)
	s_and_b32 s0, s0, 0x3ff
	s_delay_alu instid0(SALU_CYCLE_1) | instskip(NEXT) | instid1(SALU_CYCLE_1)
	s_bitset1_b32 s0, 10
	s_mov_b32 m0, s0
	s_sendmsg sendmsg(MSG_INTERRUPT)
	s_mov_b32 m0, ttmp2
.LBB143_2810:                           ; =>This Inner Loop Header: Depth=1
	s_sethalt 5
	s_branch .LBB143_2810
.LBB143_2811:
	s_cbranch_execnz .LBB143_2938
; %bb.2812:
	s_or_b32 s1, s1, exec_lo
	s_cbranch_execz .LBB143_2756
	s_branch .LBB143_2757
.LBB143_2813:
	s_or_saveexec_b32 s13, s13
                                        ; implicit-def: $sgpr14
	s_delay_alu instid0(SALU_CYCLE_1)
	s_xor_b32 exec_lo, exec_lo, s13
	s_cbranch_execz .LBB143_2721
.LBB143_2814:
	v_add_f32_e64 v8, 0x42800000, |v10|
	s_and_not1_b32 s10, s10, exec_lo
	s_mov_b32 s14, 0
	s_delay_alu instid0(VALU_DEP_1) | instskip(NEXT) | instid1(VALU_DEP_1)
	v_and_b32_e32 v8, 0xff, v8
	v_cmp_ne_u32_e32 vcc_lo, 0, v8
	s_and_b32 s15, vcc_lo, exec_lo
	s_delay_alu instid0(SALU_CYCLE_1)
	s_or_b32 s10, s10, s15
	s_or_b32 exec_lo, exec_lo, s13
	v_mov_b32_e32 v12, s14
	s_and_saveexec_b32 s13, s10
	s_cbranch_execnz .LBB143_2722
	s_branch .LBB143_2723
.LBB143_2815:
	s_mov_b32 s0, 0
.LBB143_2816:
	s_and_b32 vcc_lo, exec_lo, s11
	s_cbranch_vccz .LBB143_2821
; %bb.2817:
	v_cmp_eq_u16_e64 s0, s3, 44
	s_delay_alu instid0(VALU_DEP_1)
	s_and_b32 vcc_lo, exec_lo, s0
	s_mov_b32 s0, -1
	s_cbranch_vccz .LBB143_2821
; %bb.2818:
	v_and_b32_e32 v5, 0xffff, v4
	v_mov_b32_e32 v6, 0xff
	s_mov_b32 s10, exec_lo
	s_delay_alu instid0(VALU_DEP_2) | instskip(NEXT) | instid1(VALU_DEP_1)
	v_bfe_u32 v8, v5, 7, 8
	v_cmpx_ne_u32_e32 0xff, v8
; %bb.2819:
	v_lshlrev_b32_e32 v6, 16, v5
	v_and_b32_e32 v10, 64, v5
	v_lshrrev_b32_e32 v5, 7, v5
	s_delay_alu instid0(VALU_DEP_3) | instskip(NEXT) | instid1(VALU_DEP_3)
	v_and_or_b32 v6, 0x3f0000, v6, v8
	v_cmp_ne_u32_e32 vcc_lo, 0, v10
	s_delay_alu instid0(VALU_DEP_2) | instskip(NEXT) | instid1(VALU_DEP_1)
	v_cmp_ne_u32_e64 s0, 0, v6
	s_and_b32 s0, vcc_lo, s0
	s_delay_alu instid0(SALU_CYCLE_1) | instskip(NEXT) | instid1(VALU_DEP_1)
	v_cndmask_b32_e64 v6, 0, 1, s0
	v_add_nc_u32_e32 v6, v5, v6
; %bb.2820:
	s_or_b32 exec_lo, exec_lo, s10
	s_mov_b32 s0, 0
	s_mov_b32 s10, -1
	global_store_b8 v[2:3], v6, off
.LBB143_2821:
	s_mov_b32 s11, 0
.LBB143_2822:
	s_delay_alu instid0(SALU_CYCLE_1)
	s_and_b32 vcc_lo, exec_lo, s11
	s_cbranch_vccz .LBB143_2825
; %bb.2823:
	v_cmp_eq_u16_e64 s0, s3, 29
	s_delay_alu instid0(VALU_DEP_1)
	s_and_b32 vcc_lo, exec_lo, s0
	s_mov_b32 s0, -1
	s_cbranch_vccz .LBB143_2825
; %bb.2824:
	v_lshlrev_b32_e32 v5, 16, v4
	s_mov_b32 s0, 0
	s_mov_b32 s10, -1
	s_mov_b32 s11, 0
	s_delay_alu instid0(VALU_DEP_1) | instskip(NEXT) | instid1(VALU_DEP_1)
	v_trunc_f32_e32 v5, v5
	v_mul_f32_e32 v6, 0x2f800000, v5
	s_delay_alu instid0(VALU_DEP_1) | instskip(NEXT) | instid1(VALU_DEP_1)
	v_floor_f32_e32 v6, v6
	v_fmamk_f32 v5, v6, 0xcf800000, v5
	v_cvt_u32_f32_e32 v6, v6
	s_delay_alu instid0(VALU_DEP_2)
	v_cvt_u32_f32_e32 v5, v5
	global_store_b64 v[2:3], v[5:6], off
	s_branch .LBB143_2826
.LBB143_2825:
	s_mov_b32 s11, 0
.LBB143_2826:
	s_delay_alu instid0(SALU_CYCLE_1)
	s_and_b32 vcc_lo, exec_lo, s11
	s_cbranch_vccz .LBB143_2842
; %bb.2827:
	v_cmp_lt_i16_e64 s10, s3, 27
	s_delay_alu instid0(VALU_DEP_1)
	s_and_b32 vcc_lo, exec_lo, s10
	s_mov_b32 s10, -1
	s_cbranch_vccnz .LBB143_2833
; %bb.2828:
	v_cmp_gt_i16_e64 s10, s3, 27
	s_delay_alu instid0(VALU_DEP_1)
	s_and_b32 vcc_lo, exec_lo, s10
	s_mov_b32 s10, -1
	s_cbranch_vccz .LBB143_2830
; %bb.2829:
	v_lshlrev_b32_e32 v5, 16, v4
	s_mov_b32 s10, 0
	s_delay_alu instid0(VALU_DEP_1)
	v_cvt_u32_f32_e32 v5, v5
	global_store_b32 v[2:3], v5, off
.LBB143_2830:
	s_and_not1_b32 vcc_lo, exec_lo, s10
	s_cbranch_vccnz .LBB143_2832
; %bb.2831:
	v_lshlrev_b32_e32 v5, 16, v4
	s_delay_alu instid0(VALU_DEP_1)
	v_cvt_u32_f32_e32 v5, v5
	global_store_b16 v[2:3], v5, off
.LBB143_2832:
	s_mov_b32 s10, 0
.LBB143_2833:
	s_delay_alu instid0(SALU_CYCLE_1)
	s_and_not1_b32 vcc_lo, exec_lo, s10
	s_cbranch_vccnz .LBB143_2841
; %bb.2834:
	v_lshlrev_b32_e32 v8, 16, v4
	v_mov_b32_e32 v10, 0x80
	s_mov_b32 s10, exec_lo
	s_delay_alu instid0(VALU_DEP_2) | instskip(NEXT) | instid1(VALU_DEP_1)
	v_and_b32_e32 v6, 0x7fffffff, v8
	v_cmpx_gt_u32_e32 0x43800000, v6
	s_cbranch_execz .LBB143_2840
; %bb.2835:
	v_and_b32_e32 v5, 0xffff, v4
	v_cmp_lt_u32_e32 vcc_lo, 0x3bffffff, v6
	s_mov_b32 s11, 0
                                        ; implicit-def: $vgpr6
	s_and_saveexec_b32 s13, vcc_lo
	s_delay_alu instid0(SALU_CYCLE_1)
	s_xor_b32 s13, exec_lo, s13
	s_cbranch_execz .LBB143_2935
; %bb.2836:
	v_bfe_u32 v6, v5, 4, 1
	s_mov_b32 s11, exec_lo
	s_delay_alu instid0(VALU_DEP_1) | instskip(NEXT) | instid1(VALU_DEP_1)
	v_add3_u32 v6, v8, v6, 0x487ffff
                                        ; implicit-def: $vgpr8
	v_lshrrev_b32_e32 v6, 20, v6
	s_or_saveexec_b32 s13, s13
                                        ; implicit-def: $sgpr14
	s_delay_alu instid0(SALU_CYCLE_1)
	s_xor_b32 exec_lo, exec_lo, s13
	s_cbranch_execnz .LBB143_2936
.LBB143_2837:
	s_or_b32 exec_lo, exec_lo, s13
	v_mov_b32_e32 v10, s14
	s_and_saveexec_b32 s13, s11
.LBB143_2838:
	v_lshrrev_b32_e32 v5, 8, v5
	s_delay_alu instid0(VALU_DEP_1)
	v_and_or_b32 v10, 0x80, v5, v6
.LBB143_2839:
	s_or_b32 exec_lo, exec_lo, s13
.LBB143_2840:
	s_delay_alu instid0(SALU_CYCLE_1)
	s_or_b32 exec_lo, exec_lo, s10
	global_store_b8 v[2:3], v10, off
.LBB143_2841:
	s_mov_b32 s10, -1
.LBB143_2842:
	s_mov_b32 s11, 0
.LBB143_2843:
	s_delay_alu instid0(SALU_CYCLE_1)
	s_and_b32 vcc_lo, exec_lo, s11
	s_cbranch_vccz .LBB143_2883
; %bb.2844:
	v_cmp_gt_i16_e64 s7, s3, 22
	s_delay_alu instid0(VALU_DEP_1)
	s_and_b32 vcc_lo, exec_lo, s7
	s_mov_b32 s7, -1
	s_cbranch_vccz .LBB143_2876
; %bb.2845:
	v_cmp_lt_i16_e64 s7, s3, 24
	s_delay_alu instid0(VALU_DEP_1)
	s_and_b32 vcc_lo, exec_lo, s7
	s_mov_b32 s7, -1
	s_cbranch_vccnz .LBB143_2865
; %bb.2846:
	v_cmp_gt_i16_e64 s7, s3, 24
	s_delay_alu instid0(VALU_DEP_1)
	s_and_b32 vcc_lo, exec_lo, s7
	s_mov_b32 s7, -1
	s_cbranch_vccz .LBB143_2854
; %bb.2847:
	v_lshlrev_b32_e32 v8, 16, v4
	v_mov_b32_e32 v10, 0x80
	s_mov_b32 s7, exec_lo
	s_delay_alu instid0(VALU_DEP_2) | instskip(NEXT) | instid1(VALU_DEP_1)
	v_and_b32_e32 v6, 0x7fffffff, v8
	v_cmpx_gt_u32_e32 0x47800000, v6
	s_cbranch_execz .LBB143_2853
; %bb.2848:
	v_and_b32_e32 v5, 0xffff, v4
	v_cmp_lt_u32_e32 vcc_lo, 0x37ffffff, v6
	s_mov_b32 s10, 0
                                        ; implicit-def: $vgpr6
	s_and_saveexec_b32 s11, vcc_lo
	s_delay_alu instid0(SALU_CYCLE_1)
	s_xor_b32 s11, exec_lo, s11
	s_cbranch_execz .LBB143_2942
; %bb.2849:
	v_bfe_u32 v6, v5, 5, 1
	s_mov_b32 s10, exec_lo
	s_delay_alu instid0(VALU_DEP_1) | instskip(NEXT) | instid1(VALU_DEP_1)
	v_add3_u32 v6, v8, v6, 0x88fffff
                                        ; implicit-def: $vgpr8
	v_lshrrev_b32_e32 v6, 21, v6
	s_or_saveexec_b32 s11, s11
                                        ; implicit-def: $sgpr13
	s_delay_alu instid0(SALU_CYCLE_1)
	s_xor_b32 exec_lo, exec_lo, s11
	s_cbranch_execnz .LBB143_2943
.LBB143_2850:
	s_or_b32 exec_lo, exec_lo, s11
	v_mov_b32_e32 v10, s13
	s_and_saveexec_b32 s11, s10
.LBB143_2851:
	v_lshrrev_b32_e32 v5, 8, v5
	s_delay_alu instid0(VALU_DEP_1)
	v_and_or_b32 v10, 0x80, v5, v6
.LBB143_2852:
	s_or_b32 exec_lo, exec_lo, s11
.LBB143_2853:
	s_delay_alu instid0(SALU_CYCLE_1)
	s_or_b32 exec_lo, exec_lo, s7
	s_mov_b32 s7, 0
	global_store_b8 v[2:3], v10, off
.LBB143_2854:
	s_and_b32 vcc_lo, exec_lo, s7
	s_cbranch_vccz .LBB143_2864
; %bb.2855:
	v_lshlrev_b32_e32 v8, 16, v4
	v_and_b32_e32 v5, 0xffff, v4
	s_mov_b32 s7, exec_lo
                                        ; implicit-def: $vgpr6
	s_delay_alu instid0(VALU_DEP_2) | instskip(NEXT) | instid1(VALU_DEP_1)
	v_and_b32_e32 v10, 0x7fffffff, v8
	v_cmpx_gt_u32_e32 0x43f00000, v10
	s_xor_b32 s7, exec_lo, s7
	s_cbranch_execz .LBB143_2861
; %bb.2856:
	s_mov_b32 s10, exec_lo
                                        ; implicit-def: $vgpr6
	v_cmpx_lt_u32_e32 0x3c7fffff, v10
	s_xor_b32 s10, exec_lo, s10
; %bb.2857:
	v_bfe_u32 v6, v5, 4, 1
	s_delay_alu instid0(VALU_DEP_1) | instskip(NEXT) | instid1(VALU_DEP_1)
	v_add3_u32 v6, v8, v6, 0x407ffff
	v_and_b32_e32 v8, 0xff00000, v6
	v_lshrrev_b32_e32 v6, 20, v6
	s_delay_alu instid0(VALU_DEP_2) | instskip(NEXT) | instid1(VALU_DEP_2)
	v_cmp_ne_u32_e32 vcc_lo, 0x7f00000, v8
                                        ; implicit-def: $vgpr8
	v_cndmask_b32_e32 v6, 0x7e, v6, vcc_lo
; %bb.2858:
	s_and_not1_saveexec_b32 s10, s10
; %bb.2859:
	v_add_f32_e64 v6, 0x46800000, |v8|
; %bb.2860:
	s_or_b32 exec_lo, exec_lo, s10
                                        ; implicit-def: $vgpr10
.LBB143_2861:
	s_and_not1_saveexec_b32 s7, s7
; %bb.2862:
	v_mov_b32_e32 v6, 0x7f
	v_cmp_lt_u32_e32 vcc_lo, 0x7f800000, v10
	s_delay_alu instid0(VALU_DEP_2)
	v_cndmask_b32_e32 v6, 0x7e, v6, vcc_lo
; %bb.2863:
	s_or_b32 exec_lo, exec_lo, s7
	v_lshrrev_b32_e32 v5, 8, v5
	s_delay_alu instid0(VALU_DEP_1)
	v_and_or_b32 v5, 0x80, v5, v6
	global_store_b8 v[2:3], v5, off
.LBB143_2864:
	s_mov_b32 s7, 0
.LBB143_2865:
	s_delay_alu instid0(SALU_CYCLE_1)
	s_and_not1_b32 vcc_lo, exec_lo, s7
	s_cbranch_vccnz .LBB143_2875
; %bb.2866:
	v_lshlrev_b32_e32 v8, 16, v4
	v_and_b32_e32 v5, 0xffff, v4
	s_mov_b32 s7, exec_lo
                                        ; implicit-def: $vgpr6
	s_delay_alu instid0(VALU_DEP_2) | instskip(NEXT) | instid1(VALU_DEP_1)
	v_and_b32_e32 v10, 0x7fffffff, v8
	v_cmpx_gt_u32_e32 0x47800000, v10
	s_xor_b32 s7, exec_lo, s7
	s_cbranch_execz .LBB143_2872
; %bb.2867:
	s_mov_b32 s10, exec_lo
                                        ; implicit-def: $vgpr6
	v_cmpx_lt_u32_e32 0x387fffff, v10
	s_xor_b32 s10, exec_lo, s10
; %bb.2868:
	v_bfe_u32 v6, v5, 5, 1
	s_delay_alu instid0(VALU_DEP_1) | instskip(NEXT) | instid1(VALU_DEP_1)
	v_add3_u32 v6, v8, v6, 0x80fffff
                                        ; implicit-def: $vgpr8
	v_lshrrev_b32_e32 v6, 21, v6
; %bb.2869:
	s_and_not1_saveexec_b32 s10, s10
; %bb.2870:
	v_add_f32_e64 v6, 0x43000000, |v8|
; %bb.2871:
	s_or_b32 exec_lo, exec_lo, s10
                                        ; implicit-def: $vgpr10
.LBB143_2872:
	s_and_not1_saveexec_b32 s7, s7
; %bb.2873:
	v_mov_b32_e32 v6, 0x7f
	v_cmp_lt_u32_e32 vcc_lo, 0x7f800000, v10
	s_delay_alu instid0(VALU_DEP_2)
	v_cndmask_b32_e32 v6, 0x7c, v6, vcc_lo
; %bb.2874:
	s_or_b32 exec_lo, exec_lo, s7
	v_lshrrev_b32_e32 v5, 8, v5
	s_delay_alu instid0(VALU_DEP_1)
	v_and_or_b32 v5, 0x80, v5, v6
	global_store_b8 v[2:3], v5, off
.LBB143_2875:
	s_mov_b32 s7, 0
	s_mov_b32 s10, -1
.LBB143_2876:
	s_and_not1_b32 vcc_lo, exec_lo, s7
	s_mov_b32 s7, 0
	s_cbranch_vccnz .LBB143_2883
; %bb.2877:
	v_cmp_gt_i16_e64 s7, s3, 14
	s_delay_alu instid0(VALU_DEP_1)
	s_and_b32 vcc_lo, exec_lo, s7
	s_mov_b32 s7, -1
	s_cbranch_vccz .LBB143_2881
; %bb.2878:
	v_cmp_eq_u16_e64 s0, s3, 15
	s_delay_alu instid0(VALU_DEP_1)
	s_and_b32 vcc_lo, exec_lo, s0
	s_mov_b32 s0, -1
	s_cbranch_vccz .LBB143_2880
; %bb.2879:
	s_mov_b32 s0, 0
	s_mov_b32 s10, -1
	global_store_b16 v[2:3], v4, off
.LBB143_2880:
	s_mov_b32 s7, 0
.LBB143_2881:
	s_delay_alu instid0(SALU_CYCLE_1)
	s_and_b32 vcc_lo, exec_lo, s7
	s_mov_b32 s7, 0
	s_cbranch_vccz .LBB143_2883
; %bb.2882:
	v_cmp_ne_u16_e64 s0, s3, 11
	s_mov_b32 s7, -1
.LBB143_2883:
	s_delay_alu instid0(VALU_DEP_1)
	s_and_b32 vcc_lo, exec_lo, s0
	s_cbranch_vccnz .LBB143_2940
; %bb.2884:
	s_and_not1_b32 vcc_lo, exec_lo, s7
	s_cbranch_vccnz .LBB143_2886
.LBB143_2885:
	v_and_b32_e32 v5, 0x7fff, v4
	s_mov_b32 s10, -1
	s_delay_alu instid0(VALU_DEP_1)
	v_cmp_ne_u16_e32 vcc_lo, 0, v5
	v_cndmask_b32_e64 v5, 0, 1, vcc_lo
	global_store_b8 v[2:3], v5, off
.LBB143_2886:
	s_mov_b32 s0, 0
.LBB143_2887:
	s_delay_alu instid0(SALU_CYCLE_1)
	s_and_b32 vcc_lo, exec_lo, s0
	s_cbranch_vccz .LBB143_2926
; %bb.2888:
	v_cmp_lt_i16_e64 s0, s3, 5
	s_delay_alu instid0(VALU_DEP_1)
	s_and_b32 vcc_lo, exec_lo, s0
	s_mov_b32 s0, -1
	s_cbranch_vccnz .LBB143_2909
; %bb.2889:
	v_cmp_lt_i16_e64 s0, s3, 8
	s_delay_alu instid0(VALU_DEP_1)
	s_and_b32 vcc_lo, exec_lo, s0
	s_mov_b32 s0, -1
	s_cbranch_vccnz .LBB143_2899
	;; [unrolled: 6-line block ×3, first 2 shown]
; %bb.2891:
	v_cmp_gt_i16_e64 s0, s3, 9
	s_delay_alu instid0(VALU_DEP_1)
	s_and_b32 vcc_lo, exec_lo, s0
	s_mov_b32 s0, -1
	s_cbranch_vccz .LBB143_2893
; %bb.2892:
	v_dual_mov_b32 v12, 0 :: v_dual_lshlrev_b32 v5, 16, v4
	s_mov_b32 s0, 0
	s_delay_alu instid0(VALU_DEP_1) | instskip(NEXT) | instid1(VALU_DEP_2)
	v_cvt_f64_f32_e32 v[10:11], v5
	v_mov_b32_e32 v13, v12
	global_store_b128 v[2:3], v[10:13], off
.LBB143_2893:
	s_and_not1_b32 vcc_lo, exec_lo, s0
	s_cbranch_vccnz .LBB143_2895
; %bb.2894:
	v_dual_mov_b32 v6, 0 :: v_dual_lshlrev_b32 v5, 16, v4
	global_store_b64 v[2:3], v[5:6], off
.LBB143_2895:
	s_mov_b32 s0, 0
.LBB143_2896:
	s_delay_alu instid0(SALU_CYCLE_1)
	s_and_not1_b32 vcc_lo, exec_lo, s0
	s_cbranch_vccnz .LBB143_2898
; %bb.2897:
	v_lshlrev_b32_e32 v5, 16, v4
	s_delay_alu instid0(VALU_DEP_1) | instskip(NEXT) | instid1(VALU_DEP_1)
	v_cvt_f16_f32_e32 v5, v5
	v_and_b32_e32 v5, 0xffff, v5
	global_store_b32 v[2:3], v5, off
.LBB143_2898:
	s_mov_b32 s0, 0
.LBB143_2899:
	s_delay_alu instid0(SALU_CYCLE_1)
	s_and_not1_b32 vcc_lo, exec_lo, s0
	s_cbranch_vccnz .LBB143_2908
; %bb.2900:
	v_cmp_lt_i16_e64 s0, s3, 6
	s_delay_alu instid0(VALU_DEP_1)
	s_and_b32 vcc_lo, exec_lo, s0
	s_mov_b32 s0, -1
	s_cbranch_vccnz .LBB143_2906
; %bb.2901:
	v_cmp_gt_i16_e64 s0, s3, 6
	s_delay_alu instid0(VALU_DEP_1)
	s_and_b32 vcc_lo, exec_lo, s0
	s_mov_b32 s0, -1
	s_cbranch_vccz .LBB143_2903
; %bb.2902:
	v_lshlrev_b32_e32 v5, 16, v4
	s_mov_b32 s0, 0
	s_delay_alu instid0(VALU_DEP_1)
	v_cvt_f64_f32_e32 v[5:6], v5
	global_store_b64 v[2:3], v[5:6], off
.LBB143_2903:
	s_and_not1_b32 vcc_lo, exec_lo, s0
	s_cbranch_vccnz .LBB143_2905
; %bb.2904:
	v_lshlrev_b32_e32 v5, 16, v4
	global_store_b32 v[2:3], v5, off
.LBB143_2905:
	s_mov_b32 s0, 0
.LBB143_2906:
	s_delay_alu instid0(SALU_CYCLE_1)
	s_and_not1_b32 vcc_lo, exec_lo, s0
	s_cbranch_vccnz .LBB143_2908
; %bb.2907:
	v_lshlrev_b32_e32 v5, 16, v4
	s_delay_alu instid0(VALU_DEP_1)
	v_cvt_f16_f32_e32 v5, v5
	global_store_b16 v[2:3], v5, off
.LBB143_2908:
	s_mov_b32 s0, 0
.LBB143_2909:
	s_delay_alu instid0(SALU_CYCLE_1)
	s_and_not1_b32 vcc_lo, exec_lo, s0
	s_cbranch_vccnz .LBB143_2925
; %bb.2910:
	v_cmp_lt_i16_e64 s0, s3, 2
	s_delay_alu instid0(VALU_DEP_1)
	s_and_b32 vcc_lo, exec_lo, s0
	s_mov_b32 s0, -1
	s_cbranch_vccnz .LBB143_2920
; %bb.2911:
	v_cmp_lt_i16_e64 s0, s3, 3
	s_delay_alu instid0(VALU_DEP_1)
	s_and_b32 vcc_lo, exec_lo, s0
	s_mov_b32 s0, -1
	s_cbranch_vccnz .LBB143_2917
; %bb.2912:
	v_cmp_gt_i16_e64 s0, s3, 3
	s_delay_alu instid0(VALU_DEP_1)
	s_and_b32 vcc_lo, exec_lo, s0
	s_mov_b32 s0, -1
	s_cbranch_vccz .LBB143_2914
; %bb.2913:
	v_lshlrev_b32_e32 v5, 16, v4
	s_mov_b32 s0, 0
	s_delay_alu instid0(VALU_DEP_1) | instskip(NEXT) | instid1(VALU_DEP_1)
	v_trunc_f32_e32 v5, v5
	v_mul_f32_e64 v6, 0x2f800000, |v5|
	v_ashrrev_i32_e32 v10, 31, v5
	s_delay_alu instid0(VALU_DEP_2) | instskip(NEXT) | instid1(VALU_DEP_1)
	v_floor_f32_e32 v6, v6
	v_fma_f32 v8, 0xcf800000, v6, |v5|
	v_cvt_u32_f32_e32 v6, v6
	s_delay_alu instid0(VALU_DEP_2) | instskip(NEXT) | instid1(VALU_DEP_2)
	v_cvt_u32_f32_e32 v5, v8
	v_xor_b32_e32 v6, v6, v10
	s_delay_alu instid0(VALU_DEP_2) | instskip(NEXT) | instid1(VALU_DEP_1)
	v_xor_b32_e32 v5, v5, v10
	v_sub_co_u32 v5, vcc_lo, v5, v10
	s_delay_alu instid0(VALU_DEP_3)
	v_sub_co_ci_u32_e32 v6, vcc_lo, v6, v10, vcc_lo
	global_store_b64 v[2:3], v[5:6], off
.LBB143_2914:
	s_and_not1_b32 vcc_lo, exec_lo, s0
	s_cbranch_vccnz .LBB143_2916
; %bb.2915:
	v_lshlrev_b32_e32 v5, 16, v4
	s_delay_alu instid0(VALU_DEP_1)
	v_cvt_i32_f32_e32 v5, v5
	global_store_b32 v[2:3], v5, off
.LBB143_2916:
	s_mov_b32 s0, 0
.LBB143_2917:
	s_delay_alu instid0(SALU_CYCLE_1)
	s_and_not1_b32 vcc_lo, exec_lo, s0
	s_cbranch_vccnz .LBB143_2919
; %bb.2918:
	v_lshlrev_b32_e32 v5, 16, v4
	s_delay_alu instid0(VALU_DEP_1)
	v_cvt_i32_f32_e32 v5, v5
	global_store_b16 v[2:3], v5, off
.LBB143_2919:
	s_mov_b32 s0, 0
.LBB143_2920:
	s_delay_alu instid0(SALU_CYCLE_1)
	s_and_not1_b32 vcc_lo, exec_lo, s0
	s_cbranch_vccnz .LBB143_2925
; %bb.2921:
	v_cmp_gt_i16_e64 s0, s3, 0
	s_delay_alu instid0(VALU_DEP_1)
	s_and_b32 vcc_lo, exec_lo, s0
	s_mov_b32 s0, -1
	s_cbranch_vccz .LBB143_2923
; %bb.2922:
	v_lshlrev_b32_e32 v5, 16, v4
	s_mov_b32 s0, 0
	s_delay_alu instid0(VALU_DEP_1)
	v_cvt_i32_f32_e32 v5, v5
	global_store_b8 v[2:3], v5, off
.LBB143_2923:
	s_and_not1_b32 vcc_lo, exec_lo, s0
	s_cbranch_vccnz .LBB143_2925
; %bb.2924:
	v_lshlrev_b32_e32 v4, 16, v4
	s_delay_alu instid0(VALU_DEP_1) | instskip(NEXT) | instid1(VALU_DEP_1)
	v_trunc_f32_e32 v4, v4
	v_mul_f32_e64 v5, 0x2f800000, |v4|
	s_delay_alu instid0(VALU_DEP_1) | instskip(NEXT) | instid1(VALU_DEP_1)
	v_floor_f32_e32 v5, v5
	v_fma_f32 v5, 0xcf800000, v5, |v4|
	v_ashrrev_i32_e32 v4, 31, v4
	s_delay_alu instid0(VALU_DEP_2) | instskip(NEXT) | instid1(VALU_DEP_1)
	v_cvt_u32_f32_e32 v5, v5
	v_xor_b32_e32 v5, v5, v4
	s_delay_alu instid0(VALU_DEP_1)
	v_sub_nc_u32_e32 v4, v5, v4
	global_store_b8 v[2:3], v4, off
.LBB143_2925:
	s_mov_b32 s10, -1
.LBB143_2926:
	s_delay_alu instid0(SALU_CYCLE_1)
	s_and_not1_b32 vcc_lo, exec_lo, s10
	s_cbranch_vccnz .LBB143_3064
; %bb.2927:
	v_cndmask_b32_e64 v2, 0, 1.0, s12
	v_lshlrev_b32_e32 v3, 16, v9
	v_cmp_lt_i16_e64 s0, s3, 11
	v_add_co_u32 v1, s7, s4, v1
	s_mov_b32 s10, 0
	s_delay_alu instid0(VALU_DEP_3) | instskip(NEXT) | instid1(VALU_DEP_1)
	v_mul_f32_e32 v2, v3, v2
	v_mul_f32_e32 v3, s2, v2
	s_delay_alu instid0(VALU_DEP_1) | instskip(SKIP_1) | instid1(VALU_DEP_2)
	v_bfe_u32 v2, v3, 16, 1
	v_cmp_o_f32_e32 vcc_lo, v3, v3
	v_add3_u32 v2, v3, v2, 0x7fff
	s_delay_alu instid0(VALU_DEP_1) | instskip(SKIP_1) | instid1(VALU_DEP_2)
	v_lshrrev_b32_e32 v4, 16, v2
	v_add_co_ci_u32_e64 v2, null, s5, 0, s7
	v_cndmask_b32_e32 v3, 0x7fc0, v4, vcc_lo
	s_and_b32 vcc_lo, exec_lo, s0
	s_mov_b32 s0, -1
	s_cbranch_vccnz .LBB143_3016
; %bb.2928:
	v_cmp_gt_i16_e64 s0, s3, 25
	s_mov_b32 s11, -1
	s_mov_b32 s7, 0
	s_delay_alu instid0(VALU_DEP_1)
	s_and_b32 vcc_lo, exec_lo, s0
	s_mov_b32 s0, 0
	s_cbranch_vccz .LBB143_2972
; %bb.2929:
	v_cmp_gt_i16_e64 s0, s3, 28
	s_delay_alu instid0(VALU_DEP_1)
	s_and_b32 vcc_lo, exec_lo, s0
	s_cbranch_vccz .LBB143_2934
; %bb.2930:
	v_cmp_gt_i16_e64 s0, s3, 43
	s_delay_alu instid0(VALU_DEP_1)
	s_and_b32 vcc_lo, exec_lo, s0
	;; [unrolled: 5-line block ×3, first 2 shown]
	s_cbranch_vccz .LBB143_2944
; %bb.2932:
	v_cmp_eq_u16_e64 s10, s3, 46
	s_mov_b32 s0, -1
	s_mov_b32 s11, 0
	s_delay_alu instid0(VALU_DEP_1)
	s_and_b32 vcc_lo, exec_lo, s10
	s_mov_b32 s10, 0
	s_cbranch_vccz .LBB143_2945
; %bb.2933:
	v_and_b32_e32 v4, 0xffff, v3
	s_mov_b32 s0, 0
	s_mov_b32 s10, -1
	global_store_b32 v[1:2], v4, off
	s_branch .LBB143_2945
.LBB143_2934:
	s_mov_b32 s0, 0
	s_branch .LBB143_2955
.LBB143_2935:
	s_or_saveexec_b32 s13, s13
                                        ; implicit-def: $sgpr14
	s_delay_alu instid0(SALU_CYCLE_1)
	s_xor_b32 exec_lo, exec_lo, s13
	s_cbranch_execz .LBB143_2837
.LBB143_2936:
	v_add_f32_e64 v6, 0x46000000, |v8|
	s_and_not1_b32 s11, s11, exec_lo
	s_mov_b32 s14, 0
	s_delay_alu instid0(VALU_DEP_1) | instskip(NEXT) | instid1(VALU_DEP_1)
	v_and_b32_e32 v6, 0xff, v6
	v_cmp_ne_u32_e32 vcc_lo, 0, v6
	s_and_b32 s15, vcc_lo, exec_lo
	s_delay_alu instid0(SALU_CYCLE_1)
	s_or_b32 s11, s11, s15
	s_or_b32 exec_lo, exec_lo, s13
	v_mov_b32_e32 v10, s14
	s_and_saveexec_b32 s13, s11
	s_cbranch_execnz .LBB143_2838
	s_branch .LBB143_2839
.LBB143_2937:
	s_mov_b32 s0, 0
	s_branch .LBB143_2951
.LBB143_2938:
	s_trap 2
	s_sendmsg_rtn_b32 s0, sendmsg(MSG_RTN_GET_DOORBELL)
	s_mov_b32 ttmp2, m0
	s_waitcnt lgkmcnt(0)
	s_and_b32 s0, s0, 0x3ff
	s_delay_alu instid0(SALU_CYCLE_1) | instskip(NEXT) | instid1(SALU_CYCLE_1)
	s_bitset1_b32 s0, 10
	s_mov_b32 m0, s0
	s_sendmsg sendmsg(MSG_INTERRUPT)
	s_mov_b32 m0, ttmp2
.LBB143_2939:                           ; =>This Inner Loop Header: Depth=1
	s_sethalt 5
	s_branch .LBB143_2939
.LBB143_2940:
	s_cbranch_execnz .LBB143_3113
; %bb.2941:
	s_or_b32 s1, s1, exec_lo
	s_cbranch_execz .LBB143_2885
	s_branch .LBB143_2886
.LBB143_2942:
	s_or_saveexec_b32 s11, s11
                                        ; implicit-def: $sgpr13
	s_delay_alu instid0(SALU_CYCLE_1)
	s_xor_b32 exec_lo, exec_lo, s11
	s_cbranch_execz .LBB143_2850
.LBB143_2943:
	v_add_f32_e64 v6, 0x42800000, |v8|
	s_and_not1_b32 s10, s10, exec_lo
	s_mov_b32 s13, 0
	s_delay_alu instid0(VALU_DEP_1) | instskip(NEXT) | instid1(VALU_DEP_1)
	v_and_b32_e32 v6, 0xff, v6
	v_cmp_ne_u32_e32 vcc_lo, 0, v6
	s_and_b32 s14, vcc_lo, exec_lo
	s_delay_alu instid0(SALU_CYCLE_1)
	s_or_b32 s10, s10, s14
	s_or_b32 exec_lo, exec_lo, s11
	v_mov_b32_e32 v10, s13
	s_and_saveexec_b32 s11, s10
	s_cbranch_execnz .LBB143_2851
	s_branch .LBB143_2852
.LBB143_2944:
	s_mov_b32 s0, 0
.LBB143_2945:
	s_and_b32 vcc_lo, exec_lo, s11
	s_cbranch_vccz .LBB143_2950
; %bb.2946:
	v_cmp_eq_u16_e64 s0, s3, 44
	s_delay_alu instid0(VALU_DEP_1)
	s_and_b32 vcc_lo, exec_lo, s0
	s_mov_b32 s0, -1
	s_cbranch_vccz .LBB143_2950
; %bb.2947:
	v_and_b32_e32 v4, 0xffff, v3
	v_mov_b32_e32 v5, 0xff
	s_mov_b32 s10, exec_lo
	s_delay_alu instid0(VALU_DEP_2) | instskip(NEXT) | instid1(VALU_DEP_1)
	v_bfe_u32 v6, v4, 7, 8
	v_cmpx_ne_u32_e32 0xff, v6
; %bb.2948:
	v_lshlrev_b32_e32 v5, 16, v4
	v_and_b32_e32 v8, 64, v4
	v_lshrrev_b32_e32 v4, 7, v4
	s_delay_alu instid0(VALU_DEP_3) | instskip(NEXT) | instid1(VALU_DEP_3)
	v_and_or_b32 v5, 0x3f0000, v5, v6
	v_cmp_ne_u32_e32 vcc_lo, 0, v8
	s_delay_alu instid0(VALU_DEP_2) | instskip(NEXT) | instid1(VALU_DEP_1)
	v_cmp_ne_u32_e64 s0, 0, v5
	s_and_b32 s0, vcc_lo, s0
	s_delay_alu instid0(SALU_CYCLE_1) | instskip(NEXT) | instid1(VALU_DEP_1)
	v_cndmask_b32_e64 v5, 0, 1, s0
	v_add_nc_u32_e32 v5, v4, v5
; %bb.2949:
	s_or_b32 exec_lo, exec_lo, s10
	s_mov_b32 s0, 0
	s_mov_b32 s10, -1
	global_store_b8 v[1:2], v5, off
.LBB143_2950:
	s_mov_b32 s11, 0
.LBB143_2951:
	s_delay_alu instid0(SALU_CYCLE_1)
	s_and_b32 vcc_lo, exec_lo, s11
	s_cbranch_vccz .LBB143_2954
; %bb.2952:
	v_cmp_eq_u16_e64 s0, s3, 29
	s_delay_alu instid0(VALU_DEP_1)
	s_and_b32 vcc_lo, exec_lo, s0
	s_mov_b32 s0, -1
	s_cbranch_vccz .LBB143_2954
; %bb.2953:
	v_lshlrev_b32_e32 v4, 16, v3
	s_mov_b32 s0, 0
	s_mov_b32 s10, -1
	s_mov_b32 s11, 0
	s_delay_alu instid0(VALU_DEP_1) | instskip(NEXT) | instid1(VALU_DEP_1)
	v_trunc_f32_e32 v4, v4
	v_mul_f32_e32 v5, 0x2f800000, v4
	s_delay_alu instid0(VALU_DEP_1) | instskip(NEXT) | instid1(VALU_DEP_1)
	v_floor_f32_e32 v5, v5
	v_fmamk_f32 v4, v5, 0xcf800000, v4
	v_cvt_u32_f32_e32 v5, v5
	s_delay_alu instid0(VALU_DEP_2)
	v_cvt_u32_f32_e32 v4, v4
	global_store_b64 v[1:2], v[4:5], off
	s_branch .LBB143_2955
.LBB143_2954:
	s_mov_b32 s11, 0
.LBB143_2955:
	s_delay_alu instid0(SALU_CYCLE_1)
	s_and_b32 vcc_lo, exec_lo, s11
	s_cbranch_vccz .LBB143_2971
; %bb.2956:
	v_cmp_lt_i16_e64 s10, s3, 27
	s_delay_alu instid0(VALU_DEP_1)
	s_and_b32 vcc_lo, exec_lo, s10
	s_mov_b32 s10, -1
	s_cbranch_vccnz .LBB143_2962
; %bb.2957:
	v_cmp_gt_i16_e64 s10, s3, 27
	s_delay_alu instid0(VALU_DEP_1)
	s_and_b32 vcc_lo, exec_lo, s10
	s_mov_b32 s10, -1
	s_cbranch_vccz .LBB143_2959
; %bb.2958:
	v_lshlrev_b32_e32 v4, 16, v3
	s_mov_b32 s10, 0
	s_delay_alu instid0(VALU_DEP_1)
	v_cvt_u32_f32_e32 v4, v4
	global_store_b32 v[1:2], v4, off
.LBB143_2959:
	s_and_not1_b32 vcc_lo, exec_lo, s10
	s_cbranch_vccnz .LBB143_2961
; %bb.2960:
	v_lshlrev_b32_e32 v4, 16, v3
	s_delay_alu instid0(VALU_DEP_1)
	v_cvt_u32_f32_e32 v4, v4
	global_store_b16 v[1:2], v4, off
.LBB143_2961:
	s_mov_b32 s10, 0
.LBB143_2962:
	s_delay_alu instid0(SALU_CYCLE_1)
	s_and_not1_b32 vcc_lo, exec_lo, s10
	s_cbranch_vccnz .LBB143_2970
; %bb.2963:
	v_lshlrev_b32_e32 v6, 16, v3
	v_mov_b32_e32 v8, 0x80
	s_mov_b32 s10, exec_lo
	s_delay_alu instid0(VALU_DEP_2) | instskip(NEXT) | instid1(VALU_DEP_1)
	v_and_b32_e32 v5, 0x7fffffff, v6
	v_cmpx_gt_u32_e32 0x43800000, v5
	s_cbranch_execz .LBB143_2969
; %bb.2964:
	v_and_b32_e32 v4, 0xffff, v3
	v_cmp_lt_u32_e32 vcc_lo, 0x3bffffff, v5
	s_mov_b32 s11, 0
                                        ; implicit-def: $vgpr5
	s_and_saveexec_b32 s12, vcc_lo
	s_delay_alu instid0(SALU_CYCLE_1)
	s_xor_b32 s12, exec_lo, s12
	s_cbranch_execz .LBB143_3110
; %bb.2965:
	v_bfe_u32 v5, v4, 4, 1
	s_mov_b32 s11, exec_lo
	s_delay_alu instid0(VALU_DEP_1) | instskip(NEXT) | instid1(VALU_DEP_1)
	v_add3_u32 v5, v6, v5, 0x487ffff
                                        ; implicit-def: $vgpr6
	v_lshrrev_b32_e32 v5, 20, v5
	s_or_saveexec_b32 s12, s12
                                        ; implicit-def: $sgpr13
	s_delay_alu instid0(SALU_CYCLE_1)
	s_xor_b32 exec_lo, exec_lo, s12
	s_cbranch_execnz .LBB143_3111
.LBB143_2966:
	s_or_b32 exec_lo, exec_lo, s12
	v_mov_b32_e32 v8, s13
	s_and_saveexec_b32 s12, s11
.LBB143_2967:
	v_lshrrev_b32_e32 v4, 8, v4
	s_delay_alu instid0(VALU_DEP_1)
	v_and_or_b32 v8, 0x80, v4, v5
.LBB143_2968:
	s_or_b32 exec_lo, exec_lo, s12
.LBB143_2969:
	s_delay_alu instid0(SALU_CYCLE_1)
	s_or_b32 exec_lo, exec_lo, s10
	global_store_b8 v[1:2], v8, off
.LBB143_2970:
	s_mov_b32 s10, -1
.LBB143_2971:
	s_mov_b32 s11, 0
.LBB143_2972:
	s_delay_alu instid0(SALU_CYCLE_1)
	s_and_b32 vcc_lo, exec_lo, s11
	s_cbranch_vccz .LBB143_3012
; %bb.2973:
	v_cmp_gt_i16_e64 s7, s3, 22
	s_delay_alu instid0(VALU_DEP_1)
	s_and_b32 vcc_lo, exec_lo, s7
	s_mov_b32 s7, -1
	s_cbranch_vccz .LBB143_3005
; %bb.2974:
	v_cmp_lt_i16_e64 s7, s3, 24
	s_delay_alu instid0(VALU_DEP_1)
	s_and_b32 vcc_lo, exec_lo, s7
	s_mov_b32 s7, -1
	s_cbranch_vccnz .LBB143_2994
; %bb.2975:
	v_cmp_gt_i16_e64 s7, s3, 24
	s_delay_alu instid0(VALU_DEP_1)
	s_and_b32 vcc_lo, exec_lo, s7
	s_mov_b32 s7, -1
	s_cbranch_vccz .LBB143_2983
; %bb.2976:
	v_lshlrev_b32_e32 v6, 16, v3
	v_mov_b32_e32 v8, 0x80
	s_mov_b32 s7, exec_lo
	s_delay_alu instid0(VALU_DEP_2) | instskip(NEXT) | instid1(VALU_DEP_1)
	v_and_b32_e32 v5, 0x7fffffff, v6
	v_cmpx_gt_u32_e32 0x47800000, v5
	s_cbranch_execz .LBB143_2982
; %bb.2977:
	v_and_b32_e32 v4, 0xffff, v3
	v_cmp_lt_u32_e32 vcc_lo, 0x37ffffff, v5
	s_mov_b32 s10, 0
                                        ; implicit-def: $vgpr5
	s_and_saveexec_b32 s11, vcc_lo
	s_delay_alu instid0(SALU_CYCLE_1)
	s_xor_b32 s11, exec_lo, s11
	s_cbranch_execz .LBB143_3117
; %bb.2978:
	v_bfe_u32 v5, v4, 5, 1
	s_mov_b32 s10, exec_lo
	s_delay_alu instid0(VALU_DEP_1) | instskip(NEXT) | instid1(VALU_DEP_1)
	v_add3_u32 v5, v6, v5, 0x88fffff
                                        ; implicit-def: $vgpr6
	v_lshrrev_b32_e32 v5, 21, v5
	s_or_saveexec_b32 s11, s11
                                        ; implicit-def: $sgpr12
	s_delay_alu instid0(SALU_CYCLE_1)
	s_xor_b32 exec_lo, exec_lo, s11
	s_cbranch_execnz .LBB143_3118
.LBB143_2979:
	s_or_b32 exec_lo, exec_lo, s11
	v_mov_b32_e32 v8, s12
	s_and_saveexec_b32 s11, s10
.LBB143_2980:
	v_lshrrev_b32_e32 v4, 8, v4
	s_delay_alu instid0(VALU_DEP_1)
	v_and_or_b32 v8, 0x80, v4, v5
.LBB143_2981:
	s_or_b32 exec_lo, exec_lo, s11
.LBB143_2982:
	s_delay_alu instid0(SALU_CYCLE_1)
	s_or_b32 exec_lo, exec_lo, s7
	s_mov_b32 s7, 0
	global_store_b8 v[1:2], v8, off
.LBB143_2983:
	s_and_b32 vcc_lo, exec_lo, s7
	s_cbranch_vccz .LBB143_2993
; %bb.2984:
	v_lshlrev_b32_e32 v6, 16, v3
	v_and_b32_e32 v4, 0xffff, v3
	s_mov_b32 s7, exec_lo
                                        ; implicit-def: $vgpr5
	s_delay_alu instid0(VALU_DEP_2) | instskip(NEXT) | instid1(VALU_DEP_1)
	v_and_b32_e32 v8, 0x7fffffff, v6
	v_cmpx_gt_u32_e32 0x43f00000, v8
	s_xor_b32 s7, exec_lo, s7
	s_cbranch_execz .LBB143_2990
; %bb.2985:
	s_mov_b32 s10, exec_lo
                                        ; implicit-def: $vgpr5
	v_cmpx_lt_u32_e32 0x3c7fffff, v8
	s_xor_b32 s10, exec_lo, s10
; %bb.2986:
	v_bfe_u32 v5, v4, 4, 1
	s_delay_alu instid0(VALU_DEP_1) | instskip(NEXT) | instid1(VALU_DEP_1)
	v_add3_u32 v5, v6, v5, 0x407ffff
	v_and_b32_e32 v6, 0xff00000, v5
	v_lshrrev_b32_e32 v5, 20, v5
	s_delay_alu instid0(VALU_DEP_2) | instskip(NEXT) | instid1(VALU_DEP_2)
	v_cmp_ne_u32_e32 vcc_lo, 0x7f00000, v6
                                        ; implicit-def: $vgpr6
	v_cndmask_b32_e32 v5, 0x7e, v5, vcc_lo
; %bb.2987:
	s_and_not1_saveexec_b32 s10, s10
; %bb.2988:
	v_add_f32_e64 v5, 0x46800000, |v6|
; %bb.2989:
	s_or_b32 exec_lo, exec_lo, s10
                                        ; implicit-def: $vgpr8
.LBB143_2990:
	s_and_not1_saveexec_b32 s7, s7
; %bb.2991:
	v_mov_b32_e32 v5, 0x7f
	v_cmp_lt_u32_e32 vcc_lo, 0x7f800000, v8
	s_delay_alu instid0(VALU_DEP_2)
	v_cndmask_b32_e32 v5, 0x7e, v5, vcc_lo
; %bb.2992:
	s_or_b32 exec_lo, exec_lo, s7
	v_lshrrev_b32_e32 v4, 8, v4
	s_delay_alu instid0(VALU_DEP_1)
	v_and_or_b32 v4, 0x80, v4, v5
	global_store_b8 v[1:2], v4, off
.LBB143_2993:
	s_mov_b32 s7, 0
.LBB143_2994:
	s_delay_alu instid0(SALU_CYCLE_1)
	s_and_not1_b32 vcc_lo, exec_lo, s7
	s_cbranch_vccnz .LBB143_3004
; %bb.2995:
	v_lshlrev_b32_e32 v6, 16, v3
	v_and_b32_e32 v4, 0xffff, v3
	s_mov_b32 s7, exec_lo
                                        ; implicit-def: $vgpr5
	s_delay_alu instid0(VALU_DEP_2) | instskip(NEXT) | instid1(VALU_DEP_1)
	v_and_b32_e32 v8, 0x7fffffff, v6
	v_cmpx_gt_u32_e32 0x47800000, v8
	s_xor_b32 s7, exec_lo, s7
	s_cbranch_execz .LBB143_3001
; %bb.2996:
	s_mov_b32 s10, exec_lo
                                        ; implicit-def: $vgpr5
	v_cmpx_lt_u32_e32 0x387fffff, v8
	s_xor_b32 s10, exec_lo, s10
; %bb.2997:
	v_bfe_u32 v5, v4, 5, 1
	s_delay_alu instid0(VALU_DEP_1) | instskip(NEXT) | instid1(VALU_DEP_1)
	v_add3_u32 v5, v6, v5, 0x80fffff
                                        ; implicit-def: $vgpr6
	v_lshrrev_b32_e32 v5, 21, v5
; %bb.2998:
	s_and_not1_saveexec_b32 s10, s10
; %bb.2999:
	v_add_f32_e64 v5, 0x43000000, |v6|
; %bb.3000:
	s_or_b32 exec_lo, exec_lo, s10
                                        ; implicit-def: $vgpr8
.LBB143_3001:
	s_and_not1_saveexec_b32 s7, s7
; %bb.3002:
	v_mov_b32_e32 v5, 0x7f
	v_cmp_lt_u32_e32 vcc_lo, 0x7f800000, v8
	s_delay_alu instid0(VALU_DEP_2)
	v_cndmask_b32_e32 v5, 0x7c, v5, vcc_lo
; %bb.3003:
	s_or_b32 exec_lo, exec_lo, s7
	v_lshrrev_b32_e32 v4, 8, v4
	s_delay_alu instid0(VALU_DEP_1)
	v_and_or_b32 v4, 0x80, v4, v5
	global_store_b8 v[1:2], v4, off
.LBB143_3004:
	s_mov_b32 s7, 0
	s_mov_b32 s10, -1
.LBB143_3005:
	s_and_not1_b32 vcc_lo, exec_lo, s7
	s_mov_b32 s7, 0
	s_cbranch_vccnz .LBB143_3012
; %bb.3006:
	v_cmp_gt_i16_e64 s7, s3, 14
	s_delay_alu instid0(VALU_DEP_1)
	s_and_b32 vcc_lo, exec_lo, s7
	s_mov_b32 s7, -1
	s_cbranch_vccz .LBB143_3010
; %bb.3007:
	v_cmp_eq_u16_e64 s0, s3, 15
	s_delay_alu instid0(VALU_DEP_1)
	s_and_b32 vcc_lo, exec_lo, s0
	s_mov_b32 s0, -1
	s_cbranch_vccz .LBB143_3009
; %bb.3008:
	s_mov_b32 s0, 0
	s_mov_b32 s10, -1
	global_store_b16 v[1:2], v3, off
.LBB143_3009:
	s_mov_b32 s7, 0
.LBB143_3010:
	s_delay_alu instid0(SALU_CYCLE_1)
	s_and_b32 vcc_lo, exec_lo, s7
	s_mov_b32 s7, 0
	s_cbranch_vccz .LBB143_3012
; %bb.3011:
	v_cmp_ne_u16_e64 s0, s3, 11
	s_mov_b32 s7, -1
.LBB143_3012:
	s_delay_alu instid0(VALU_DEP_1)
	s_and_b32 vcc_lo, exec_lo, s0
	s_cbranch_vccnz .LBB143_3115
; %bb.3013:
	s_and_not1_b32 vcc_lo, exec_lo, s7
	s_cbranch_vccnz .LBB143_3015
.LBB143_3014:
	v_and_b32_e32 v4, 0x7fff, v3
	s_mov_b32 s10, -1
	s_delay_alu instid0(VALU_DEP_1)
	v_cmp_ne_u16_e32 vcc_lo, 0, v4
	v_cndmask_b32_e64 v4, 0, 1, vcc_lo
	global_store_b8 v[1:2], v4, off
.LBB143_3015:
	s_mov_b32 s0, 0
.LBB143_3016:
	s_delay_alu instid0(SALU_CYCLE_1)
	s_and_b32 vcc_lo, exec_lo, s0
	s_cbranch_vccz .LBB143_3055
; %bb.3017:
	v_cmp_lt_i16_e64 s0, s3, 5
	s_delay_alu instid0(VALU_DEP_1)
	s_and_b32 vcc_lo, exec_lo, s0
	s_mov_b32 s0, -1
	s_cbranch_vccnz .LBB143_3038
; %bb.3018:
	v_cmp_lt_i16_e64 s0, s3, 8
	s_delay_alu instid0(VALU_DEP_1)
	s_and_b32 vcc_lo, exec_lo, s0
	s_mov_b32 s0, -1
	s_cbranch_vccnz .LBB143_3028
	;; [unrolled: 6-line block ×3, first 2 shown]
; %bb.3020:
	v_cmp_gt_i16_e64 s0, s3, 9
	s_delay_alu instid0(VALU_DEP_1)
	s_and_b32 vcc_lo, exec_lo, s0
	s_mov_b32 s0, -1
	s_cbranch_vccz .LBB143_3022
; %bb.3021:
	v_mov_b32_e32 v10, 0
	v_lshlrev_b32_e32 v4, 16, v3
	s_mov_b32 s0, 0
	s_delay_alu instid0(VALU_DEP_2) | instskip(NEXT) | instid1(VALU_DEP_2)
	v_mov_b32_e32 v11, v10
	v_cvt_f64_f32_e32 v[8:9], v4
	global_store_b128 v[1:2], v[8:11], off
.LBB143_3022:
	s_and_not1_b32 vcc_lo, exec_lo, s0
	s_cbranch_vccnz .LBB143_3024
; %bb.3023:
	v_dual_mov_b32 v5, 0 :: v_dual_lshlrev_b32 v4, 16, v3
	global_store_b64 v[1:2], v[4:5], off
.LBB143_3024:
	s_mov_b32 s0, 0
.LBB143_3025:
	s_delay_alu instid0(SALU_CYCLE_1)
	s_and_not1_b32 vcc_lo, exec_lo, s0
	s_cbranch_vccnz .LBB143_3027
; %bb.3026:
	v_lshlrev_b32_e32 v4, 16, v3
	s_delay_alu instid0(VALU_DEP_1) | instskip(NEXT) | instid1(VALU_DEP_1)
	v_cvt_f16_f32_e32 v4, v4
	v_and_b32_e32 v4, 0xffff, v4
	global_store_b32 v[1:2], v4, off
.LBB143_3027:
	s_mov_b32 s0, 0
.LBB143_3028:
	s_delay_alu instid0(SALU_CYCLE_1)
	s_and_not1_b32 vcc_lo, exec_lo, s0
	s_cbranch_vccnz .LBB143_3037
; %bb.3029:
	v_cmp_lt_i16_e64 s0, s3, 6
	s_delay_alu instid0(VALU_DEP_1)
	s_and_b32 vcc_lo, exec_lo, s0
	s_mov_b32 s0, -1
	s_cbranch_vccnz .LBB143_3035
; %bb.3030:
	v_cmp_gt_i16_e64 s0, s3, 6
	s_delay_alu instid0(VALU_DEP_1)
	s_and_b32 vcc_lo, exec_lo, s0
	s_mov_b32 s0, -1
	s_cbranch_vccz .LBB143_3032
; %bb.3031:
	v_lshlrev_b32_e32 v4, 16, v3
	s_mov_b32 s0, 0
	s_delay_alu instid0(VALU_DEP_1)
	v_cvt_f64_f32_e32 v[4:5], v4
	global_store_b64 v[1:2], v[4:5], off
.LBB143_3032:
	s_and_not1_b32 vcc_lo, exec_lo, s0
	s_cbranch_vccnz .LBB143_3034
; %bb.3033:
	v_lshlrev_b32_e32 v4, 16, v3
	global_store_b32 v[1:2], v4, off
.LBB143_3034:
	s_mov_b32 s0, 0
.LBB143_3035:
	s_delay_alu instid0(SALU_CYCLE_1)
	s_and_not1_b32 vcc_lo, exec_lo, s0
	s_cbranch_vccnz .LBB143_3037
; %bb.3036:
	v_lshlrev_b32_e32 v4, 16, v3
	s_delay_alu instid0(VALU_DEP_1)
	v_cvt_f16_f32_e32 v4, v4
	global_store_b16 v[1:2], v4, off
.LBB143_3037:
	s_mov_b32 s0, 0
.LBB143_3038:
	s_delay_alu instid0(SALU_CYCLE_1)
	s_and_not1_b32 vcc_lo, exec_lo, s0
	s_cbranch_vccnz .LBB143_3054
; %bb.3039:
	v_cmp_lt_i16_e64 s0, s3, 2
	s_delay_alu instid0(VALU_DEP_1)
	s_and_b32 vcc_lo, exec_lo, s0
	s_mov_b32 s0, -1
	s_cbranch_vccnz .LBB143_3049
; %bb.3040:
	v_cmp_lt_i16_e64 s0, s3, 3
	s_delay_alu instid0(VALU_DEP_1)
	s_and_b32 vcc_lo, exec_lo, s0
	s_mov_b32 s0, -1
	s_cbranch_vccnz .LBB143_3046
; %bb.3041:
	v_cmp_gt_i16_e64 s0, s3, 3
	s_delay_alu instid0(VALU_DEP_1)
	s_and_b32 vcc_lo, exec_lo, s0
	s_mov_b32 s0, -1
	s_cbranch_vccz .LBB143_3043
; %bb.3042:
	v_lshlrev_b32_e32 v4, 16, v3
	s_mov_b32 s0, 0
	s_delay_alu instid0(VALU_DEP_1) | instskip(NEXT) | instid1(VALU_DEP_1)
	v_trunc_f32_e32 v4, v4
	v_mul_f32_e64 v5, 0x2f800000, |v4|
	v_ashrrev_i32_e32 v8, 31, v4
	s_delay_alu instid0(VALU_DEP_2) | instskip(NEXT) | instid1(VALU_DEP_1)
	v_floor_f32_e32 v5, v5
	v_fma_f32 v6, 0xcf800000, v5, |v4|
	v_cvt_u32_f32_e32 v5, v5
	s_delay_alu instid0(VALU_DEP_2) | instskip(NEXT) | instid1(VALU_DEP_2)
	v_cvt_u32_f32_e32 v4, v6
	v_xor_b32_e32 v5, v5, v8
	s_delay_alu instid0(VALU_DEP_2) | instskip(NEXT) | instid1(VALU_DEP_1)
	v_xor_b32_e32 v4, v4, v8
	v_sub_co_u32 v4, vcc_lo, v4, v8
	s_delay_alu instid0(VALU_DEP_3)
	v_sub_co_ci_u32_e32 v5, vcc_lo, v5, v8, vcc_lo
	global_store_b64 v[1:2], v[4:5], off
.LBB143_3043:
	s_and_not1_b32 vcc_lo, exec_lo, s0
	s_cbranch_vccnz .LBB143_3045
; %bb.3044:
	v_lshlrev_b32_e32 v4, 16, v3
	s_delay_alu instid0(VALU_DEP_1)
	v_cvt_i32_f32_e32 v4, v4
	global_store_b32 v[1:2], v4, off
.LBB143_3045:
	s_mov_b32 s0, 0
.LBB143_3046:
	s_delay_alu instid0(SALU_CYCLE_1)
	s_and_not1_b32 vcc_lo, exec_lo, s0
	s_cbranch_vccnz .LBB143_3048
; %bb.3047:
	v_lshlrev_b32_e32 v4, 16, v3
	s_delay_alu instid0(VALU_DEP_1)
	v_cvt_i32_f32_e32 v4, v4
	global_store_b16 v[1:2], v4, off
.LBB143_3048:
	s_mov_b32 s0, 0
.LBB143_3049:
	s_delay_alu instid0(SALU_CYCLE_1)
	s_and_not1_b32 vcc_lo, exec_lo, s0
	s_cbranch_vccnz .LBB143_3054
; %bb.3050:
	v_cmp_gt_i16_e64 s0, s3, 0
	s_delay_alu instid0(VALU_DEP_1)
	s_and_b32 vcc_lo, exec_lo, s0
	s_mov_b32 s0, -1
	s_cbranch_vccz .LBB143_3052
; %bb.3051:
	v_lshlrev_b32_e32 v4, 16, v3
	s_mov_b32 s0, 0
	s_delay_alu instid0(VALU_DEP_1)
	v_cvt_i32_f32_e32 v4, v4
	global_store_b8 v[1:2], v4, off
.LBB143_3052:
	s_and_not1_b32 vcc_lo, exec_lo, s0
	s_cbranch_vccnz .LBB143_3054
; %bb.3053:
	v_lshlrev_b32_e32 v3, 16, v3
	s_delay_alu instid0(VALU_DEP_1) | instskip(NEXT) | instid1(VALU_DEP_1)
	v_trunc_f32_e32 v3, v3
	v_mul_f32_e64 v4, 0x2f800000, |v3|
	s_delay_alu instid0(VALU_DEP_1) | instskip(NEXT) | instid1(VALU_DEP_1)
	v_floor_f32_e32 v4, v4
	v_fma_f32 v4, 0xcf800000, v4, |v3|
	v_ashrrev_i32_e32 v3, 31, v3
	s_delay_alu instid0(VALU_DEP_2) | instskip(NEXT) | instid1(VALU_DEP_1)
	v_cvt_u32_f32_e32 v4, v4
	v_xor_b32_e32 v4, v4, v3
	s_delay_alu instid0(VALU_DEP_1)
	v_sub_nc_u32_e32 v3, v4, v3
	global_store_b8 v[1:2], v3, off
.LBB143_3054:
	s_mov_b32 s10, -1
.LBB143_3055:
	s_delay_alu instid0(SALU_CYCLE_1)
	s_and_not1_b32 vcc_lo, exec_lo, s10
	s_cbranch_vccnz .LBB143_3064
; %bb.3056:
	v_cndmask_b32_e64 v1, 0, 1.0, s6
	s_waitcnt vmcnt(0)
	v_lshlrev_b32_e32 v2, 16, v7
	v_cmp_lt_i16_e64 s0, s3, 11
	v_add_co_u32 v0, s4, s4, v0
	s_delay_alu instid0(VALU_DEP_3) | instskip(NEXT) | instid1(VALU_DEP_1)
	v_mul_f32_e32 v1, v2, v1
	v_mul_f32_e32 v2, s2, v1
	s_mov_b32 s2, 0
	s_delay_alu instid0(VALU_DEP_1) | instskip(SKIP_1) | instid1(VALU_DEP_2)
	v_bfe_u32 v1, v2, 16, 1
	v_cmp_o_f32_e32 vcc_lo, v2, v2
	v_add3_u32 v1, v2, v1, 0x7fff
	s_delay_alu instid0(VALU_DEP_1) | instskip(SKIP_1) | instid1(VALU_DEP_2)
	v_lshrrev_b32_e32 v3, 16, v1
	v_add_co_ci_u32_e64 v1, null, s5, 0, s4
	v_cndmask_b32_e32 v2, 0x7fc0, v3, vcc_lo
	s_and_b32 vcc_lo, exec_lo, s0
	s_mov_b32 s0, -1
	s_cbranch_vccnz .LBB143_3065
; %bb.3057:
	v_cmp_gt_i16_e64 s0, s3, 25
	s_mov_b32 s4, -1
	s_delay_alu instid0(VALU_DEP_1)
	s_and_b32 vcc_lo, exec_lo, s0
	s_mov_b32 s0, 0
	s_cbranch_vccz .LBB143_3146
; %bb.3058:
	v_cmp_gt_i16_e64 s0, s3, 28
	s_delay_alu instid0(VALU_DEP_1)
	s_and_b32 vcc_lo, exec_lo, s0
	s_cbranch_vccz .LBB143_3109
; %bb.3059:
	v_cmp_gt_i16_e64 s0, s3, 43
	s_delay_alu instid0(VALU_DEP_1)
	s_and_b32 vcc_lo, exec_lo, s0
	;; [unrolled: 5-line block ×3, first 2 shown]
	s_cbranch_vccz .LBB143_3119
; %bb.3061:
	v_cmp_eq_u16_e64 s0, s3, 46
	s_delay_alu instid0(VALU_DEP_1)
	s_and_b32 vcc_lo, exec_lo, s0
	s_mov_b32 s0, -1
	s_cbranch_vccz .LBB143_3063
; %bb.3062:
	v_and_b32_e32 v3, 0xffff, v2
	s_mov_b32 s0, 0
	global_store_b32 v[0:1], v3, off
.LBB143_3063:
	s_mov_b32 s4, 0
	s_branch .LBB143_3120
.LBB143_3064:
	s_mov_b32 s0, 0
	s_mov_b32 s2, 0
                                        ; implicit-def: $vgpr0_vgpr1
                                        ; implicit-def: $sgpr3
                                        ; implicit-def: $vgpr2
.LBB143_3065:
	s_and_b32 s4, s0, exec_lo
	s_and_not1_b32 s0, s8, exec_lo
	s_and_b32 s1, s1, exec_lo
	s_and_b32 s28, s2, exec_lo
	s_or_b32 s8, s0, s1
.LBB143_3066:
	s_or_b32 exec_lo, exec_lo, s9
	s_and_saveexec_b32 s0, s8
	s_cbranch_execz .LBB143_3069
; %bb.3067:
	; divergent unreachable
	s_or_b32 exec_lo, exec_lo, s0
	s_and_saveexec_b32 s0, s28
	s_delay_alu instid0(SALU_CYCLE_1)
	s_xor_b32 s0, exec_lo, s0
	s_cbranch_execnz .LBB143_3070
.LBB143_3068:
	s_or_b32 exec_lo, exec_lo, s0
	s_and_saveexec_b32 s0, s4
	s_cbranch_execnz .LBB143_3071
	s_branch .LBB143_3108
.LBB143_3069:
	s_or_b32 exec_lo, exec_lo, s0
	s_and_saveexec_b32 s0, s28
	s_delay_alu instid0(SALU_CYCLE_1)
	s_xor_b32 s0, exec_lo, s0
	s_cbranch_execz .LBB143_3068
.LBB143_3070:
	v_and_b32_e32 v3, 0x7fff, v2
	s_delay_alu instid0(VALU_DEP_1)
	v_cmp_ne_u16_e32 vcc_lo, 0, v3
	v_cndmask_b32_e64 v3, 0, 1, vcc_lo
	global_store_b8 v[0:1], v3, off
	s_or_b32 exec_lo, exec_lo, s0
	s_and_saveexec_b32 s0, s4
	s_cbranch_execz .LBB143_3108
.LBB143_3071:
	v_cmp_lt_i16_e64 s0, s3, 5
	s_delay_alu instid0(VALU_DEP_1)
	s_and_b32 vcc_lo, exec_lo, s0
	s_mov_b32 s0, -1
	s_cbranch_vccnz .LBB143_3092
; %bb.3072:
	v_cmp_lt_i16_e64 s0, s3, 8
	s_delay_alu instid0(VALU_DEP_1)
	s_and_b32 vcc_lo, exec_lo, s0
	s_mov_b32 s0, -1
	s_cbranch_vccnz .LBB143_3082
; %bb.3073:
	v_cmp_lt_i16_e64 s0, s3, 9
	s_delay_alu instid0(VALU_DEP_1)
	s_and_b32 vcc_lo, exec_lo, s0
	s_mov_b32 s0, -1
	s_cbranch_vccnz .LBB143_3079
; %bb.3074:
	v_cmp_gt_i16_e64 s0, s3, 9
	s_delay_alu instid0(VALU_DEP_1)
	s_and_b32 vcc_lo, exec_lo, s0
	s_mov_b32 s0, -1
	s_cbranch_vccz .LBB143_3076
; %bb.3075:
	s_waitcnt vmcnt(0)
	v_mov_b32_e32 v5, 0
	v_lshlrev_b32_e32 v3, 16, v2
	s_mov_b32 s0, 0
	s_delay_alu instid0(VALU_DEP_2) | instskip(NEXT) | instid1(VALU_DEP_2)
	v_mov_b32_e32 v6, v5
	v_cvt_f64_f32_e32 v[3:4], v3
	global_store_b128 v[0:1], v[3:6], off
.LBB143_3076:
	s_and_not1_b32 vcc_lo, exec_lo, s0
	s_cbranch_vccnz .LBB143_3078
; %bb.3077:
	v_dual_mov_b32 v4, 0 :: v_dual_lshlrev_b32 v3, 16, v2
	global_store_b64 v[0:1], v[3:4], off
.LBB143_3078:
	s_mov_b32 s0, 0
.LBB143_3079:
	s_delay_alu instid0(SALU_CYCLE_1)
	s_and_not1_b32 vcc_lo, exec_lo, s0
	s_cbranch_vccnz .LBB143_3081
; %bb.3080:
	v_lshlrev_b32_e32 v3, 16, v2
	s_delay_alu instid0(VALU_DEP_1) | instskip(NEXT) | instid1(VALU_DEP_1)
	v_cvt_f16_f32_e32 v3, v3
	v_and_b32_e32 v3, 0xffff, v3
	global_store_b32 v[0:1], v3, off
.LBB143_3081:
	s_mov_b32 s0, 0
.LBB143_3082:
	s_delay_alu instid0(SALU_CYCLE_1)
	s_and_not1_b32 vcc_lo, exec_lo, s0
	s_cbranch_vccnz .LBB143_3091
; %bb.3083:
	v_cmp_lt_i16_e64 s0, s3, 6
	s_delay_alu instid0(VALU_DEP_1)
	s_and_b32 vcc_lo, exec_lo, s0
	s_mov_b32 s0, -1
	s_cbranch_vccnz .LBB143_3089
; %bb.3084:
	v_cmp_gt_i16_e64 s0, s3, 6
	s_delay_alu instid0(VALU_DEP_1)
	s_and_b32 vcc_lo, exec_lo, s0
	s_mov_b32 s0, -1
	s_cbranch_vccz .LBB143_3086
; %bb.3085:
	v_lshlrev_b32_e32 v3, 16, v2
	s_mov_b32 s0, 0
	s_delay_alu instid0(VALU_DEP_1)
	v_cvt_f64_f32_e32 v[3:4], v3
	global_store_b64 v[0:1], v[3:4], off
.LBB143_3086:
	s_and_not1_b32 vcc_lo, exec_lo, s0
	s_cbranch_vccnz .LBB143_3088
; %bb.3087:
	v_lshlrev_b32_e32 v3, 16, v2
	global_store_b32 v[0:1], v3, off
.LBB143_3088:
	s_mov_b32 s0, 0
.LBB143_3089:
	s_delay_alu instid0(SALU_CYCLE_1)
	s_and_not1_b32 vcc_lo, exec_lo, s0
	s_cbranch_vccnz .LBB143_3091
; %bb.3090:
	v_lshlrev_b32_e32 v3, 16, v2
	s_delay_alu instid0(VALU_DEP_1)
	v_cvt_f16_f32_e32 v3, v3
	global_store_b16 v[0:1], v3, off
.LBB143_3091:
	s_mov_b32 s0, 0
.LBB143_3092:
	s_delay_alu instid0(SALU_CYCLE_1)
	s_and_not1_b32 vcc_lo, exec_lo, s0
	s_cbranch_vccnz .LBB143_3108
; %bb.3093:
	v_cmp_lt_i16_e64 s0, s3, 2
	s_delay_alu instid0(VALU_DEP_1)
	s_and_b32 vcc_lo, exec_lo, s0
	s_mov_b32 s0, -1
	s_cbranch_vccnz .LBB143_3103
; %bb.3094:
	v_cmp_lt_i16_e64 s0, s3, 3
	s_delay_alu instid0(VALU_DEP_1)
	s_and_b32 vcc_lo, exec_lo, s0
	s_mov_b32 s0, -1
	s_cbranch_vccnz .LBB143_3100
; %bb.3095:
	v_cmp_gt_i16_e64 s0, s3, 3
	s_delay_alu instid0(VALU_DEP_1)
	s_and_b32 vcc_lo, exec_lo, s0
	s_mov_b32 s0, -1
	s_cbranch_vccz .LBB143_3097
; %bb.3096:
	v_lshlrev_b32_e32 v3, 16, v2
	s_mov_b32 s0, 0
	s_delay_alu instid0(VALU_DEP_1) | instskip(NEXT) | instid1(VALU_DEP_1)
	v_trunc_f32_e32 v3, v3
	v_mul_f32_e64 v4, 0x2f800000, |v3|
	v_ashrrev_i32_e32 v6, 31, v3
	s_delay_alu instid0(VALU_DEP_2) | instskip(SKIP_1) | instid1(VALU_DEP_1)
	v_floor_f32_e32 v4, v4
	s_waitcnt vmcnt(0)
	v_fma_f32 v5, 0xcf800000, v4, |v3|
	v_cvt_u32_f32_e32 v4, v4
	s_delay_alu instid0(VALU_DEP_2) | instskip(NEXT) | instid1(VALU_DEP_2)
	v_cvt_u32_f32_e32 v3, v5
	v_xor_b32_e32 v4, v4, v6
	s_delay_alu instid0(VALU_DEP_2) | instskip(NEXT) | instid1(VALU_DEP_1)
	v_xor_b32_e32 v3, v3, v6
	v_sub_co_u32 v3, vcc_lo, v3, v6
	s_delay_alu instid0(VALU_DEP_3)
	v_sub_co_ci_u32_e32 v4, vcc_lo, v4, v6, vcc_lo
	global_store_b64 v[0:1], v[3:4], off
.LBB143_3097:
	s_and_not1_b32 vcc_lo, exec_lo, s0
	s_cbranch_vccnz .LBB143_3099
; %bb.3098:
	v_lshlrev_b32_e32 v3, 16, v2
	s_delay_alu instid0(VALU_DEP_1)
	v_cvt_i32_f32_e32 v3, v3
	global_store_b32 v[0:1], v3, off
.LBB143_3099:
	s_mov_b32 s0, 0
.LBB143_3100:
	s_delay_alu instid0(SALU_CYCLE_1)
	s_and_not1_b32 vcc_lo, exec_lo, s0
	s_cbranch_vccnz .LBB143_3102
; %bb.3101:
	v_lshlrev_b32_e32 v3, 16, v2
	s_delay_alu instid0(VALU_DEP_1)
	v_cvt_i32_f32_e32 v3, v3
	global_store_b16 v[0:1], v3, off
.LBB143_3102:
	s_mov_b32 s0, 0
.LBB143_3103:
	s_delay_alu instid0(SALU_CYCLE_1)
	s_and_not1_b32 vcc_lo, exec_lo, s0
	s_cbranch_vccnz .LBB143_3108
; %bb.3104:
	v_cmp_gt_i16_e64 s0, s3, 0
	v_lshlrev_b32_e32 v2, 16, v2
	s_delay_alu instid0(VALU_DEP_2)
	s_and_b32 vcc_lo, exec_lo, s0
	s_mov_b32 s0, -1
	s_cbranch_vccz .LBB143_3106
; %bb.3105:
	s_delay_alu instid0(VALU_DEP_1)
	v_cvt_i32_f32_e32 v3, v2
	s_mov_b32 s0, 0
	global_store_b8 v[0:1], v3, off
.LBB143_3106:
	s_and_not1_b32 vcc_lo, exec_lo, s0
	s_cbranch_vccnz .LBB143_3108
; %bb.3107:
	v_trunc_f32_e32 v2, v2
	s_delay_alu instid0(VALU_DEP_1) | instskip(NEXT) | instid1(VALU_DEP_1)
	v_mul_f32_e64 v3, 0x2f800000, |v2|
	v_floor_f32_e32 v3, v3
	s_delay_alu instid0(VALU_DEP_1) | instskip(SKIP_1) | instid1(VALU_DEP_2)
	v_fma_f32 v3, 0xcf800000, v3, |v2|
	v_ashrrev_i32_e32 v2, 31, v2
	v_cvt_u32_f32_e32 v3, v3
	s_delay_alu instid0(VALU_DEP_1) | instskip(NEXT) | instid1(VALU_DEP_1)
	v_xor_b32_e32 v3, v3, v2
	v_sub_nc_u32_e32 v2, v3, v2
	global_store_b8 v[0:1], v2, off
	s_nop 0
	s_sendmsg sendmsg(MSG_DEALLOC_VGPRS)
	s_endpgm
.LBB143_3108:
	s_nop 0
	s_sendmsg sendmsg(MSG_DEALLOC_VGPRS)
	s_endpgm
.LBB143_3109:
	s_mov_b32 s0, 0
	s_branch .LBB143_3130
.LBB143_3110:
	s_or_saveexec_b32 s12, s12
                                        ; implicit-def: $sgpr13
	s_delay_alu instid0(SALU_CYCLE_1)
	s_xor_b32 exec_lo, exec_lo, s12
	s_cbranch_execz .LBB143_2966
.LBB143_3111:
	v_add_f32_e64 v5, 0x46000000, |v6|
	s_and_not1_b32 s11, s11, exec_lo
	s_mov_b32 s13, 0
	s_delay_alu instid0(VALU_DEP_1) | instskip(NEXT) | instid1(VALU_DEP_1)
	v_and_b32_e32 v5, 0xff, v5
	v_cmp_ne_u32_e32 vcc_lo, 0, v5
	s_and_b32 s14, vcc_lo, exec_lo
	s_delay_alu instid0(SALU_CYCLE_1)
	s_or_b32 s11, s11, s14
	s_or_b32 exec_lo, exec_lo, s12
	v_mov_b32_e32 v8, s13
	s_and_saveexec_b32 s12, s11
	s_cbranch_execnz .LBB143_2967
	s_branch .LBB143_2968
.LBB143_3112:
	s_mov_b32 s0, 0
	s_branch .LBB143_3126
.LBB143_3113:
	s_trap 2
	s_sendmsg_rtn_b32 s0, sendmsg(MSG_RTN_GET_DOORBELL)
	s_mov_b32 ttmp2, m0
	s_waitcnt lgkmcnt(0)
	s_and_b32 s0, s0, 0x3ff
	s_delay_alu instid0(SALU_CYCLE_1) | instskip(NEXT) | instid1(SALU_CYCLE_1)
	s_bitset1_b32 s0, 10
	s_mov_b32 m0, s0
	s_sendmsg sendmsg(MSG_INTERRUPT)
	s_mov_b32 m0, ttmp2
.LBB143_3114:                           ; =>This Inner Loop Header: Depth=1
	s_sethalt 5
	s_branch .LBB143_3114
.LBB143_3115:
	s_cbranch_execnz .LBB143_3190
; %bb.3116:
	s_or_b32 s1, s1, exec_lo
	s_cbranch_execz .LBB143_3014
	s_branch .LBB143_3015
.LBB143_3117:
	s_or_saveexec_b32 s11, s11
                                        ; implicit-def: $sgpr12
	s_delay_alu instid0(SALU_CYCLE_1)
	s_xor_b32 exec_lo, exec_lo, s11
	s_cbranch_execz .LBB143_2979
.LBB143_3118:
	v_add_f32_e64 v5, 0x42800000, |v6|
	s_and_not1_b32 s10, s10, exec_lo
	s_mov_b32 s12, 0
	s_delay_alu instid0(VALU_DEP_1) | instskip(NEXT) | instid1(VALU_DEP_1)
	v_and_b32_e32 v5, 0xff, v5
	v_cmp_ne_u32_e32 vcc_lo, 0, v5
	s_and_b32 s13, vcc_lo, exec_lo
	s_delay_alu instid0(SALU_CYCLE_1)
	s_or_b32 s10, s10, s13
	s_or_b32 exec_lo, exec_lo, s11
	v_mov_b32_e32 v8, s12
	s_and_saveexec_b32 s11, s10
	s_cbranch_execnz .LBB143_2980
	s_branch .LBB143_2981
.LBB143_3119:
	s_mov_b32 s0, 0
.LBB143_3120:
	s_and_b32 vcc_lo, exec_lo, s4
	s_cbranch_vccz .LBB143_3125
; %bb.3121:
	v_cmp_eq_u16_e64 s0, s3, 44
	s_delay_alu instid0(VALU_DEP_1)
	s_and_b32 vcc_lo, exec_lo, s0
	s_mov_b32 s0, -1
	s_cbranch_vccz .LBB143_3125
; %bb.3122:
	v_and_b32_e32 v3, 0xffff, v2
	v_mov_b32_e32 v4, 0xff
	s_mov_b32 s4, exec_lo
	s_delay_alu instid0(VALU_DEP_2) | instskip(NEXT) | instid1(VALU_DEP_1)
	v_bfe_u32 v5, v3, 7, 8
	v_cmpx_ne_u32_e32 0xff, v5
; %bb.3123:
	v_lshlrev_b32_e32 v4, 16, v3
	v_and_b32_e32 v6, 64, v3
	v_lshrrev_b32_e32 v3, 7, v3
	s_delay_alu instid0(VALU_DEP_3) | instskip(NEXT) | instid1(VALU_DEP_3)
	v_and_or_b32 v4, 0x3f0000, v4, v5
	v_cmp_ne_u32_e32 vcc_lo, 0, v6
	s_delay_alu instid0(VALU_DEP_2) | instskip(NEXT) | instid1(VALU_DEP_1)
	v_cmp_ne_u32_e64 s0, 0, v4
	s_and_b32 s0, vcc_lo, s0
	s_delay_alu instid0(SALU_CYCLE_1) | instskip(NEXT) | instid1(VALU_DEP_1)
	v_cndmask_b32_e64 v4, 0, 1, s0
	v_add_nc_u32_e32 v4, v3, v4
; %bb.3124:
	s_or_b32 exec_lo, exec_lo, s4
	s_mov_b32 s0, 0
	global_store_b8 v[0:1], v4, off
.LBB143_3125:
	s_mov_b32 s4, 0
.LBB143_3126:
	s_delay_alu instid0(SALU_CYCLE_1)
	s_and_b32 vcc_lo, exec_lo, s4
	s_cbranch_vccz .LBB143_3129
; %bb.3127:
	v_cmp_eq_u16_e64 s0, s3, 29
	s_delay_alu instid0(VALU_DEP_1)
	s_and_b32 vcc_lo, exec_lo, s0
	s_mov_b32 s0, -1
	s_cbranch_vccz .LBB143_3129
; %bb.3128:
	v_lshlrev_b32_e32 v3, 16, v2
	s_mov_b32 s0, 0
	s_delay_alu instid0(VALU_DEP_1) | instskip(NEXT) | instid1(VALU_DEP_1)
	v_trunc_f32_e32 v3, v3
	v_mul_f32_e32 v4, 0x2f800000, v3
	s_delay_alu instid0(VALU_DEP_1) | instskip(NEXT) | instid1(VALU_DEP_1)
	v_floor_f32_e32 v4, v4
	v_fmamk_f32 v3, v4, 0xcf800000, v3
	v_cvt_u32_f32_e32 v4, v4
	s_delay_alu instid0(VALU_DEP_2)
	v_cvt_u32_f32_e32 v3, v3
	global_store_b64 v[0:1], v[3:4], off
.LBB143_3129:
	s_mov_b32 s4, 0
.LBB143_3130:
	s_delay_alu instid0(SALU_CYCLE_1)
	s_and_b32 vcc_lo, exec_lo, s4
	s_cbranch_vccz .LBB143_3145
; %bb.3131:
	v_cmp_lt_i16_e64 s4, s3, 27
	s_delay_alu instid0(VALU_DEP_1)
	s_and_b32 vcc_lo, exec_lo, s4
	s_mov_b32 s4, -1
	s_cbranch_vccnz .LBB143_3137
; %bb.3132:
	v_cmp_gt_i16_e64 s4, s3, 27
	s_delay_alu instid0(VALU_DEP_1)
	s_and_b32 vcc_lo, exec_lo, s4
	s_mov_b32 s4, -1
	s_cbranch_vccz .LBB143_3134
; %bb.3133:
	v_lshlrev_b32_e32 v3, 16, v2
	s_mov_b32 s4, 0
	s_delay_alu instid0(VALU_DEP_1)
	v_cvt_u32_f32_e32 v3, v3
	global_store_b32 v[0:1], v3, off
.LBB143_3134:
	s_and_not1_b32 vcc_lo, exec_lo, s4
	s_cbranch_vccnz .LBB143_3136
; %bb.3135:
	v_lshlrev_b32_e32 v3, 16, v2
	s_delay_alu instid0(VALU_DEP_1)
	v_cvt_u32_f32_e32 v3, v3
	global_store_b16 v[0:1], v3, off
.LBB143_3136:
	s_mov_b32 s4, 0
.LBB143_3137:
	s_delay_alu instid0(SALU_CYCLE_1)
	s_and_not1_b32 vcc_lo, exec_lo, s4
	s_cbranch_vccnz .LBB143_3145
; %bb.3138:
	v_dual_mov_b32 v6, 0x80 :: v_dual_lshlrev_b32 v5, 16, v2
	s_mov_b32 s4, exec_lo
	s_delay_alu instid0(VALU_DEP_1) | instskip(NEXT) | instid1(VALU_DEP_1)
	v_and_b32_e32 v4, 0x7fffffff, v5
	v_cmpx_gt_u32_e32 0x43800000, v4
	s_cbranch_execz .LBB143_3144
; %bb.3139:
	v_and_b32_e32 v3, 0xffff, v2
	v_cmp_lt_u32_e32 vcc_lo, 0x3bffffff, v4
	s_mov_b32 s5, 0
                                        ; implicit-def: $vgpr4
	s_and_saveexec_b32 s6, vcc_lo
	s_delay_alu instid0(SALU_CYCLE_1)
	s_xor_b32 s6, exec_lo, s6
	s_cbranch_execz .LBB143_3188
; %bb.3140:
	v_bfe_u32 v4, v3, 4, 1
	s_mov_b32 s5, exec_lo
	s_delay_alu instid0(VALU_DEP_1) | instskip(NEXT) | instid1(VALU_DEP_1)
	v_add3_u32 v4, v5, v4, 0x487ffff
                                        ; implicit-def: $vgpr5
	v_lshrrev_b32_e32 v4, 20, v4
	s_or_saveexec_b32 s6, s6
                                        ; implicit-def: $sgpr7
	s_delay_alu instid0(SALU_CYCLE_1)
	s_xor_b32 exec_lo, exec_lo, s6
	s_cbranch_execnz .LBB143_3189
.LBB143_3141:
	s_or_b32 exec_lo, exec_lo, s6
	v_mov_b32_e32 v6, s7
	s_and_saveexec_b32 s6, s5
.LBB143_3142:
	v_lshrrev_b32_e32 v3, 8, v3
	s_delay_alu instid0(VALU_DEP_1)
	v_and_or_b32 v6, 0x80, v3, v4
.LBB143_3143:
	s_or_b32 exec_lo, exec_lo, s6
.LBB143_3144:
	s_delay_alu instid0(SALU_CYCLE_1)
	s_or_b32 exec_lo, exec_lo, s4
	global_store_b8 v[0:1], v6, off
.LBB143_3145:
	s_mov_b32 s4, 0
.LBB143_3146:
	s_delay_alu instid0(SALU_CYCLE_1)
	s_and_b32 vcc_lo, exec_lo, s4
	s_cbranch_vccz .LBB143_3186
; %bb.3147:
	v_cmp_gt_i16_e64 s2, s3, 22
	s_delay_alu instid0(VALU_DEP_1)
	s_and_b32 vcc_lo, exec_lo, s2
	s_mov_b32 s2, -1
	s_cbranch_vccz .LBB143_3179
; %bb.3148:
	v_cmp_lt_i16_e64 s2, s3, 24
	s_delay_alu instid0(VALU_DEP_1)
	s_and_b32 vcc_lo, exec_lo, s2
	s_mov_b32 s2, -1
	s_cbranch_vccnz .LBB143_3168
; %bb.3149:
	v_cmp_gt_i16_e64 s2, s3, 24
	s_delay_alu instid0(VALU_DEP_1)
	s_and_b32 vcc_lo, exec_lo, s2
	s_mov_b32 s2, -1
	s_cbranch_vccz .LBB143_3157
; %bb.3150:
	v_dual_mov_b32 v6, 0x80 :: v_dual_lshlrev_b32 v5, 16, v2
	s_mov_b32 s2, exec_lo
	s_delay_alu instid0(VALU_DEP_1) | instskip(NEXT) | instid1(VALU_DEP_1)
	v_and_b32_e32 v4, 0x7fffffff, v5
	v_cmpx_gt_u32_e32 0x47800000, v4
	s_cbranch_execz .LBB143_3156
; %bb.3151:
	v_and_b32_e32 v3, 0xffff, v2
	v_cmp_lt_u32_e32 vcc_lo, 0x37ffffff, v4
	s_mov_b32 s4, 0
                                        ; implicit-def: $vgpr4
	s_and_saveexec_b32 s5, vcc_lo
	s_delay_alu instid0(SALU_CYCLE_1)
	s_xor_b32 s5, exec_lo, s5
	s_cbranch_execz .LBB143_3194
; %bb.3152:
	v_bfe_u32 v4, v3, 5, 1
	s_mov_b32 s4, exec_lo
	s_delay_alu instid0(VALU_DEP_1) | instskip(NEXT) | instid1(VALU_DEP_1)
	v_add3_u32 v4, v5, v4, 0x88fffff
                                        ; implicit-def: $vgpr5
	v_lshrrev_b32_e32 v4, 21, v4
	s_or_saveexec_b32 s5, s5
                                        ; implicit-def: $sgpr6
	s_delay_alu instid0(SALU_CYCLE_1)
	s_xor_b32 exec_lo, exec_lo, s5
	s_cbranch_execnz .LBB143_3195
.LBB143_3153:
	s_or_b32 exec_lo, exec_lo, s5
	v_mov_b32_e32 v6, s6
	s_and_saveexec_b32 s5, s4
.LBB143_3154:
	v_lshrrev_b32_e32 v3, 8, v3
	s_delay_alu instid0(VALU_DEP_1)
	v_and_or_b32 v6, 0x80, v3, v4
.LBB143_3155:
	s_or_b32 exec_lo, exec_lo, s5
.LBB143_3156:
	s_delay_alu instid0(SALU_CYCLE_1)
	s_or_b32 exec_lo, exec_lo, s2
	s_mov_b32 s2, 0
	global_store_b8 v[0:1], v6, off
.LBB143_3157:
	s_and_b32 vcc_lo, exec_lo, s2
	s_cbranch_vccz .LBB143_3167
; %bb.3158:
	v_lshlrev_b32_e32 v5, 16, v2
	v_and_b32_e32 v3, 0xffff, v2
	s_mov_b32 s2, exec_lo
                                        ; implicit-def: $vgpr4
	s_delay_alu instid0(VALU_DEP_2) | instskip(NEXT) | instid1(VALU_DEP_1)
	v_and_b32_e32 v6, 0x7fffffff, v5
	v_cmpx_gt_u32_e32 0x43f00000, v6
	s_xor_b32 s2, exec_lo, s2
	s_cbranch_execz .LBB143_3164
; %bb.3159:
	s_mov_b32 s4, exec_lo
                                        ; implicit-def: $vgpr4
	v_cmpx_lt_u32_e32 0x3c7fffff, v6
	s_xor_b32 s4, exec_lo, s4
; %bb.3160:
	v_bfe_u32 v4, v3, 4, 1
	s_delay_alu instid0(VALU_DEP_1) | instskip(NEXT) | instid1(VALU_DEP_1)
	v_add3_u32 v4, v5, v4, 0x407ffff
	v_and_b32_e32 v5, 0xff00000, v4
	v_lshrrev_b32_e32 v4, 20, v4
	s_delay_alu instid0(VALU_DEP_2) | instskip(NEXT) | instid1(VALU_DEP_2)
	v_cmp_ne_u32_e32 vcc_lo, 0x7f00000, v5
                                        ; implicit-def: $vgpr5
	v_cndmask_b32_e32 v4, 0x7e, v4, vcc_lo
; %bb.3161:
	s_and_not1_saveexec_b32 s4, s4
; %bb.3162:
	v_add_f32_e64 v4, 0x46800000, |v5|
; %bb.3163:
	s_or_b32 exec_lo, exec_lo, s4
                                        ; implicit-def: $vgpr6
.LBB143_3164:
	s_and_not1_saveexec_b32 s2, s2
; %bb.3165:
	v_mov_b32_e32 v4, 0x7f
	v_cmp_lt_u32_e32 vcc_lo, 0x7f800000, v6
	s_delay_alu instid0(VALU_DEP_2)
	v_cndmask_b32_e32 v4, 0x7e, v4, vcc_lo
; %bb.3166:
	s_or_b32 exec_lo, exec_lo, s2
	v_lshrrev_b32_e32 v3, 8, v3
	s_delay_alu instid0(VALU_DEP_1)
	v_and_or_b32 v3, 0x80, v3, v4
	global_store_b8 v[0:1], v3, off
.LBB143_3167:
	s_mov_b32 s2, 0
.LBB143_3168:
	s_delay_alu instid0(SALU_CYCLE_1)
	s_and_not1_b32 vcc_lo, exec_lo, s2
	s_cbranch_vccnz .LBB143_3178
; %bb.3169:
	v_lshlrev_b32_e32 v5, 16, v2
	v_and_b32_e32 v3, 0xffff, v2
	s_mov_b32 s2, exec_lo
                                        ; implicit-def: $vgpr4
	s_delay_alu instid0(VALU_DEP_2) | instskip(NEXT) | instid1(VALU_DEP_1)
	v_and_b32_e32 v6, 0x7fffffff, v5
	v_cmpx_gt_u32_e32 0x47800000, v6
	s_xor_b32 s2, exec_lo, s2
	s_cbranch_execz .LBB143_3175
; %bb.3170:
	s_mov_b32 s4, exec_lo
                                        ; implicit-def: $vgpr4
	v_cmpx_lt_u32_e32 0x387fffff, v6
	s_xor_b32 s4, exec_lo, s4
; %bb.3171:
	v_bfe_u32 v4, v3, 5, 1
	s_delay_alu instid0(VALU_DEP_1) | instskip(NEXT) | instid1(VALU_DEP_1)
	v_add3_u32 v4, v5, v4, 0x80fffff
                                        ; implicit-def: $vgpr5
	v_lshrrev_b32_e32 v4, 21, v4
; %bb.3172:
	s_and_not1_saveexec_b32 s4, s4
; %bb.3173:
	v_add_f32_e64 v4, 0x43000000, |v5|
; %bb.3174:
	s_or_b32 exec_lo, exec_lo, s4
                                        ; implicit-def: $vgpr6
.LBB143_3175:
	s_and_not1_saveexec_b32 s2, s2
; %bb.3176:
	v_mov_b32_e32 v4, 0x7f
	v_cmp_lt_u32_e32 vcc_lo, 0x7f800000, v6
	s_delay_alu instid0(VALU_DEP_2)
	v_cndmask_b32_e32 v4, 0x7c, v4, vcc_lo
; %bb.3177:
	s_or_b32 exec_lo, exec_lo, s2
	v_lshrrev_b32_e32 v3, 8, v3
	s_delay_alu instid0(VALU_DEP_1)
	v_and_or_b32 v3, 0x80, v3, v4
	global_store_b8 v[0:1], v3, off
.LBB143_3178:
	s_mov_b32 s2, 0
.LBB143_3179:
	s_delay_alu instid0(SALU_CYCLE_1)
	s_and_not1_b32 vcc_lo, exec_lo, s2
	s_mov_b32 s2, 0
	s_cbranch_vccnz .LBB143_3186
; %bb.3180:
	v_cmp_gt_i16_e64 s2, s3, 14
	s_delay_alu instid0(VALU_DEP_1)
	s_and_b32 vcc_lo, exec_lo, s2
	s_mov_b32 s2, -1
	s_cbranch_vccz .LBB143_3184
; %bb.3181:
	v_cmp_eq_u16_e64 s0, s3, 15
	s_delay_alu instid0(VALU_DEP_1)
	s_and_b32 vcc_lo, exec_lo, s0
	s_mov_b32 s0, -1
	s_cbranch_vccz .LBB143_3183
; %bb.3182:
	s_mov_b32 s0, 0
	global_store_b16 v[0:1], v2, off
.LBB143_3183:
	s_mov_b32 s2, 0
.LBB143_3184:
	s_delay_alu instid0(SALU_CYCLE_1)
	s_and_b32 vcc_lo, exec_lo, s2
	s_mov_b32 s2, 0
	s_cbranch_vccz .LBB143_3186
; %bb.3185:
	v_cmp_ne_u16_e64 s0, s3, 11
	s_mov_b32 s2, -1
.LBB143_3186:
	s_delay_alu instid0(VALU_DEP_1)
	s_and_b32 vcc_lo, exec_lo, s0
	s_cbranch_vccnz .LBB143_3192
.LBB143_3187:
	s_mov_b32 s0, 0
	s_branch .LBB143_3065
.LBB143_3188:
	s_or_saveexec_b32 s6, s6
                                        ; implicit-def: $sgpr7
	s_delay_alu instid0(SALU_CYCLE_1)
	s_xor_b32 exec_lo, exec_lo, s6
	s_cbranch_execz .LBB143_3141
.LBB143_3189:
	v_add_f32_e64 v4, 0x46000000, |v5|
	s_and_not1_b32 s5, s5, exec_lo
	s_mov_b32 s7, 0
	s_delay_alu instid0(VALU_DEP_1) | instskip(NEXT) | instid1(VALU_DEP_1)
	v_and_b32_e32 v4, 0xff, v4
	v_cmp_ne_u32_e32 vcc_lo, 0, v4
	s_and_b32 s10, vcc_lo, exec_lo
	s_delay_alu instid0(SALU_CYCLE_1)
	s_or_b32 s5, s5, s10
	s_or_b32 exec_lo, exec_lo, s6
	v_mov_b32_e32 v6, s7
	s_and_saveexec_b32 s6, s5
	s_cbranch_execnz .LBB143_3142
	s_branch .LBB143_3143
.LBB143_3190:
	s_trap 2
	s_sendmsg_rtn_b32 s0, sendmsg(MSG_RTN_GET_DOORBELL)
	s_mov_b32 ttmp2, m0
	s_waitcnt lgkmcnt(0)
	s_and_b32 s0, s0, 0x3ff
	s_delay_alu instid0(SALU_CYCLE_1) | instskip(NEXT) | instid1(SALU_CYCLE_1)
	s_bitset1_b32 s0, 10
	s_mov_b32 m0, s0
	s_sendmsg sendmsg(MSG_INTERRUPT)
	s_mov_b32 m0, ttmp2
.LBB143_3191:                           ; =>This Inner Loop Header: Depth=1
	s_sethalt 5
	s_branch .LBB143_3191
.LBB143_3192:
	s_cbranch_execnz .LBB143_3196
; %bb.3193:
	s_mov_b32 s2, 0
	s_or_b32 s1, s1, exec_lo
	s_branch .LBB143_3187
.LBB143_3194:
	s_or_saveexec_b32 s5, s5
                                        ; implicit-def: $sgpr6
	s_delay_alu instid0(SALU_CYCLE_1)
	s_xor_b32 exec_lo, exec_lo, s5
	s_cbranch_execz .LBB143_3153
.LBB143_3195:
	v_add_f32_e64 v4, 0x42800000, |v5|
	s_and_not1_b32 s4, s4, exec_lo
	s_mov_b32 s6, 0
	s_delay_alu instid0(VALU_DEP_1) | instskip(NEXT) | instid1(VALU_DEP_1)
	v_and_b32_e32 v4, 0xff, v4
	v_cmp_ne_u32_e32 vcc_lo, 0, v4
	s_and_b32 s7, vcc_lo, exec_lo
	s_delay_alu instid0(SALU_CYCLE_1)
	s_or_b32 s4, s4, s7
	s_or_b32 exec_lo, exec_lo, s5
	v_mov_b32_e32 v6, s6
	s_and_saveexec_b32 s5, s4
	s_cbranch_execnz .LBB143_3154
	s_branch .LBB143_3155
.LBB143_3196:
	s_trap 2
	s_sendmsg_rtn_b32 s0, sendmsg(MSG_RTN_GET_DOORBELL)
	s_mov_b32 ttmp2, m0
	s_waitcnt lgkmcnt(0)
	s_and_b32 s0, s0, 0x3ff
	s_delay_alu instid0(SALU_CYCLE_1) | instskip(NEXT) | instid1(SALU_CYCLE_1)
	s_bitset1_b32 s0, 10
	s_mov_b32 m0, s0
	s_sendmsg sendmsg(MSG_INTERRUPT)
	s_mov_b32 m0, ttmp2
.LBB143_3197:                           ; =>This Inner Loop Header: Depth=1
	s_sethalt 5
	s_branch .LBB143_3197
	.section	.rodata,"a",@progbits
	.p2align	6, 0x0
	.amdhsa_kernel _ZN2at6native32elementwise_kernel_manual_unrollILi128ELi4EZNS0_15gpu_kernel_implIZNS0_12_GLOBAL__N_119masked_scale_kernelIbN3c108BFloat16EfEEvRNS_6TensorERKS7_SA_T1_EUlS6_bE_EEvRNS_18TensorIteratorBaseERKT_EUlibE0_EEviSB_
		.amdhsa_group_segment_fixed_size 0
		.amdhsa_private_segment_fixed_size 0
		.amdhsa_kernarg_size 432
		.amdhsa_user_sgpr_count 15
		.amdhsa_user_sgpr_dispatch_ptr 0
		.amdhsa_user_sgpr_queue_ptr 0
		.amdhsa_user_sgpr_kernarg_segment_ptr 1
		.amdhsa_user_sgpr_dispatch_id 0
		.amdhsa_user_sgpr_private_segment_size 0
		.amdhsa_wavefront_size32 1
		.amdhsa_uses_dynamic_stack 0
		.amdhsa_enable_private_segment 0
		.amdhsa_system_sgpr_workgroup_id_x 1
		.amdhsa_system_sgpr_workgroup_id_y 0
		.amdhsa_system_sgpr_workgroup_id_z 0
		.amdhsa_system_sgpr_workgroup_info 0
		.amdhsa_system_vgpr_workitem_id 0
		.amdhsa_next_free_vgpr 20
		.amdhsa_next_free_sgpr 62
		.amdhsa_reserve_vcc 1
		.amdhsa_float_round_mode_32 0
		.amdhsa_float_round_mode_16_64 0
		.amdhsa_float_denorm_mode_32 3
		.amdhsa_float_denorm_mode_16_64 3
		.amdhsa_dx10_clamp 1
		.amdhsa_ieee_mode 1
		.amdhsa_fp16_overflow 0
		.amdhsa_workgroup_processor_mode 1
		.amdhsa_memory_ordered 1
		.amdhsa_forward_progress 0
		.amdhsa_shared_vgpr_count 0
		.amdhsa_exception_fp_ieee_invalid_op 0
		.amdhsa_exception_fp_denorm_src 0
		.amdhsa_exception_fp_ieee_div_zero 0
		.amdhsa_exception_fp_ieee_overflow 0
		.amdhsa_exception_fp_ieee_underflow 0
		.amdhsa_exception_fp_ieee_inexact 0
		.amdhsa_exception_int_div_zero 0
	.end_amdhsa_kernel
	.section	.text._ZN2at6native32elementwise_kernel_manual_unrollILi128ELi4EZNS0_15gpu_kernel_implIZNS0_12_GLOBAL__N_119masked_scale_kernelIbN3c108BFloat16EfEEvRNS_6TensorERKS7_SA_T1_EUlS6_bE_EEvRNS_18TensorIteratorBaseERKT_EUlibE0_EEviSB_,"axG",@progbits,_ZN2at6native32elementwise_kernel_manual_unrollILi128ELi4EZNS0_15gpu_kernel_implIZNS0_12_GLOBAL__N_119masked_scale_kernelIbN3c108BFloat16EfEEvRNS_6TensorERKS7_SA_T1_EUlS6_bE_EEvRNS_18TensorIteratorBaseERKT_EUlibE0_EEviSB_,comdat
.Lfunc_end143:
	.size	_ZN2at6native32elementwise_kernel_manual_unrollILi128ELi4EZNS0_15gpu_kernel_implIZNS0_12_GLOBAL__N_119masked_scale_kernelIbN3c108BFloat16EfEEvRNS_6TensorERKS7_SA_T1_EUlS6_bE_EEvRNS_18TensorIteratorBaseERKT_EUlibE0_EEviSB_, .Lfunc_end143-_ZN2at6native32elementwise_kernel_manual_unrollILi128ELi4EZNS0_15gpu_kernel_implIZNS0_12_GLOBAL__N_119masked_scale_kernelIbN3c108BFloat16EfEEvRNS_6TensorERKS7_SA_T1_EUlS6_bE_EEvRNS_18TensorIteratorBaseERKT_EUlibE0_EEviSB_
                                        ; -- End function
	.section	.AMDGPU.csdata,"",@progbits
; Kernel info:
; codeLenInByte = 66700
; NumSgprs: 64
; NumVgprs: 20
; ScratchSize: 0
; MemoryBound: 1
; FloatMode: 240
; IeeeMode: 1
; LDSByteSize: 0 bytes/workgroup (compile time only)
; SGPRBlocks: 7
; VGPRBlocks: 2
; NumSGPRsForWavesPerEU: 64
; NumVGPRsForWavesPerEU: 20
; Occupancy: 16
; WaveLimiterHint : 1
; COMPUTE_PGM_RSRC2:SCRATCH_EN: 0
; COMPUTE_PGM_RSRC2:USER_SGPR: 15
; COMPUTE_PGM_RSRC2:TRAP_HANDLER: 0
; COMPUTE_PGM_RSRC2:TGID_X_EN: 1
; COMPUTE_PGM_RSRC2:TGID_Y_EN: 0
; COMPUTE_PGM_RSRC2:TGID_Z_EN: 0
; COMPUTE_PGM_RSRC2:TIDIG_COMP_CNT: 0
	.section	.text._ZN2at6native29vectorized_elementwise_kernelILi16EZNS0_12_GLOBAL__N_119masked_scale_kernelIhddEEvRNS_6TensorERKS4_S7_T1_EUldhE_St5arrayIPcLm3EEEEviT0_S8_,"axG",@progbits,_ZN2at6native29vectorized_elementwise_kernelILi16EZNS0_12_GLOBAL__N_119masked_scale_kernelIhddEEvRNS_6TensorERKS4_S7_T1_EUldhE_St5arrayIPcLm3EEEEviT0_S8_,comdat
	.globl	_ZN2at6native29vectorized_elementwise_kernelILi16EZNS0_12_GLOBAL__N_119masked_scale_kernelIhddEEvRNS_6TensorERKS4_S7_T1_EUldhE_St5arrayIPcLm3EEEEviT0_S8_ ; -- Begin function _ZN2at6native29vectorized_elementwise_kernelILi16EZNS0_12_GLOBAL__N_119masked_scale_kernelIhddEEvRNS_6TensorERKS4_S7_T1_EUldhE_St5arrayIPcLm3EEEEviT0_S8_
	.p2align	8
	.type	_ZN2at6native29vectorized_elementwise_kernelILi16EZNS0_12_GLOBAL__N_119masked_scale_kernelIhddEEvRNS_6TensorERKS4_S7_T1_EUldhE_St5arrayIPcLm3EEEEviT0_S8_,@function
_ZN2at6native29vectorized_elementwise_kernelILi16EZNS0_12_GLOBAL__N_119masked_scale_kernelIhddEEvRNS_6TensorERKS4_S7_T1_EUldhE_St5arrayIPcLm3EEEEviT0_S8_: ; @_ZN2at6native29vectorized_elementwise_kernelILi16EZNS0_12_GLOBAL__N_119masked_scale_kernelIhddEEvRNS_6TensorERKS4_S7_T1_EUldhE_St5arrayIPcLm3EEEEviT0_S8_
; %bb.0:
	s_clause 0x1
	s_load_b32 s3, s[0:1], 0x0
	s_load_b256 s[4:11], s[0:1], 0x8
	s_lshl_b32 s2, s15, 10
	s_mov_b32 s0, -1
	s_waitcnt lgkmcnt(0)
	s_sub_i32 s1, s3, s2
	s_delay_alu instid0(SALU_CYCLE_1)
	s_cmpk_gt_i32 s1, 0x3ff
	s_cbranch_scc0 .LBB144_2
; %bb.1:
	s_ashr_i32 s3, s2, 31
	v_lshlrev_b32_e32 v1, 2, v0
	s_lshl_b64 s[12:13], s[2:3], 3
	v_lshlrev_b32_e32 v17, 5, v0
	s_add_u32 s14, s8, s12
	s_addc_u32 s15, s9, s13
	s_add_u32 s16, s10, s2
	s_addc_u32 s17, s11, s3
	s_add_u32 s12, s6, s12
	global_load_b32 v9, v1, s[16:17]
	s_clause 0x1
	global_load_b128 v[1:4], v17, s[14:15]
	global_load_b128 v[5:8], v17, s[14:15] offset:16
	s_addc_u32 s13, s7, s13
	s_mov_b32 s0, 0
	s_waitcnt vmcnt(2)
	v_and_b32_e32 v10, 0xff, v9
	v_bfe_u32 v11, v9, 8, 8
	v_bfe_u32 v13, v9, 16, 8
	v_lshrrev_b32_e32 v15, 24, v9
	s_delay_alu instid0(VALU_DEP_4) | instskip(NEXT) | instid1(VALU_DEP_4)
	v_cvt_f64_u32_e32 v[9:10], v10
	v_cvt_f64_u32_e32 v[11:12], v11
	s_delay_alu instid0(VALU_DEP_4) | instskip(NEXT) | instid1(VALU_DEP_4)
	v_cvt_f64_u32_e32 v[13:14], v13
	v_cvt_f64_u32_e32 v[15:16], v15
	s_waitcnt vmcnt(1)
	s_delay_alu instid0(VALU_DEP_4) | instskip(NEXT) | instid1(VALU_DEP_4)
	v_mul_f64 v[1:2], v[1:2], v[9:10]
	v_mul_f64 v[3:4], v[3:4], v[11:12]
	s_waitcnt vmcnt(0)
	s_delay_alu instid0(VALU_DEP_4) | instskip(NEXT) | instid1(VALU_DEP_4)
	v_mul_f64 v[5:6], v[5:6], v[13:14]
	v_mul_f64 v[7:8], v[7:8], v[15:16]
	s_delay_alu instid0(VALU_DEP_4) | instskip(NEXT) | instid1(VALU_DEP_4)
	v_mul_f64 v[1:2], v[1:2], s[4:5]
	v_mul_f64 v[3:4], v[3:4], s[4:5]
	;; [unrolled: 3-line block ×3, first 2 shown]
	s_clause 0x1
	global_store_b128 v17, v[1:4], s[12:13]
	global_store_b128 v17, v[5:8], s[12:13] offset:16
.LBB144_2:
	s_and_not1_b32 vcc_lo, exec_lo, s0
	s_cbranch_vccnz .LBB144_21
; %bb.3:
	v_mov_b32_e32 v11, 0
	v_dual_mov_b32 v12, 0 :: v_dual_mov_b32 v1, v0
	v_cmp_gt_i32_e32 vcc_lo, s1, v0
	v_or_b32_e32 v9, s2, v0
	v_or_b32_e32 v27, 0x100, v0
	s_delay_alu instid0(VALU_DEP_4)
	v_dual_mov_b32 v14, v12 :: v_dual_mov_b32 v13, v11
	v_dual_mov_b32 v16, v12 :: v_dual_mov_b32 v15, v11
	s_and_saveexec_b32 s3, vcc_lo
	s_cbranch_execz .LBB144_5
; %bb.4:
	global_load_u8 v3, v9, s[10:11]
	v_mov_b32_e32 v10, 0
	s_delay_alu instid0(VALU_DEP_1) | instskip(NEXT) | instid1(VALU_DEP_1)
	v_lshlrev_b64 v[1:2], 3, v[9:10]
	v_add_co_u32 v1, s0, s8, v1
	s_delay_alu instid0(VALU_DEP_1)
	v_add_co_ci_u32_e64 v2, s0, s9, v2, s0
	global_load_b64 v[13:14], v[1:2], off
	v_or_b32_e32 v1, 0x100, v0
	s_waitcnt vmcnt(1)
	v_cvt_f64_u32_e32 v[15:16], v3
.LBB144_5:
	s_or_b32 exec_lo, exec_lo, s3
	v_dual_mov_b32 v20, v12 :: v_dual_mov_b32 v19, v11
	s_mov_b32 s3, exec_lo
	v_cmpx_gt_i32_e64 s1, v1
	s_cbranch_execz .LBB144_7
; %bb.6:
	v_dual_mov_b32 v3, 0 :: v_dual_add_nc_u32 v2, s2, v1
	v_add_nc_u32_e32 v1, 0x100, v1
	global_load_u8 v4, v2, s[10:11]
	v_lshlrev_b64 v[2:3], 3, v[2:3]
	s_delay_alu instid0(VALU_DEP_1) | instskip(NEXT) | instid1(VALU_DEP_1)
	v_add_co_u32 v2, s0, s8, v2
	v_add_co_ci_u32_e64 v3, s0, s9, v3, s0
	global_load_b64 v[11:12], v[2:3], off
	s_waitcnt vmcnt(1)
	v_cvt_f64_u32_e32 v[19:20], v4
.LBB144_7:
	s_or_b32 exec_lo, exec_lo, s3
	v_mov_b32_e32 v17, 0
	v_mov_b32_e32 v18, 0
	s_mov_b32 s3, exec_lo
	s_delay_alu instid0(VALU_DEP_1)
	v_dual_mov_b32 v22, v18 :: v_dual_mov_b32 v21, v17
	v_dual_mov_b32 v24, v18 :: v_dual_mov_b32 v23, v17
	v_cmpx_gt_i32_e64 s1, v1
	s_cbranch_execz .LBB144_9
; %bb.8:
	v_dual_mov_b32 v3, 0 :: v_dual_add_nc_u32 v2, s2, v1
	v_add_nc_u32_e32 v1, 0x100, v1
	global_load_u8 v4, v2, s[10:11]
	v_lshlrev_b64 v[2:3], 3, v[2:3]
	s_delay_alu instid0(VALU_DEP_1) | instskip(NEXT) | instid1(VALU_DEP_1)
	v_add_co_u32 v2, s0, s8, v2
	v_add_co_ci_u32_e64 v3, s0, s9, v3, s0
	global_load_b64 v[21:22], v[2:3], off
	s_waitcnt vmcnt(1)
	v_cvt_f64_u32_e32 v[23:24], v4
.LBB144_9:
	s_or_b32 exec_lo, exec_lo, s3
	v_dual_mov_b32 v26, v18 :: v_dual_mov_b32 v25, v17
	s_mov_b32 s3, exec_lo
	v_cmpx_gt_i32_e64 s1, v1
	s_cbranch_execnz .LBB144_22
; %bb.10:
	s_or_b32 exec_lo, exec_lo, s3
                                        ; implicit-def: $vgpr1_vgpr2_vgpr3_vgpr4_vgpr5_vgpr6_vgpr7_vgpr8
	s_and_saveexec_b32 s0, vcc_lo
	s_cbranch_execnz .LBB144_23
.LBB144_11:
	s_or_b32 exec_lo, exec_lo, s0
	s_delay_alu instid0(SALU_CYCLE_1)
	s_mov_b32 s3, exec_lo
	v_cmpx_gt_i32_e64 s1, v27
	s_cbranch_execz .LBB144_13
.LBB144_12:
	s_waitcnt vmcnt(0)
	v_mul_f64 v[3:4], v[11:12], v[19:20]
	s_delay_alu instid0(VALU_DEP_1)
	v_mul_f64 v[3:4], v[3:4], s[4:5]
.LBB144_13:
	s_or_b32 exec_lo, exec_lo, s3
	v_or_b32_e32 v10, 0x200, v0
	s_mov_b32 s3, exec_lo
	s_delay_alu instid0(VALU_DEP_1)
	v_cmpx_gt_i32_e64 s1, v10
	s_cbranch_execz .LBB144_15
; %bb.14:
	s_waitcnt vmcnt(0)
	v_mul_f64 v[5:6], v[21:22], v[23:24]
	s_delay_alu instid0(VALU_DEP_1)
	v_mul_f64 v[5:6], v[5:6], s[4:5]
.LBB144_15:
	s_or_b32 exec_lo, exec_lo, s3
	v_or_b32_e32 v10, 0x300, v0
	s_mov_b32 s3, exec_lo
	s_delay_alu instid0(VALU_DEP_1)
	v_cmpx_gt_i32_e64 s1, v10
	s_cbranch_execnz .LBB144_24
; %bb.16:
	s_or_b32 exec_lo, exec_lo, s3
	s_and_saveexec_b32 s0, vcc_lo
	s_delay_alu instid0(SALU_CYCLE_1)
	s_xor_b32 s0, exec_lo, s0
	s_cbranch_execnz .LBB144_25
.LBB144_17:
	s_or_b32 exec_lo, exec_lo, s0
	s_delay_alu instid0(SALU_CYCLE_1)
	s_mov_b32 s0, exec_lo
	v_cmpx_gt_i32_e64 s1, v0
	s_cbranch_execnz .LBB144_26
.LBB144_18:
	s_or_b32 exec_lo, exec_lo, s0
	s_delay_alu instid0(SALU_CYCLE_1)
	s_mov_b32 s0, exec_lo
	v_cmpx_gt_i32_e64 s1, v0
	s_cbranch_execnz .LBB144_27
.LBB144_19:
	s_or_b32 exec_lo, exec_lo, s0
	s_delay_alu instid0(SALU_CYCLE_1)
	s_mov_b32 s0, exec_lo
	v_cmpx_gt_i32_e64 s1, v0
	s_cbranch_execz .LBB144_21
.LBB144_20:
	v_dual_mov_b32 v1, 0 :: v_dual_add_nc_u32 v0, s2, v0
	s_delay_alu instid0(VALU_DEP_1) | instskip(NEXT) | instid1(VALU_DEP_1)
	v_lshlrev_b64 v[0:1], 3, v[0:1]
	v_add_co_u32 v0, vcc_lo, s6, v0
	s_delay_alu instid0(VALU_DEP_2)
	v_add_co_ci_u32_e32 v1, vcc_lo, s7, v1, vcc_lo
	global_store_b64 v[0:1], v[7:8], off
.LBB144_21:
	s_nop 0
	s_sendmsg sendmsg(MSG_DEALLOC_VGPRS)
	s_endpgm
.LBB144_22:
	v_dual_mov_b32 v2, 0 :: v_dual_add_nc_u32 v1, s2, v1
	global_load_u8 v3, v1, s[10:11]
	v_lshlrev_b64 v[1:2], 3, v[1:2]
	s_delay_alu instid0(VALU_DEP_1) | instskip(NEXT) | instid1(VALU_DEP_1)
	v_add_co_u32 v1, s0, s8, v1
	v_add_co_ci_u32_e64 v2, s0, s9, v2, s0
	global_load_b64 v[25:26], v[1:2], off
	s_waitcnt vmcnt(1)
	v_cvt_f64_u32_e32 v[17:18], v3
	s_or_b32 exec_lo, exec_lo, s3
                                        ; implicit-def: $vgpr1_vgpr2_vgpr3_vgpr4_vgpr5_vgpr6_vgpr7_vgpr8
	s_and_saveexec_b32 s0, vcc_lo
	s_cbranch_execz .LBB144_11
.LBB144_23:
	s_waitcnt vmcnt(0)
	v_mul_f64 v[1:2], v[13:14], v[15:16]
	s_delay_alu instid0(VALU_DEP_1) | instskip(SKIP_1) | instid1(SALU_CYCLE_1)
	v_mul_f64 v[1:2], v[1:2], s[4:5]
	s_or_b32 exec_lo, exec_lo, s0
	s_mov_b32 s3, exec_lo
	v_cmpx_gt_i32_e64 s1, v27
	s_cbranch_execnz .LBB144_12
	s_branch .LBB144_13
.LBB144_24:
	s_waitcnt vmcnt(0)
	v_mul_f64 v[7:8], v[17:18], v[25:26]
	s_delay_alu instid0(VALU_DEP_1) | instskip(SKIP_2) | instid1(SALU_CYCLE_1)
	v_mul_f64 v[7:8], v[7:8], s[4:5]
	s_or_b32 exec_lo, exec_lo, s3
	s_and_saveexec_b32 s0, vcc_lo
	s_xor_b32 s0, exec_lo, s0
	s_cbranch_execz .LBB144_17
.LBB144_25:
	v_mov_b32_e32 v10, 0
	v_mov_b32_e32 v0, v27
	s_delay_alu instid0(VALU_DEP_2) | instskip(NEXT) | instid1(VALU_DEP_1)
	v_lshlrev_b64 v[9:10], 3, v[9:10]
	v_add_co_u32 v9, vcc_lo, s6, v9
	s_delay_alu instid0(VALU_DEP_2) | instskip(SKIP_2) | instid1(SALU_CYCLE_1)
	v_add_co_ci_u32_e32 v10, vcc_lo, s7, v10, vcc_lo
	global_store_b64 v[9:10], v[1:2], off
	s_or_b32 exec_lo, exec_lo, s0
	s_mov_b32 s0, exec_lo
	v_cmpx_gt_i32_e64 s1, v0
	s_cbranch_execz .LBB144_18
.LBB144_26:
	v_dual_mov_b32 v2, 0 :: v_dual_add_nc_u32 v1, s2, v0
	v_add_nc_u32_e32 v0, 0x100, v0
	s_delay_alu instid0(VALU_DEP_2) | instskip(NEXT) | instid1(VALU_DEP_1)
	v_lshlrev_b64 v[1:2], 3, v[1:2]
	v_add_co_u32 v1, vcc_lo, s6, v1
	s_delay_alu instid0(VALU_DEP_2) | instskip(SKIP_2) | instid1(SALU_CYCLE_1)
	v_add_co_ci_u32_e32 v2, vcc_lo, s7, v2, vcc_lo
	global_store_b64 v[1:2], v[3:4], off
	s_or_b32 exec_lo, exec_lo, s0
	s_mov_b32 s0, exec_lo
	v_cmpx_gt_i32_e64 s1, v0
	s_cbranch_execz .LBB144_19
.LBB144_27:
	v_dual_mov_b32 v2, 0 :: v_dual_add_nc_u32 v1, s2, v0
	v_add_nc_u32_e32 v0, 0x100, v0
	s_delay_alu instid0(VALU_DEP_2) | instskip(NEXT) | instid1(VALU_DEP_1)
	v_lshlrev_b64 v[1:2], 3, v[1:2]
	v_add_co_u32 v1, vcc_lo, s6, v1
	s_delay_alu instid0(VALU_DEP_2) | instskip(SKIP_2) | instid1(SALU_CYCLE_1)
	v_add_co_ci_u32_e32 v2, vcc_lo, s7, v2, vcc_lo
	global_store_b64 v[1:2], v[5:6], off
	s_or_b32 exec_lo, exec_lo, s0
	s_mov_b32 s0, exec_lo
	v_cmpx_gt_i32_e64 s1, v0
	s_cbranch_execnz .LBB144_20
	s_branch .LBB144_21
	.section	.rodata,"a",@progbits
	.p2align	6, 0x0
	.amdhsa_kernel _ZN2at6native29vectorized_elementwise_kernelILi16EZNS0_12_GLOBAL__N_119masked_scale_kernelIhddEEvRNS_6TensorERKS4_S7_T1_EUldhE_St5arrayIPcLm3EEEEviT0_S8_
		.amdhsa_group_segment_fixed_size 0
		.amdhsa_private_segment_fixed_size 0
		.amdhsa_kernarg_size 40
		.amdhsa_user_sgpr_count 15
		.amdhsa_user_sgpr_dispatch_ptr 0
		.amdhsa_user_sgpr_queue_ptr 0
		.amdhsa_user_sgpr_kernarg_segment_ptr 1
		.amdhsa_user_sgpr_dispatch_id 0
		.amdhsa_user_sgpr_private_segment_size 0
		.amdhsa_wavefront_size32 1
		.amdhsa_uses_dynamic_stack 0
		.amdhsa_enable_private_segment 0
		.amdhsa_system_sgpr_workgroup_id_x 1
		.amdhsa_system_sgpr_workgroup_id_y 0
		.amdhsa_system_sgpr_workgroup_id_z 0
		.amdhsa_system_sgpr_workgroup_info 0
		.amdhsa_system_vgpr_workitem_id 0
		.amdhsa_next_free_vgpr 28
		.amdhsa_next_free_sgpr 18
		.amdhsa_reserve_vcc 1
		.amdhsa_float_round_mode_32 0
		.amdhsa_float_round_mode_16_64 0
		.amdhsa_float_denorm_mode_32 3
		.amdhsa_float_denorm_mode_16_64 3
		.amdhsa_dx10_clamp 1
		.amdhsa_ieee_mode 1
		.amdhsa_fp16_overflow 0
		.amdhsa_workgroup_processor_mode 1
		.amdhsa_memory_ordered 1
		.amdhsa_forward_progress 0
		.amdhsa_shared_vgpr_count 0
		.amdhsa_exception_fp_ieee_invalid_op 0
		.amdhsa_exception_fp_denorm_src 0
		.amdhsa_exception_fp_ieee_div_zero 0
		.amdhsa_exception_fp_ieee_overflow 0
		.amdhsa_exception_fp_ieee_underflow 0
		.amdhsa_exception_fp_ieee_inexact 0
		.amdhsa_exception_int_div_zero 0
	.end_amdhsa_kernel
	.section	.text._ZN2at6native29vectorized_elementwise_kernelILi16EZNS0_12_GLOBAL__N_119masked_scale_kernelIhddEEvRNS_6TensorERKS4_S7_T1_EUldhE_St5arrayIPcLm3EEEEviT0_S8_,"axG",@progbits,_ZN2at6native29vectorized_elementwise_kernelILi16EZNS0_12_GLOBAL__N_119masked_scale_kernelIhddEEvRNS_6TensorERKS4_S7_T1_EUldhE_St5arrayIPcLm3EEEEviT0_S8_,comdat
.Lfunc_end144:
	.size	_ZN2at6native29vectorized_elementwise_kernelILi16EZNS0_12_GLOBAL__N_119masked_scale_kernelIhddEEvRNS_6TensorERKS4_S7_T1_EUldhE_St5arrayIPcLm3EEEEviT0_S8_, .Lfunc_end144-_ZN2at6native29vectorized_elementwise_kernelILi16EZNS0_12_GLOBAL__N_119masked_scale_kernelIhddEEvRNS_6TensorERKS4_S7_T1_EUldhE_St5arrayIPcLm3EEEEviT0_S8_
                                        ; -- End function
	.section	.AMDGPU.csdata,"",@progbits
; Kernel info:
; codeLenInByte = 1324
; NumSgprs: 20
; NumVgprs: 28
; ScratchSize: 0
; MemoryBound: 0
; FloatMode: 240
; IeeeMode: 1
; LDSByteSize: 0 bytes/workgroup (compile time only)
; SGPRBlocks: 2
; VGPRBlocks: 3
; NumSGPRsForWavesPerEU: 20
; NumVGPRsForWavesPerEU: 28
; Occupancy: 16
; WaveLimiterHint : 0
; COMPUTE_PGM_RSRC2:SCRATCH_EN: 0
; COMPUTE_PGM_RSRC2:USER_SGPR: 15
; COMPUTE_PGM_RSRC2:TRAP_HANDLER: 0
; COMPUTE_PGM_RSRC2:TGID_X_EN: 1
; COMPUTE_PGM_RSRC2:TGID_Y_EN: 0
; COMPUTE_PGM_RSRC2:TGID_Z_EN: 0
; COMPUTE_PGM_RSRC2:TIDIG_COMP_CNT: 0
	.section	.text._ZN2at6native29vectorized_elementwise_kernelILi8EZNS0_12_GLOBAL__N_119masked_scale_kernelIhddEEvRNS_6TensorERKS4_S7_T1_EUldhE_St5arrayIPcLm3EEEEviT0_S8_,"axG",@progbits,_ZN2at6native29vectorized_elementwise_kernelILi8EZNS0_12_GLOBAL__N_119masked_scale_kernelIhddEEvRNS_6TensorERKS4_S7_T1_EUldhE_St5arrayIPcLm3EEEEviT0_S8_,comdat
	.globl	_ZN2at6native29vectorized_elementwise_kernelILi8EZNS0_12_GLOBAL__N_119masked_scale_kernelIhddEEvRNS_6TensorERKS4_S7_T1_EUldhE_St5arrayIPcLm3EEEEviT0_S8_ ; -- Begin function _ZN2at6native29vectorized_elementwise_kernelILi8EZNS0_12_GLOBAL__N_119masked_scale_kernelIhddEEvRNS_6TensorERKS4_S7_T1_EUldhE_St5arrayIPcLm3EEEEviT0_S8_
	.p2align	8
	.type	_ZN2at6native29vectorized_elementwise_kernelILi8EZNS0_12_GLOBAL__N_119masked_scale_kernelIhddEEvRNS_6TensorERKS4_S7_T1_EUldhE_St5arrayIPcLm3EEEEviT0_S8_,@function
_ZN2at6native29vectorized_elementwise_kernelILi8EZNS0_12_GLOBAL__N_119masked_scale_kernelIhddEEvRNS_6TensorERKS4_S7_T1_EUldhE_St5arrayIPcLm3EEEEviT0_S8_: ; @_ZN2at6native29vectorized_elementwise_kernelILi8EZNS0_12_GLOBAL__N_119masked_scale_kernelIhddEEvRNS_6TensorERKS4_S7_T1_EUldhE_St5arrayIPcLm3EEEEviT0_S8_
; %bb.0:
	s_clause 0x1
	s_load_b32 s3, s[0:1], 0x0
	s_load_b256 s[4:11], s[0:1], 0x8
	s_lshl_b32 s2, s15, 10
	s_mov_b32 s0, -1
	s_waitcnt lgkmcnt(0)
	s_sub_i32 s1, s3, s2
	s_delay_alu instid0(SALU_CYCLE_1)
	s_cmpk_gt_i32 s1, 0x3ff
	s_cbranch_scc0 .LBB145_2
; %bb.1:
	s_ashr_i32 s3, s2, 31
	v_lshlrev_b32_e32 v1, 2, v0
	s_lshl_b64 s[12:13], s[2:3], 3
	v_lshlrev_b32_e32 v17, 5, v0
	s_add_u32 s14, s8, s12
	s_addc_u32 s15, s9, s13
	s_add_u32 s16, s10, s2
	s_addc_u32 s17, s11, s3
	s_add_u32 s12, s6, s12
	global_load_b32 v9, v1, s[16:17]
	s_clause 0x1
	global_load_b128 v[1:4], v17, s[14:15]
	global_load_b128 v[5:8], v17, s[14:15] offset:16
	s_addc_u32 s13, s7, s13
	s_mov_b32 s0, 0
	s_waitcnt vmcnt(2)
	v_and_b32_e32 v10, 0xff, v9
	v_bfe_u32 v11, v9, 8, 8
	v_bfe_u32 v13, v9, 16, 8
	v_lshrrev_b32_e32 v15, 24, v9
	s_delay_alu instid0(VALU_DEP_4) | instskip(NEXT) | instid1(VALU_DEP_4)
	v_cvt_f64_u32_e32 v[9:10], v10
	v_cvt_f64_u32_e32 v[11:12], v11
	s_delay_alu instid0(VALU_DEP_4) | instskip(NEXT) | instid1(VALU_DEP_4)
	v_cvt_f64_u32_e32 v[13:14], v13
	v_cvt_f64_u32_e32 v[15:16], v15
	s_waitcnt vmcnt(1)
	s_delay_alu instid0(VALU_DEP_4) | instskip(NEXT) | instid1(VALU_DEP_4)
	v_mul_f64 v[1:2], v[1:2], v[9:10]
	v_mul_f64 v[3:4], v[3:4], v[11:12]
	s_waitcnt vmcnt(0)
	s_delay_alu instid0(VALU_DEP_4) | instskip(NEXT) | instid1(VALU_DEP_4)
	v_mul_f64 v[5:6], v[5:6], v[13:14]
	v_mul_f64 v[7:8], v[7:8], v[15:16]
	s_delay_alu instid0(VALU_DEP_4) | instskip(NEXT) | instid1(VALU_DEP_4)
	v_mul_f64 v[1:2], v[1:2], s[4:5]
	v_mul_f64 v[3:4], v[3:4], s[4:5]
	s_delay_alu instid0(VALU_DEP_4) | instskip(NEXT) | instid1(VALU_DEP_4)
	v_mul_f64 v[5:6], v[5:6], s[4:5]
	v_mul_f64 v[7:8], v[7:8], s[4:5]
	s_clause 0x1
	global_store_b128 v17, v[1:4], s[12:13]
	global_store_b128 v17, v[5:8], s[12:13] offset:16
.LBB145_2:
	s_and_not1_b32 vcc_lo, exec_lo, s0
	s_cbranch_vccnz .LBB145_21
; %bb.3:
	v_mov_b32_e32 v11, 0
	v_dual_mov_b32 v12, 0 :: v_dual_mov_b32 v1, v0
	v_cmp_gt_i32_e32 vcc_lo, s1, v0
	v_or_b32_e32 v9, s2, v0
	v_or_b32_e32 v27, 0x100, v0
	s_delay_alu instid0(VALU_DEP_4)
	v_dual_mov_b32 v14, v12 :: v_dual_mov_b32 v13, v11
	v_dual_mov_b32 v16, v12 :: v_dual_mov_b32 v15, v11
	s_and_saveexec_b32 s3, vcc_lo
	s_cbranch_execz .LBB145_5
; %bb.4:
	global_load_u8 v3, v9, s[10:11]
	v_mov_b32_e32 v10, 0
	s_delay_alu instid0(VALU_DEP_1) | instskip(NEXT) | instid1(VALU_DEP_1)
	v_lshlrev_b64 v[1:2], 3, v[9:10]
	v_add_co_u32 v1, s0, s8, v1
	s_delay_alu instid0(VALU_DEP_1)
	v_add_co_ci_u32_e64 v2, s0, s9, v2, s0
	global_load_b64 v[13:14], v[1:2], off
	v_or_b32_e32 v1, 0x100, v0
	s_waitcnt vmcnt(1)
	v_cvt_f64_u32_e32 v[15:16], v3
.LBB145_5:
	s_or_b32 exec_lo, exec_lo, s3
	v_dual_mov_b32 v20, v12 :: v_dual_mov_b32 v19, v11
	s_mov_b32 s3, exec_lo
	v_cmpx_gt_i32_e64 s1, v1
	s_cbranch_execz .LBB145_7
; %bb.6:
	v_dual_mov_b32 v3, 0 :: v_dual_add_nc_u32 v2, s2, v1
	v_add_nc_u32_e32 v1, 0x100, v1
	global_load_u8 v4, v2, s[10:11]
	v_lshlrev_b64 v[2:3], 3, v[2:3]
	s_delay_alu instid0(VALU_DEP_1) | instskip(NEXT) | instid1(VALU_DEP_1)
	v_add_co_u32 v2, s0, s8, v2
	v_add_co_ci_u32_e64 v3, s0, s9, v3, s0
	global_load_b64 v[11:12], v[2:3], off
	s_waitcnt vmcnt(1)
	v_cvt_f64_u32_e32 v[19:20], v4
.LBB145_7:
	s_or_b32 exec_lo, exec_lo, s3
	v_mov_b32_e32 v17, 0
	v_mov_b32_e32 v18, 0
	s_mov_b32 s3, exec_lo
	s_delay_alu instid0(VALU_DEP_1)
	v_dual_mov_b32 v22, v18 :: v_dual_mov_b32 v21, v17
	v_dual_mov_b32 v24, v18 :: v_dual_mov_b32 v23, v17
	v_cmpx_gt_i32_e64 s1, v1
	s_cbranch_execz .LBB145_9
; %bb.8:
	v_dual_mov_b32 v3, 0 :: v_dual_add_nc_u32 v2, s2, v1
	v_add_nc_u32_e32 v1, 0x100, v1
	global_load_u8 v4, v2, s[10:11]
	v_lshlrev_b64 v[2:3], 3, v[2:3]
	s_delay_alu instid0(VALU_DEP_1) | instskip(NEXT) | instid1(VALU_DEP_1)
	v_add_co_u32 v2, s0, s8, v2
	v_add_co_ci_u32_e64 v3, s0, s9, v3, s0
	global_load_b64 v[21:22], v[2:3], off
	s_waitcnt vmcnt(1)
	v_cvt_f64_u32_e32 v[23:24], v4
.LBB145_9:
	s_or_b32 exec_lo, exec_lo, s3
	v_dual_mov_b32 v26, v18 :: v_dual_mov_b32 v25, v17
	s_mov_b32 s3, exec_lo
	v_cmpx_gt_i32_e64 s1, v1
	s_cbranch_execnz .LBB145_22
; %bb.10:
	s_or_b32 exec_lo, exec_lo, s3
                                        ; implicit-def: $vgpr1_vgpr2_vgpr3_vgpr4_vgpr5_vgpr6_vgpr7_vgpr8
	s_and_saveexec_b32 s0, vcc_lo
	s_cbranch_execnz .LBB145_23
.LBB145_11:
	s_or_b32 exec_lo, exec_lo, s0
	s_delay_alu instid0(SALU_CYCLE_1)
	s_mov_b32 s3, exec_lo
	v_cmpx_gt_i32_e64 s1, v27
	s_cbranch_execz .LBB145_13
.LBB145_12:
	s_waitcnt vmcnt(0)
	v_mul_f64 v[3:4], v[11:12], v[19:20]
	s_delay_alu instid0(VALU_DEP_1)
	v_mul_f64 v[3:4], v[3:4], s[4:5]
.LBB145_13:
	s_or_b32 exec_lo, exec_lo, s3
	v_or_b32_e32 v10, 0x200, v0
	s_mov_b32 s3, exec_lo
	s_delay_alu instid0(VALU_DEP_1)
	v_cmpx_gt_i32_e64 s1, v10
	s_cbranch_execz .LBB145_15
; %bb.14:
	s_waitcnt vmcnt(0)
	v_mul_f64 v[5:6], v[21:22], v[23:24]
	s_delay_alu instid0(VALU_DEP_1)
	v_mul_f64 v[5:6], v[5:6], s[4:5]
.LBB145_15:
	s_or_b32 exec_lo, exec_lo, s3
	v_or_b32_e32 v10, 0x300, v0
	s_mov_b32 s3, exec_lo
	s_delay_alu instid0(VALU_DEP_1)
	v_cmpx_gt_i32_e64 s1, v10
	s_cbranch_execnz .LBB145_24
; %bb.16:
	s_or_b32 exec_lo, exec_lo, s3
	s_and_saveexec_b32 s0, vcc_lo
	s_delay_alu instid0(SALU_CYCLE_1)
	s_xor_b32 s0, exec_lo, s0
	s_cbranch_execnz .LBB145_25
.LBB145_17:
	s_or_b32 exec_lo, exec_lo, s0
	s_delay_alu instid0(SALU_CYCLE_1)
	s_mov_b32 s0, exec_lo
	v_cmpx_gt_i32_e64 s1, v0
	s_cbranch_execnz .LBB145_26
.LBB145_18:
	s_or_b32 exec_lo, exec_lo, s0
	s_delay_alu instid0(SALU_CYCLE_1)
	s_mov_b32 s0, exec_lo
	v_cmpx_gt_i32_e64 s1, v0
	s_cbranch_execnz .LBB145_27
.LBB145_19:
	s_or_b32 exec_lo, exec_lo, s0
	s_delay_alu instid0(SALU_CYCLE_1)
	s_mov_b32 s0, exec_lo
	v_cmpx_gt_i32_e64 s1, v0
	s_cbranch_execz .LBB145_21
.LBB145_20:
	v_dual_mov_b32 v1, 0 :: v_dual_add_nc_u32 v0, s2, v0
	s_delay_alu instid0(VALU_DEP_1) | instskip(NEXT) | instid1(VALU_DEP_1)
	v_lshlrev_b64 v[0:1], 3, v[0:1]
	v_add_co_u32 v0, vcc_lo, s6, v0
	s_delay_alu instid0(VALU_DEP_2)
	v_add_co_ci_u32_e32 v1, vcc_lo, s7, v1, vcc_lo
	global_store_b64 v[0:1], v[7:8], off
.LBB145_21:
	s_nop 0
	s_sendmsg sendmsg(MSG_DEALLOC_VGPRS)
	s_endpgm
.LBB145_22:
	v_dual_mov_b32 v2, 0 :: v_dual_add_nc_u32 v1, s2, v1
	global_load_u8 v3, v1, s[10:11]
	v_lshlrev_b64 v[1:2], 3, v[1:2]
	s_delay_alu instid0(VALU_DEP_1) | instskip(NEXT) | instid1(VALU_DEP_1)
	v_add_co_u32 v1, s0, s8, v1
	v_add_co_ci_u32_e64 v2, s0, s9, v2, s0
	global_load_b64 v[25:26], v[1:2], off
	s_waitcnt vmcnt(1)
	v_cvt_f64_u32_e32 v[17:18], v3
	s_or_b32 exec_lo, exec_lo, s3
                                        ; implicit-def: $vgpr1_vgpr2_vgpr3_vgpr4_vgpr5_vgpr6_vgpr7_vgpr8
	s_and_saveexec_b32 s0, vcc_lo
	s_cbranch_execz .LBB145_11
.LBB145_23:
	s_waitcnt vmcnt(0)
	v_mul_f64 v[1:2], v[13:14], v[15:16]
	s_delay_alu instid0(VALU_DEP_1) | instskip(SKIP_1) | instid1(SALU_CYCLE_1)
	v_mul_f64 v[1:2], v[1:2], s[4:5]
	s_or_b32 exec_lo, exec_lo, s0
	s_mov_b32 s3, exec_lo
	v_cmpx_gt_i32_e64 s1, v27
	s_cbranch_execnz .LBB145_12
	s_branch .LBB145_13
.LBB145_24:
	s_waitcnt vmcnt(0)
	v_mul_f64 v[7:8], v[17:18], v[25:26]
	s_delay_alu instid0(VALU_DEP_1) | instskip(SKIP_2) | instid1(SALU_CYCLE_1)
	v_mul_f64 v[7:8], v[7:8], s[4:5]
	s_or_b32 exec_lo, exec_lo, s3
	s_and_saveexec_b32 s0, vcc_lo
	s_xor_b32 s0, exec_lo, s0
	s_cbranch_execz .LBB145_17
.LBB145_25:
	v_mov_b32_e32 v10, 0
	v_mov_b32_e32 v0, v27
	s_delay_alu instid0(VALU_DEP_2) | instskip(NEXT) | instid1(VALU_DEP_1)
	v_lshlrev_b64 v[9:10], 3, v[9:10]
	v_add_co_u32 v9, vcc_lo, s6, v9
	s_delay_alu instid0(VALU_DEP_2) | instskip(SKIP_2) | instid1(SALU_CYCLE_1)
	v_add_co_ci_u32_e32 v10, vcc_lo, s7, v10, vcc_lo
	global_store_b64 v[9:10], v[1:2], off
	s_or_b32 exec_lo, exec_lo, s0
	s_mov_b32 s0, exec_lo
	v_cmpx_gt_i32_e64 s1, v0
	s_cbranch_execz .LBB145_18
.LBB145_26:
	v_dual_mov_b32 v2, 0 :: v_dual_add_nc_u32 v1, s2, v0
	v_add_nc_u32_e32 v0, 0x100, v0
	s_delay_alu instid0(VALU_DEP_2) | instskip(NEXT) | instid1(VALU_DEP_1)
	v_lshlrev_b64 v[1:2], 3, v[1:2]
	v_add_co_u32 v1, vcc_lo, s6, v1
	s_delay_alu instid0(VALU_DEP_2) | instskip(SKIP_2) | instid1(SALU_CYCLE_1)
	v_add_co_ci_u32_e32 v2, vcc_lo, s7, v2, vcc_lo
	global_store_b64 v[1:2], v[3:4], off
	s_or_b32 exec_lo, exec_lo, s0
	s_mov_b32 s0, exec_lo
	v_cmpx_gt_i32_e64 s1, v0
	s_cbranch_execz .LBB145_19
.LBB145_27:
	v_dual_mov_b32 v2, 0 :: v_dual_add_nc_u32 v1, s2, v0
	v_add_nc_u32_e32 v0, 0x100, v0
	s_delay_alu instid0(VALU_DEP_2) | instskip(NEXT) | instid1(VALU_DEP_1)
	v_lshlrev_b64 v[1:2], 3, v[1:2]
	v_add_co_u32 v1, vcc_lo, s6, v1
	s_delay_alu instid0(VALU_DEP_2) | instskip(SKIP_2) | instid1(SALU_CYCLE_1)
	v_add_co_ci_u32_e32 v2, vcc_lo, s7, v2, vcc_lo
	global_store_b64 v[1:2], v[5:6], off
	s_or_b32 exec_lo, exec_lo, s0
	s_mov_b32 s0, exec_lo
	v_cmpx_gt_i32_e64 s1, v0
	s_cbranch_execnz .LBB145_20
	s_branch .LBB145_21
	.section	.rodata,"a",@progbits
	.p2align	6, 0x0
	.amdhsa_kernel _ZN2at6native29vectorized_elementwise_kernelILi8EZNS0_12_GLOBAL__N_119masked_scale_kernelIhddEEvRNS_6TensorERKS4_S7_T1_EUldhE_St5arrayIPcLm3EEEEviT0_S8_
		.amdhsa_group_segment_fixed_size 0
		.amdhsa_private_segment_fixed_size 0
		.amdhsa_kernarg_size 40
		.amdhsa_user_sgpr_count 15
		.amdhsa_user_sgpr_dispatch_ptr 0
		.amdhsa_user_sgpr_queue_ptr 0
		.amdhsa_user_sgpr_kernarg_segment_ptr 1
		.amdhsa_user_sgpr_dispatch_id 0
		.amdhsa_user_sgpr_private_segment_size 0
		.amdhsa_wavefront_size32 1
		.amdhsa_uses_dynamic_stack 0
		.amdhsa_enable_private_segment 0
		.amdhsa_system_sgpr_workgroup_id_x 1
		.amdhsa_system_sgpr_workgroup_id_y 0
		.amdhsa_system_sgpr_workgroup_id_z 0
		.amdhsa_system_sgpr_workgroup_info 0
		.amdhsa_system_vgpr_workitem_id 0
		.amdhsa_next_free_vgpr 28
		.amdhsa_next_free_sgpr 18
		.amdhsa_reserve_vcc 1
		.amdhsa_float_round_mode_32 0
		.amdhsa_float_round_mode_16_64 0
		.amdhsa_float_denorm_mode_32 3
		.amdhsa_float_denorm_mode_16_64 3
		.amdhsa_dx10_clamp 1
		.amdhsa_ieee_mode 1
		.amdhsa_fp16_overflow 0
		.amdhsa_workgroup_processor_mode 1
		.amdhsa_memory_ordered 1
		.amdhsa_forward_progress 0
		.amdhsa_shared_vgpr_count 0
		.amdhsa_exception_fp_ieee_invalid_op 0
		.amdhsa_exception_fp_denorm_src 0
		.amdhsa_exception_fp_ieee_div_zero 0
		.amdhsa_exception_fp_ieee_overflow 0
		.amdhsa_exception_fp_ieee_underflow 0
		.amdhsa_exception_fp_ieee_inexact 0
		.amdhsa_exception_int_div_zero 0
	.end_amdhsa_kernel
	.section	.text._ZN2at6native29vectorized_elementwise_kernelILi8EZNS0_12_GLOBAL__N_119masked_scale_kernelIhddEEvRNS_6TensorERKS4_S7_T1_EUldhE_St5arrayIPcLm3EEEEviT0_S8_,"axG",@progbits,_ZN2at6native29vectorized_elementwise_kernelILi8EZNS0_12_GLOBAL__N_119masked_scale_kernelIhddEEvRNS_6TensorERKS4_S7_T1_EUldhE_St5arrayIPcLm3EEEEviT0_S8_,comdat
.Lfunc_end145:
	.size	_ZN2at6native29vectorized_elementwise_kernelILi8EZNS0_12_GLOBAL__N_119masked_scale_kernelIhddEEvRNS_6TensorERKS4_S7_T1_EUldhE_St5arrayIPcLm3EEEEviT0_S8_, .Lfunc_end145-_ZN2at6native29vectorized_elementwise_kernelILi8EZNS0_12_GLOBAL__N_119masked_scale_kernelIhddEEvRNS_6TensorERKS4_S7_T1_EUldhE_St5arrayIPcLm3EEEEviT0_S8_
                                        ; -- End function
	.section	.AMDGPU.csdata,"",@progbits
; Kernel info:
; codeLenInByte = 1324
; NumSgprs: 20
; NumVgprs: 28
; ScratchSize: 0
; MemoryBound: 0
; FloatMode: 240
; IeeeMode: 1
; LDSByteSize: 0 bytes/workgroup (compile time only)
; SGPRBlocks: 2
; VGPRBlocks: 3
; NumSGPRsForWavesPerEU: 20
; NumVGPRsForWavesPerEU: 28
; Occupancy: 16
; WaveLimiterHint : 0
; COMPUTE_PGM_RSRC2:SCRATCH_EN: 0
; COMPUTE_PGM_RSRC2:USER_SGPR: 15
; COMPUTE_PGM_RSRC2:TRAP_HANDLER: 0
; COMPUTE_PGM_RSRC2:TGID_X_EN: 1
; COMPUTE_PGM_RSRC2:TGID_Y_EN: 0
; COMPUTE_PGM_RSRC2:TGID_Z_EN: 0
; COMPUTE_PGM_RSRC2:TIDIG_COMP_CNT: 0
	.section	.text._ZN2at6native29vectorized_elementwise_kernelILi4EZNS0_12_GLOBAL__N_119masked_scale_kernelIhddEEvRNS_6TensorERKS4_S7_T1_EUldhE_St5arrayIPcLm3EEEEviT0_S8_,"axG",@progbits,_ZN2at6native29vectorized_elementwise_kernelILi4EZNS0_12_GLOBAL__N_119masked_scale_kernelIhddEEvRNS_6TensorERKS4_S7_T1_EUldhE_St5arrayIPcLm3EEEEviT0_S8_,comdat
	.globl	_ZN2at6native29vectorized_elementwise_kernelILi4EZNS0_12_GLOBAL__N_119masked_scale_kernelIhddEEvRNS_6TensorERKS4_S7_T1_EUldhE_St5arrayIPcLm3EEEEviT0_S8_ ; -- Begin function _ZN2at6native29vectorized_elementwise_kernelILi4EZNS0_12_GLOBAL__N_119masked_scale_kernelIhddEEvRNS_6TensorERKS4_S7_T1_EUldhE_St5arrayIPcLm3EEEEviT0_S8_
	.p2align	8
	.type	_ZN2at6native29vectorized_elementwise_kernelILi4EZNS0_12_GLOBAL__N_119masked_scale_kernelIhddEEvRNS_6TensorERKS4_S7_T1_EUldhE_St5arrayIPcLm3EEEEviT0_S8_,@function
_ZN2at6native29vectorized_elementwise_kernelILi4EZNS0_12_GLOBAL__N_119masked_scale_kernelIhddEEvRNS_6TensorERKS4_S7_T1_EUldhE_St5arrayIPcLm3EEEEviT0_S8_: ; @_ZN2at6native29vectorized_elementwise_kernelILi4EZNS0_12_GLOBAL__N_119masked_scale_kernelIhddEEvRNS_6TensorERKS4_S7_T1_EUldhE_St5arrayIPcLm3EEEEviT0_S8_
; %bb.0:
	s_clause 0x1
	s_load_b32 s3, s[0:1], 0x0
	s_load_b256 s[4:11], s[0:1], 0x8
	s_lshl_b32 s2, s15, 10
	s_mov_b32 s0, -1
	s_waitcnt lgkmcnt(0)
	s_sub_i32 s1, s3, s2
	s_delay_alu instid0(SALU_CYCLE_1)
	s_cmpk_gt_i32 s1, 0x3ff
	s_cbranch_scc0 .LBB146_2
; %bb.1:
	s_ashr_i32 s3, s2, 31
	v_lshlrev_b32_e32 v1, 2, v0
	s_lshl_b64 s[12:13], s[2:3], 3
	v_lshlrev_b32_e32 v17, 5, v0
	s_add_u32 s14, s8, s12
	s_addc_u32 s15, s9, s13
	s_add_u32 s16, s10, s2
	s_addc_u32 s17, s11, s3
	s_add_u32 s12, s6, s12
	global_load_b32 v9, v1, s[16:17]
	s_clause 0x1
	global_load_b128 v[1:4], v17, s[14:15]
	global_load_b128 v[5:8], v17, s[14:15] offset:16
	s_addc_u32 s13, s7, s13
	s_mov_b32 s0, 0
	s_waitcnt vmcnt(2)
	v_and_b32_e32 v10, 0xff, v9
	v_bfe_u32 v11, v9, 8, 8
	v_bfe_u32 v13, v9, 16, 8
	v_lshrrev_b32_e32 v15, 24, v9
	s_delay_alu instid0(VALU_DEP_4) | instskip(NEXT) | instid1(VALU_DEP_4)
	v_cvt_f64_u32_e32 v[9:10], v10
	v_cvt_f64_u32_e32 v[11:12], v11
	s_delay_alu instid0(VALU_DEP_4) | instskip(NEXT) | instid1(VALU_DEP_4)
	v_cvt_f64_u32_e32 v[13:14], v13
	v_cvt_f64_u32_e32 v[15:16], v15
	s_waitcnt vmcnt(1)
	s_delay_alu instid0(VALU_DEP_4) | instskip(NEXT) | instid1(VALU_DEP_4)
	v_mul_f64 v[1:2], v[1:2], v[9:10]
	v_mul_f64 v[3:4], v[3:4], v[11:12]
	s_waitcnt vmcnt(0)
	s_delay_alu instid0(VALU_DEP_4) | instskip(NEXT) | instid1(VALU_DEP_4)
	v_mul_f64 v[5:6], v[5:6], v[13:14]
	v_mul_f64 v[7:8], v[7:8], v[15:16]
	s_delay_alu instid0(VALU_DEP_4) | instskip(NEXT) | instid1(VALU_DEP_4)
	v_mul_f64 v[1:2], v[1:2], s[4:5]
	v_mul_f64 v[3:4], v[3:4], s[4:5]
	;; [unrolled: 3-line block ×3, first 2 shown]
	s_clause 0x1
	global_store_b128 v17, v[1:4], s[12:13]
	global_store_b128 v17, v[5:8], s[12:13] offset:16
.LBB146_2:
	s_and_not1_b32 vcc_lo, exec_lo, s0
	s_cbranch_vccnz .LBB146_21
; %bb.3:
	v_mov_b32_e32 v11, 0
	v_dual_mov_b32 v12, 0 :: v_dual_mov_b32 v1, v0
	v_cmp_gt_i32_e32 vcc_lo, s1, v0
	v_or_b32_e32 v9, s2, v0
	v_or_b32_e32 v27, 0x100, v0
	s_delay_alu instid0(VALU_DEP_4)
	v_dual_mov_b32 v14, v12 :: v_dual_mov_b32 v13, v11
	v_dual_mov_b32 v16, v12 :: v_dual_mov_b32 v15, v11
	s_and_saveexec_b32 s3, vcc_lo
	s_cbranch_execz .LBB146_5
; %bb.4:
	global_load_u8 v3, v9, s[10:11]
	v_mov_b32_e32 v10, 0
	s_delay_alu instid0(VALU_DEP_1) | instskip(NEXT) | instid1(VALU_DEP_1)
	v_lshlrev_b64 v[1:2], 3, v[9:10]
	v_add_co_u32 v1, s0, s8, v1
	s_delay_alu instid0(VALU_DEP_1)
	v_add_co_ci_u32_e64 v2, s0, s9, v2, s0
	global_load_b64 v[13:14], v[1:2], off
	v_or_b32_e32 v1, 0x100, v0
	s_waitcnt vmcnt(1)
	v_cvt_f64_u32_e32 v[15:16], v3
.LBB146_5:
	s_or_b32 exec_lo, exec_lo, s3
	v_dual_mov_b32 v20, v12 :: v_dual_mov_b32 v19, v11
	s_mov_b32 s3, exec_lo
	v_cmpx_gt_i32_e64 s1, v1
	s_cbranch_execz .LBB146_7
; %bb.6:
	v_dual_mov_b32 v3, 0 :: v_dual_add_nc_u32 v2, s2, v1
	v_add_nc_u32_e32 v1, 0x100, v1
	global_load_u8 v4, v2, s[10:11]
	v_lshlrev_b64 v[2:3], 3, v[2:3]
	s_delay_alu instid0(VALU_DEP_1) | instskip(NEXT) | instid1(VALU_DEP_1)
	v_add_co_u32 v2, s0, s8, v2
	v_add_co_ci_u32_e64 v3, s0, s9, v3, s0
	global_load_b64 v[11:12], v[2:3], off
	s_waitcnt vmcnt(1)
	v_cvt_f64_u32_e32 v[19:20], v4
.LBB146_7:
	s_or_b32 exec_lo, exec_lo, s3
	v_mov_b32_e32 v17, 0
	v_mov_b32_e32 v18, 0
	s_mov_b32 s3, exec_lo
	s_delay_alu instid0(VALU_DEP_1)
	v_dual_mov_b32 v22, v18 :: v_dual_mov_b32 v21, v17
	v_dual_mov_b32 v24, v18 :: v_dual_mov_b32 v23, v17
	v_cmpx_gt_i32_e64 s1, v1
	s_cbranch_execz .LBB146_9
; %bb.8:
	v_dual_mov_b32 v3, 0 :: v_dual_add_nc_u32 v2, s2, v1
	v_add_nc_u32_e32 v1, 0x100, v1
	global_load_u8 v4, v2, s[10:11]
	v_lshlrev_b64 v[2:3], 3, v[2:3]
	s_delay_alu instid0(VALU_DEP_1) | instskip(NEXT) | instid1(VALU_DEP_1)
	v_add_co_u32 v2, s0, s8, v2
	v_add_co_ci_u32_e64 v3, s0, s9, v3, s0
	global_load_b64 v[21:22], v[2:3], off
	s_waitcnt vmcnt(1)
	v_cvt_f64_u32_e32 v[23:24], v4
.LBB146_9:
	s_or_b32 exec_lo, exec_lo, s3
	v_dual_mov_b32 v26, v18 :: v_dual_mov_b32 v25, v17
	s_mov_b32 s3, exec_lo
	v_cmpx_gt_i32_e64 s1, v1
	s_cbranch_execnz .LBB146_22
; %bb.10:
	s_or_b32 exec_lo, exec_lo, s3
                                        ; implicit-def: $vgpr1_vgpr2_vgpr3_vgpr4_vgpr5_vgpr6_vgpr7_vgpr8
	s_and_saveexec_b32 s0, vcc_lo
	s_cbranch_execnz .LBB146_23
.LBB146_11:
	s_or_b32 exec_lo, exec_lo, s0
	s_delay_alu instid0(SALU_CYCLE_1)
	s_mov_b32 s3, exec_lo
	v_cmpx_gt_i32_e64 s1, v27
	s_cbranch_execz .LBB146_13
.LBB146_12:
	s_waitcnt vmcnt(0)
	v_mul_f64 v[3:4], v[11:12], v[19:20]
	s_delay_alu instid0(VALU_DEP_1)
	v_mul_f64 v[3:4], v[3:4], s[4:5]
.LBB146_13:
	s_or_b32 exec_lo, exec_lo, s3
	v_or_b32_e32 v10, 0x200, v0
	s_mov_b32 s3, exec_lo
	s_delay_alu instid0(VALU_DEP_1)
	v_cmpx_gt_i32_e64 s1, v10
	s_cbranch_execz .LBB146_15
; %bb.14:
	s_waitcnt vmcnt(0)
	v_mul_f64 v[5:6], v[21:22], v[23:24]
	s_delay_alu instid0(VALU_DEP_1)
	v_mul_f64 v[5:6], v[5:6], s[4:5]
.LBB146_15:
	s_or_b32 exec_lo, exec_lo, s3
	v_or_b32_e32 v10, 0x300, v0
	s_mov_b32 s3, exec_lo
	s_delay_alu instid0(VALU_DEP_1)
	v_cmpx_gt_i32_e64 s1, v10
	s_cbranch_execnz .LBB146_24
; %bb.16:
	s_or_b32 exec_lo, exec_lo, s3
	s_and_saveexec_b32 s0, vcc_lo
	s_delay_alu instid0(SALU_CYCLE_1)
	s_xor_b32 s0, exec_lo, s0
	s_cbranch_execnz .LBB146_25
.LBB146_17:
	s_or_b32 exec_lo, exec_lo, s0
	s_delay_alu instid0(SALU_CYCLE_1)
	s_mov_b32 s0, exec_lo
	v_cmpx_gt_i32_e64 s1, v0
	s_cbranch_execnz .LBB146_26
.LBB146_18:
	s_or_b32 exec_lo, exec_lo, s0
	s_delay_alu instid0(SALU_CYCLE_1)
	s_mov_b32 s0, exec_lo
	v_cmpx_gt_i32_e64 s1, v0
	s_cbranch_execnz .LBB146_27
.LBB146_19:
	s_or_b32 exec_lo, exec_lo, s0
	s_delay_alu instid0(SALU_CYCLE_1)
	s_mov_b32 s0, exec_lo
	v_cmpx_gt_i32_e64 s1, v0
	s_cbranch_execz .LBB146_21
.LBB146_20:
	v_dual_mov_b32 v1, 0 :: v_dual_add_nc_u32 v0, s2, v0
	s_delay_alu instid0(VALU_DEP_1) | instskip(NEXT) | instid1(VALU_DEP_1)
	v_lshlrev_b64 v[0:1], 3, v[0:1]
	v_add_co_u32 v0, vcc_lo, s6, v0
	s_delay_alu instid0(VALU_DEP_2)
	v_add_co_ci_u32_e32 v1, vcc_lo, s7, v1, vcc_lo
	global_store_b64 v[0:1], v[7:8], off
.LBB146_21:
	s_nop 0
	s_sendmsg sendmsg(MSG_DEALLOC_VGPRS)
	s_endpgm
.LBB146_22:
	v_dual_mov_b32 v2, 0 :: v_dual_add_nc_u32 v1, s2, v1
	global_load_u8 v3, v1, s[10:11]
	v_lshlrev_b64 v[1:2], 3, v[1:2]
	s_delay_alu instid0(VALU_DEP_1) | instskip(NEXT) | instid1(VALU_DEP_1)
	v_add_co_u32 v1, s0, s8, v1
	v_add_co_ci_u32_e64 v2, s0, s9, v2, s0
	global_load_b64 v[25:26], v[1:2], off
	s_waitcnt vmcnt(1)
	v_cvt_f64_u32_e32 v[17:18], v3
	s_or_b32 exec_lo, exec_lo, s3
                                        ; implicit-def: $vgpr1_vgpr2_vgpr3_vgpr4_vgpr5_vgpr6_vgpr7_vgpr8
	s_and_saveexec_b32 s0, vcc_lo
	s_cbranch_execz .LBB146_11
.LBB146_23:
	s_waitcnt vmcnt(0)
	v_mul_f64 v[1:2], v[13:14], v[15:16]
	s_delay_alu instid0(VALU_DEP_1) | instskip(SKIP_1) | instid1(SALU_CYCLE_1)
	v_mul_f64 v[1:2], v[1:2], s[4:5]
	s_or_b32 exec_lo, exec_lo, s0
	s_mov_b32 s3, exec_lo
	v_cmpx_gt_i32_e64 s1, v27
	s_cbranch_execnz .LBB146_12
	s_branch .LBB146_13
.LBB146_24:
	s_waitcnt vmcnt(0)
	v_mul_f64 v[7:8], v[17:18], v[25:26]
	s_delay_alu instid0(VALU_DEP_1) | instskip(SKIP_2) | instid1(SALU_CYCLE_1)
	v_mul_f64 v[7:8], v[7:8], s[4:5]
	s_or_b32 exec_lo, exec_lo, s3
	s_and_saveexec_b32 s0, vcc_lo
	s_xor_b32 s0, exec_lo, s0
	s_cbranch_execz .LBB146_17
.LBB146_25:
	v_mov_b32_e32 v10, 0
	v_mov_b32_e32 v0, v27
	s_delay_alu instid0(VALU_DEP_2) | instskip(NEXT) | instid1(VALU_DEP_1)
	v_lshlrev_b64 v[9:10], 3, v[9:10]
	v_add_co_u32 v9, vcc_lo, s6, v9
	s_delay_alu instid0(VALU_DEP_2) | instskip(SKIP_2) | instid1(SALU_CYCLE_1)
	v_add_co_ci_u32_e32 v10, vcc_lo, s7, v10, vcc_lo
	global_store_b64 v[9:10], v[1:2], off
	s_or_b32 exec_lo, exec_lo, s0
	s_mov_b32 s0, exec_lo
	v_cmpx_gt_i32_e64 s1, v0
	s_cbranch_execz .LBB146_18
.LBB146_26:
	v_dual_mov_b32 v2, 0 :: v_dual_add_nc_u32 v1, s2, v0
	v_add_nc_u32_e32 v0, 0x100, v0
	s_delay_alu instid0(VALU_DEP_2) | instskip(NEXT) | instid1(VALU_DEP_1)
	v_lshlrev_b64 v[1:2], 3, v[1:2]
	v_add_co_u32 v1, vcc_lo, s6, v1
	s_delay_alu instid0(VALU_DEP_2) | instskip(SKIP_2) | instid1(SALU_CYCLE_1)
	v_add_co_ci_u32_e32 v2, vcc_lo, s7, v2, vcc_lo
	global_store_b64 v[1:2], v[3:4], off
	s_or_b32 exec_lo, exec_lo, s0
	s_mov_b32 s0, exec_lo
	v_cmpx_gt_i32_e64 s1, v0
	s_cbranch_execz .LBB146_19
.LBB146_27:
	v_dual_mov_b32 v2, 0 :: v_dual_add_nc_u32 v1, s2, v0
	v_add_nc_u32_e32 v0, 0x100, v0
	s_delay_alu instid0(VALU_DEP_2) | instskip(NEXT) | instid1(VALU_DEP_1)
	v_lshlrev_b64 v[1:2], 3, v[1:2]
	v_add_co_u32 v1, vcc_lo, s6, v1
	s_delay_alu instid0(VALU_DEP_2) | instskip(SKIP_2) | instid1(SALU_CYCLE_1)
	v_add_co_ci_u32_e32 v2, vcc_lo, s7, v2, vcc_lo
	global_store_b64 v[1:2], v[5:6], off
	s_or_b32 exec_lo, exec_lo, s0
	s_mov_b32 s0, exec_lo
	v_cmpx_gt_i32_e64 s1, v0
	s_cbranch_execnz .LBB146_20
	s_branch .LBB146_21
	.section	.rodata,"a",@progbits
	.p2align	6, 0x0
	.amdhsa_kernel _ZN2at6native29vectorized_elementwise_kernelILi4EZNS0_12_GLOBAL__N_119masked_scale_kernelIhddEEvRNS_6TensorERKS4_S7_T1_EUldhE_St5arrayIPcLm3EEEEviT0_S8_
		.amdhsa_group_segment_fixed_size 0
		.amdhsa_private_segment_fixed_size 0
		.amdhsa_kernarg_size 40
		.amdhsa_user_sgpr_count 15
		.amdhsa_user_sgpr_dispatch_ptr 0
		.amdhsa_user_sgpr_queue_ptr 0
		.amdhsa_user_sgpr_kernarg_segment_ptr 1
		.amdhsa_user_sgpr_dispatch_id 0
		.amdhsa_user_sgpr_private_segment_size 0
		.amdhsa_wavefront_size32 1
		.amdhsa_uses_dynamic_stack 0
		.amdhsa_enable_private_segment 0
		.amdhsa_system_sgpr_workgroup_id_x 1
		.amdhsa_system_sgpr_workgroup_id_y 0
		.amdhsa_system_sgpr_workgroup_id_z 0
		.amdhsa_system_sgpr_workgroup_info 0
		.amdhsa_system_vgpr_workitem_id 0
		.amdhsa_next_free_vgpr 28
		.amdhsa_next_free_sgpr 18
		.amdhsa_reserve_vcc 1
		.amdhsa_float_round_mode_32 0
		.amdhsa_float_round_mode_16_64 0
		.amdhsa_float_denorm_mode_32 3
		.amdhsa_float_denorm_mode_16_64 3
		.amdhsa_dx10_clamp 1
		.amdhsa_ieee_mode 1
		.amdhsa_fp16_overflow 0
		.amdhsa_workgroup_processor_mode 1
		.amdhsa_memory_ordered 1
		.amdhsa_forward_progress 0
		.amdhsa_shared_vgpr_count 0
		.amdhsa_exception_fp_ieee_invalid_op 0
		.amdhsa_exception_fp_denorm_src 0
		.amdhsa_exception_fp_ieee_div_zero 0
		.amdhsa_exception_fp_ieee_overflow 0
		.amdhsa_exception_fp_ieee_underflow 0
		.amdhsa_exception_fp_ieee_inexact 0
		.amdhsa_exception_int_div_zero 0
	.end_amdhsa_kernel
	.section	.text._ZN2at6native29vectorized_elementwise_kernelILi4EZNS0_12_GLOBAL__N_119masked_scale_kernelIhddEEvRNS_6TensorERKS4_S7_T1_EUldhE_St5arrayIPcLm3EEEEviT0_S8_,"axG",@progbits,_ZN2at6native29vectorized_elementwise_kernelILi4EZNS0_12_GLOBAL__N_119masked_scale_kernelIhddEEvRNS_6TensorERKS4_S7_T1_EUldhE_St5arrayIPcLm3EEEEviT0_S8_,comdat
.Lfunc_end146:
	.size	_ZN2at6native29vectorized_elementwise_kernelILi4EZNS0_12_GLOBAL__N_119masked_scale_kernelIhddEEvRNS_6TensorERKS4_S7_T1_EUldhE_St5arrayIPcLm3EEEEviT0_S8_, .Lfunc_end146-_ZN2at6native29vectorized_elementwise_kernelILi4EZNS0_12_GLOBAL__N_119masked_scale_kernelIhddEEvRNS_6TensorERKS4_S7_T1_EUldhE_St5arrayIPcLm3EEEEviT0_S8_
                                        ; -- End function
	.section	.AMDGPU.csdata,"",@progbits
; Kernel info:
; codeLenInByte = 1324
; NumSgprs: 20
; NumVgprs: 28
; ScratchSize: 0
; MemoryBound: 0
; FloatMode: 240
; IeeeMode: 1
; LDSByteSize: 0 bytes/workgroup (compile time only)
; SGPRBlocks: 2
; VGPRBlocks: 3
; NumSGPRsForWavesPerEU: 20
; NumVGPRsForWavesPerEU: 28
; Occupancy: 16
; WaveLimiterHint : 0
; COMPUTE_PGM_RSRC2:SCRATCH_EN: 0
; COMPUTE_PGM_RSRC2:USER_SGPR: 15
; COMPUTE_PGM_RSRC2:TRAP_HANDLER: 0
; COMPUTE_PGM_RSRC2:TGID_X_EN: 1
; COMPUTE_PGM_RSRC2:TGID_Y_EN: 0
; COMPUTE_PGM_RSRC2:TGID_Z_EN: 0
; COMPUTE_PGM_RSRC2:TIDIG_COMP_CNT: 0
	.section	.text._ZN2at6native29vectorized_elementwise_kernelILi2EZNS0_12_GLOBAL__N_119masked_scale_kernelIhddEEvRNS_6TensorERKS4_S7_T1_EUldhE_St5arrayIPcLm3EEEEviT0_S8_,"axG",@progbits,_ZN2at6native29vectorized_elementwise_kernelILi2EZNS0_12_GLOBAL__N_119masked_scale_kernelIhddEEvRNS_6TensorERKS4_S7_T1_EUldhE_St5arrayIPcLm3EEEEviT0_S8_,comdat
	.globl	_ZN2at6native29vectorized_elementwise_kernelILi2EZNS0_12_GLOBAL__N_119masked_scale_kernelIhddEEvRNS_6TensorERKS4_S7_T1_EUldhE_St5arrayIPcLm3EEEEviT0_S8_ ; -- Begin function _ZN2at6native29vectorized_elementwise_kernelILi2EZNS0_12_GLOBAL__N_119masked_scale_kernelIhddEEvRNS_6TensorERKS4_S7_T1_EUldhE_St5arrayIPcLm3EEEEviT0_S8_
	.p2align	8
	.type	_ZN2at6native29vectorized_elementwise_kernelILi2EZNS0_12_GLOBAL__N_119masked_scale_kernelIhddEEvRNS_6TensorERKS4_S7_T1_EUldhE_St5arrayIPcLm3EEEEviT0_S8_,@function
_ZN2at6native29vectorized_elementwise_kernelILi2EZNS0_12_GLOBAL__N_119masked_scale_kernelIhddEEvRNS_6TensorERKS4_S7_T1_EUldhE_St5arrayIPcLm3EEEEviT0_S8_: ; @_ZN2at6native29vectorized_elementwise_kernelILi2EZNS0_12_GLOBAL__N_119masked_scale_kernelIhddEEvRNS_6TensorERKS4_S7_T1_EUldhE_St5arrayIPcLm3EEEEviT0_S8_
; %bb.0:
	s_clause 0x1
	s_load_b32 s3, s[0:1], 0x0
	s_load_b256 s[4:11], s[0:1], 0x8
	s_lshl_b32 s2, s15, 10
	s_mov_b32 s0, -1
	s_waitcnt lgkmcnt(0)
	s_sub_i32 s1, s3, s2
	s_delay_alu instid0(SALU_CYCLE_1)
	s_cmpk_gt_i32 s1, 0x3ff
	s_cbranch_scc0 .LBB147_2
; %bb.1:
	s_ashr_i32 s3, s2, 31
	v_lshlrev_b32_e32 v1, 1, v0
	s_lshl_b64 s[12:13], s[2:3], 3
	v_lshlrev_b32_e32 v17, 4, v0
	s_add_u32 s14, s8, s12
	s_addc_u32 s15, s9, s13
	s_add_u32 s16, s10, s2
	s_addc_u32 s17, s11, s3
	s_add_u32 s12, s6, s12
	s_clause 0x1
	global_load_u16 v9, v1, s[16:17]
	global_load_u16 v10, v1, s[16:17] offset:512
	v_add_co_u32 v1, s0, s14, v17
	s_delay_alu instid0(VALU_DEP_1) | instskip(SKIP_1) | instid1(VALU_DEP_2)
	v_add_co_ci_u32_e64 v2, null, s15, 0, s0
	s_addc_u32 s13, s7, s13
	v_add_co_u32 v5, vcc_lo, 0x1000, v1
	s_delay_alu instid0(VALU_DEP_2)
	v_add_co_ci_u32_e32 v6, vcc_lo, 0, v2, vcc_lo
	s_clause 0x1
	global_load_b128 v[1:4], v17, s[14:15]
	global_load_b128 v[5:8], v[5:6], off
	s_waitcnt vmcnt(3)
	v_and_b32_e32 v11, 0xff, v9
	v_lshrrev_b16 v9, 8, v9
	s_waitcnt vmcnt(2)
	v_and_b32_e32 v12, 0xff, v10
	v_lshrrev_b16 v10, 8, v10
	v_and_b32_e32 v11, 0xffff, v11
	v_and_b32_e32 v13, 0xffff, v9
	s_delay_alu instid0(VALU_DEP_4) | instskip(NEXT) | instid1(VALU_DEP_4)
	v_and_b32_e32 v14, 0xffff, v12
	v_and_b32_e32 v15, 0xffff, v10
	s_delay_alu instid0(VALU_DEP_4) | instskip(NEXT) | instid1(VALU_DEP_4)
	v_cvt_f64_u32_e32 v[9:10], v11
	v_cvt_f64_u32_e32 v[11:12], v13
	s_delay_alu instid0(VALU_DEP_4) | instskip(NEXT) | instid1(VALU_DEP_4)
	v_cvt_f64_u32_e32 v[13:14], v14
	v_cvt_f64_u32_e32 v[15:16], v15
	s_waitcnt vmcnt(1)
	s_delay_alu instid0(VALU_DEP_4) | instskip(NEXT) | instid1(VALU_DEP_4)
	v_mul_f64 v[1:2], v[1:2], v[9:10]
	v_mul_f64 v[3:4], v[3:4], v[11:12]
	s_waitcnt vmcnt(0)
	s_delay_alu instid0(VALU_DEP_4) | instskip(NEXT) | instid1(VALU_DEP_4)
	v_mul_f64 v[5:6], v[5:6], v[13:14]
	v_mul_f64 v[7:8], v[7:8], v[15:16]
	v_add_co_u32 v9, s0, s12, v17
	s_delay_alu instid0(VALU_DEP_1) | instskip(SKIP_1) | instid1(VALU_DEP_2)
	v_add_co_ci_u32_e64 v10, null, s13, 0, s0
	s_mov_b32 s0, 0
	v_add_co_u32 v9, vcc_lo, 0x1000, v9
	s_delay_alu instid0(VALU_DEP_2)
	v_add_co_ci_u32_e32 v10, vcc_lo, 0, v10, vcc_lo
	v_mul_f64 v[1:2], v[1:2], s[4:5]
	v_mul_f64 v[3:4], v[3:4], s[4:5]
	;; [unrolled: 1-line block ×4, first 2 shown]
	s_clause 0x1
	global_store_b128 v17, v[1:4], s[12:13]
	global_store_b128 v[9:10], v[5:8], off
.LBB147_2:
	s_and_not1_b32 vcc_lo, exec_lo, s0
	s_cbranch_vccnz .LBB147_21
; %bb.3:
	v_mov_b32_e32 v11, 0
	v_dual_mov_b32 v12, 0 :: v_dual_mov_b32 v1, v0
	v_cmp_gt_i32_e32 vcc_lo, s1, v0
	v_or_b32_e32 v9, s2, v0
	v_or_b32_e32 v27, 0x100, v0
	s_delay_alu instid0(VALU_DEP_4)
	v_dual_mov_b32 v14, v12 :: v_dual_mov_b32 v13, v11
	v_dual_mov_b32 v16, v12 :: v_dual_mov_b32 v15, v11
	s_and_saveexec_b32 s3, vcc_lo
	s_cbranch_execz .LBB147_5
; %bb.4:
	global_load_u8 v3, v9, s[10:11]
	v_mov_b32_e32 v10, 0
	s_delay_alu instid0(VALU_DEP_1) | instskip(NEXT) | instid1(VALU_DEP_1)
	v_lshlrev_b64 v[1:2], 3, v[9:10]
	v_add_co_u32 v1, s0, s8, v1
	s_delay_alu instid0(VALU_DEP_1)
	v_add_co_ci_u32_e64 v2, s0, s9, v2, s0
	global_load_b64 v[13:14], v[1:2], off
	v_or_b32_e32 v1, 0x100, v0
	s_waitcnt vmcnt(1)
	v_cvt_f64_u32_e32 v[15:16], v3
.LBB147_5:
	s_or_b32 exec_lo, exec_lo, s3
	v_dual_mov_b32 v20, v12 :: v_dual_mov_b32 v19, v11
	s_mov_b32 s3, exec_lo
	v_cmpx_gt_i32_e64 s1, v1
	s_cbranch_execz .LBB147_7
; %bb.6:
	v_dual_mov_b32 v3, 0 :: v_dual_add_nc_u32 v2, s2, v1
	v_add_nc_u32_e32 v1, 0x100, v1
	global_load_u8 v4, v2, s[10:11]
	v_lshlrev_b64 v[2:3], 3, v[2:3]
	s_delay_alu instid0(VALU_DEP_1) | instskip(NEXT) | instid1(VALU_DEP_1)
	v_add_co_u32 v2, s0, s8, v2
	v_add_co_ci_u32_e64 v3, s0, s9, v3, s0
	global_load_b64 v[11:12], v[2:3], off
	s_waitcnt vmcnt(1)
	v_cvt_f64_u32_e32 v[19:20], v4
.LBB147_7:
	s_or_b32 exec_lo, exec_lo, s3
	v_mov_b32_e32 v17, 0
	v_mov_b32_e32 v18, 0
	s_mov_b32 s3, exec_lo
	s_delay_alu instid0(VALU_DEP_1)
	v_dual_mov_b32 v22, v18 :: v_dual_mov_b32 v21, v17
	v_dual_mov_b32 v24, v18 :: v_dual_mov_b32 v23, v17
	v_cmpx_gt_i32_e64 s1, v1
	s_cbranch_execz .LBB147_9
; %bb.8:
	v_dual_mov_b32 v3, 0 :: v_dual_add_nc_u32 v2, s2, v1
	v_add_nc_u32_e32 v1, 0x100, v1
	global_load_u8 v4, v2, s[10:11]
	v_lshlrev_b64 v[2:3], 3, v[2:3]
	s_delay_alu instid0(VALU_DEP_1) | instskip(NEXT) | instid1(VALU_DEP_1)
	v_add_co_u32 v2, s0, s8, v2
	v_add_co_ci_u32_e64 v3, s0, s9, v3, s0
	global_load_b64 v[21:22], v[2:3], off
	s_waitcnt vmcnt(1)
	v_cvt_f64_u32_e32 v[23:24], v4
.LBB147_9:
	s_or_b32 exec_lo, exec_lo, s3
	v_dual_mov_b32 v26, v18 :: v_dual_mov_b32 v25, v17
	s_mov_b32 s3, exec_lo
	v_cmpx_gt_i32_e64 s1, v1
	s_cbranch_execnz .LBB147_22
; %bb.10:
	s_or_b32 exec_lo, exec_lo, s3
                                        ; implicit-def: $vgpr1_vgpr2_vgpr3_vgpr4_vgpr5_vgpr6_vgpr7_vgpr8
	s_and_saveexec_b32 s0, vcc_lo
	s_cbranch_execnz .LBB147_23
.LBB147_11:
	s_or_b32 exec_lo, exec_lo, s0
	s_delay_alu instid0(SALU_CYCLE_1)
	s_mov_b32 s3, exec_lo
	v_cmpx_gt_i32_e64 s1, v27
	s_cbranch_execz .LBB147_13
.LBB147_12:
	s_waitcnt vmcnt(0)
	v_mul_f64 v[3:4], v[11:12], v[19:20]
	s_delay_alu instid0(VALU_DEP_1)
	v_mul_f64 v[3:4], v[3:4], s[4:5]
.LBB147_13:
	s_or_b32 exec_lo, exec_lo, s3
	v_or_b32_e32 v10, 0x200, v0
	s_mov_b32 s3, exec_lo
	s_delay_alu instid0(VALU_DEP_1)
	v_cmpx_gt_i32_e64 s1, v10
	s_cbranch_execz .LBB147_15
; %bb.14:
	s_waitcnt vmcnt(0)
	v_mul_f64 v[5:6], v[21:22], v[23:24]
	s_delay_alu instid0(VALU_DEP_1)
	v_mul_f64 v[5:6], v[5:6], s[4:5]
.LBB147_15:
	s_or_b32 exec_lo, exec_lo, s3
	v_or_b32_e32 v10, 0x300, v0
	s_mov_b32 s3, exec_lo
	s_delay_alu instid0(VALU_DEP_1)
	v_cmpx_gt_i32_e64 s1, v10
	s_cbranch_execnz .LBB147_24
; %bb.16:
	s_or_b32 exec_lo, exec_lo, s3
	s_and_saveexec_b32 s0, vcc_lo
	s_delay_alu instid0(SALU_CYCLE_1)
	s_xor_b32 s0, exec_lo, s0
	s_cbranch_execnz .LBB147_25
.LBB147_17:
	s_or_b32 exec_lo, exec_lo, s0
	s_delay_alu instid0(SALU_CYCLE_1)
	s_mov_b32 s0, exec_lo
	v_cmpx_gt_i32_e64 s1, v0
	s_cbranch_execnz .LBB147_26
.LBB147_18:
	s_or_b32 exec_lo, exec_lo, s0
	s_delay_alu instid0(SALU_CYCLE_1)
	s_mov_b32 s0, exec_lo
	v_cmpx_gt_i32_e64 s1, v0
	s_cbranch_execnz .LBB147_27
.LBB147_19:
	s_or_b32 exec_lo, exec_lo, s0
	s_delay_alu instid0(SALU_CYCLE_1)
	s_mov_b32 s0, exec_lo
	v_cmpx_gt_i32_e64 s1, v0
	s_cbranch_execz .LBB147_21
.LBB147_20:
	v_dual_mov_b32 v1, 0 :: v_dual_add_nc_u32 v0, s2, v0
	s_delay_alu instid0(VALU_DEP_1) | instskip(NEXT) | instid1(VALU_DEP_1)
	v_lshlrev_b64 v[0:1], 3, v[0:1]
	v_add_co_u32 v0, vcc_lo, s6, v0
	s_delay_alu instid0(VALU_DEP_2)
	v_add_co_ci_u32_e32 v1, vcc_lo, s7, v1, vcc_lo
	global_store_b64 v[0:1], v[7:8], off
.LBB147_21:
	s_nop 0
	s_sendmsg sendmsg(MSG_DEALLOC_VGPRS)
	s_endpgm
.LBB147_22:
	v_dual_mov_b32 v2, 0 :: v_dual_add_nc_u32 v1, s2, v1
	global_load_u8 v3, v1, s[10:11]
	v_lshlrev_b64 v[1:2], 3, v[1:2]
	s_delay_alu instid0(VALU_DEP_1) | instskip(NEXT) | instid1(VALU_DEP_1)
	v_add_co_u32 v1, s0, s8, v1
	v_add_co_ci_u32_e64 v2, s0, s9, v2, s0
	global_load_b64 v[25:26], v[1:2], off
	s_waitcnt vmcnt(1)
	v_cvt_f64_u32_e32 v[17:18], v3
	s_or_b32 exec_lo, exec_lo, s3
                                        ; implicit-def: $vgpr1_vgpr2_vgpr3_vgpr4_vgpr5_vgpr6_vgpr7_vgpr8
	s_and_saveexec_b32 s0, vcc_lo
	s_cbranch_execz .LBB147_11
.LBB147_23:
	s_waitcnt vmcnt(0)
	v_mul_f64 v[1:2], v[13:14], v[15:16]
	s_delay_alu instid0(VALU_DEP_1) | instskip(SKIP_1) | instid1(SALU_CYCLE_1)
	v_mul_f64 v[1:2], v[1:2], s[4:5]
	s_or_b32 exec_lo, exec_lo, s0
	s_mov_b32 s3, exec_lo
	v_cmpx_gt_i32_e64 s1, v27
	s_cbranch_execnz .LBB147_12
	s_branch .LBB147_13
.LBB147_24:
	s_waitcnt vmcnt(0)
	v_mul_f64 v[7:8], v[17:18], v[25:26]
	s_delay_alu instid0(VALU_DEP_1) | instskip(SKIP_2) | instid1(SALU_CYCLE_1)
	v_mul_f64 v[7:8], v[7:8], s[4:5]
	s_or_b32 exec_lo, exec_lo, s3
	s_and_saveexec_b32 s0, vcc_lo
	s_xor_b32 s0, exec_lo, s0
	s_cbranch_execz .LBB147_17
.LBB147_25:
	v_mov_b32_e32 v10, 0
	v_mov_b32_e32 v0, v27
	s_delay_alu instid0(VALU_DEP_2) | instskip(NEXT) | instid1(VALU_DEP_1)
	v_lshlrev_b64 v[9:10], 3, v[9:10]
	v_add_co_u32 v9, vcc_lo, s6, v9
	s_delay_alu instid0(VALU_DEP_2) | instskip(SKIP_2) | instid1(SALU_CYCLE_1)
	v_add_co_ci_u32_e32 v10, vcc_lo, s7, v10, vcc_lo
	global_store_b64 v[9:10], v[1:2], off
	s_or_b32 exec_lo, exec_lo, s0
	s_mov_b32 s0, exec_lo
	v_cmpx_gt_i32_e64 s1, v0
	s_cbranch_execz .LBB147_18
.LBB147_26:
	v_dual_mov_b32 v2, 0 :: v_dual_add_nc_u32 v1, s2, v0
	v_add_nc_u32_e32 v0, 0x100, v0
	s_delay_alu instid0(VALU_DEP_2) | instskip(NEXT) | instid1(VALU_DEP_1)
	v_lshlrev_b64 v[1:2], 3, v[1:2]
	v_add_co_u32 v1, vcc_lo, s6, v1
	s_delay_alu instid0(VALU_DEP_2) | instskip(SKIP_2) | instid1(SALU_CYCLE_1)
	v_add_co_ci_u32_e32 v2, vcc_lo, s7, v2, vcc_lo
	global_store_b64 v[1:2], v[3:4], off
	s_or_b32 exec_lo, exec_lo, s0
	s_mov_b32 s0, exec_lo
	v_cmpx_gt_i32_e64 s1, v0
	s_cbranch_execz .LBB147_19
.LBB147_27:
	v_dual_mov_b32 v2, 0 :: v_dual_add_nc_u32 v1, s2, v0
	v_add_nc_u32_e32 v0, 0x100, v0
	s_delay_alu instid0(VALU_DEP_2) | instskip(NEXT) | instid1(VALU_DEP_1)
	v_lshlrev_b64 v[1:2], 3, v[1:2]
	v_add_co_u32 v1, vcc_lo, s6, v1
	s_delay_alu instid0(VALU_DEP_2) | instskip(SKIP_2) | instid1(SALU_CYCLE_1)
	v_add_co_ci_u32_e32 v2, vcc_lo, s7, v2, vcc_lo
	global_store_b64 v[1:2], v[5:6], off
	s_or_b32 exec_lo, exec_lo, s0
	s_mov_b32 s0, exec_lo
	v_cmpx_gt_i32_e64 s1, v0
	s_cbranch_execnz .LBB147_20
	s_branch .LBB147_21
	.section	.rodata,"a",@progbits
	.p2align	6, 0x0
	.amdhsa_kernel _ZN2at6native29vectorized_elementwise_kernelILi2EZNS0_12_GLOBAL__N_119masked_scale_kernelIhddEEvRNS_6TensorERKS4_S7_T1_EUldhE_St5arrayIPcLm3EEEEviT0_S8_
		.amdhsa_group_segment_fixed_size 0
		.amdhsa_private_segment_fixed_size 0
		.amdhsa_kernarg_size 40
		.amdhsa_user_sgpr_count 15
		.amdhsa_user_sgpr_dispatch_ptr 0
		.amdhsa_user_sgpr_queue_ptr 0
		.amdhsa_user_sgpr_kernarg_segment_ptr 1
		.amdhsa_user_sgpr_dispatch_id 0
		.amdhsa_user_sgpr_private_segment_size 0
		.amdhsa_wavefront_size32 1
		.amdhsa_uses_dynamic_stack 0
		.amdhsa_enable_private_segment 0
		.amdhsa_system_sgpr_workgroup_id_x 1
		.amdhsa_system_sgpr_workgroup_id_y 0
		.amdhsa_system_sgpr_workgroup_id_z 0
		.amdhsa_system_sgpr_workgroup_info 0
		.amdhsa_system_vgpr_workitem_id 0
		.amdhsa_next_free_vgpr 28
		.amdhsa_next_free_sgpr 18
		.amdhsa_reserve_vcc 1
		.amdhsa_float_round_mode_32 0
		.amdhsa_float_round_mode_16_64 0
		.amdhsa_float_denorm_mode_32 3
		.amdhsa_float_denorm_mode_16_64 3
		.amdhsa_dx10_clamp 1
		.amdhsa_ieee_mode 1
		.amdhsa_fp16_overflow 0
		.amdhsa_workgroup_processor_mode 1
		.amdhsa_memory_ordered 1
		.amdhsa_forward_progress 0
		.amdhsa_shared_vgpr_count 0
		.amdhsa_exception_fp_ieee_invalid_op 0
		.amdhsa_exception_fp_denorm_src 0
		.amdhsa_exception_fp_ieee_div_zero 0
		.amdhsa_exception_fp_ieee_overflow 0
		.amdhsa_exception_fp_ieee_underflow 0
		.amdhsa_exception_fp_ieee_inexact 0
		.amdhsa_exception_int_div_zero 0
	.end_amdhsa_kernel
	.section	.text._ZN2at6native29vectorized_elementwise_kernelILi2EZNS0_12_GLOBAL__N_119masked_scale_kernelIhddEEvRNS_6TensorERKS4_S7_T1_EUldhE_St5arrayIPcLm3EEEEviT0_S8_,"axG",@progbits,_ZN2at6native29vectorized_elementwise_kernelILi2EZNS0_12_GLOBAL__N_119masked_scale_kernelIhddEEvRNS_6TensorERKS4_S7_T1_EUldhE_St5arrayIPcLm3EEEEviT0_S8_,comdat
.Lfunc_end147:
	.size	_ZN2at6native29vectorized_elementwise_kernelILi2EZNS0_12_GLOBAL__N_119masked_scale_kernelIhddEEvRNS_6TensorERKS4_S7_T1_EUldhE_St5arrayIPcLm3EEEEviT0_S8_, .Lfunc_end147-_ZN2at6native29vectorized_elementwise_kernelILi2EZNS0_12_GLOBAL__N_119masked_scale_kernelIhddEEvRNS_6TensorERKS4_S7_T1_EUldhE_St5arrayIPcLm3EEEEviT0_S8_
                                        ; -- End function
	.section	.AMDGPU.csdata,"",@progbits
; Kernel info:
; codeLenInByte = 1452
; NumSgprs: 20
; NumVgprs: 28
; ScratchSize: 0
; MemoryBound: 0
; FloatMode: 240
; IeeeMode: 1
; LDSByteSize: 0 bytes/workgroup (compile time only)
; SGPRBlocks: 2
; VGPRBlocks: 3
; NumSGPRsForWavesPerEU: 20
; NumVGPRsForWavesPerEU: 28
; Occupancy: 16
; WaveLimiterHint : 1
; COMPUTE_PGM_RSRC2:SCRATCH_EN: 0
; COMPUTE_PGM_RSRC2:USER_SGPR: 15
; COMPUTE_PGM_RSRC2:TRAP_HANDLER: 0
; COMPUTE_PGM_RSRC2:TGID_X_EN: 1
; COMPUTE_PGM_RSRC2:TGID_Y_EN: 0
; COMPUTE_PGM_RSRC2:TGID_Z_EN: 0
; COMPUTE_PGM_RSRC2:TIDIG_COMP_CNT: 0
	.section	.text._ZN2at6native27unrolled_elementwise_kernelIZNS0_12_GLOBAL__N_119masked_scale_kernelIhddEEvRNS_6TensorERKS4_S7_T1_EUldhE_St5arrayIPcLm3EELi4E23TrivialOffsetCalculatorILi2EjESD_ILi1EjENS0_6memory15LoadWithoutCastENSG_16StoreWithoutCastEEEviT_T0_T2_T3_T4_T5_,"axG",@progbits,_ZN2at6native27unrolled_elementwise_kernelIZNS0_12_GLOBAL__N_119masked_scale_kernelIhddEEvRNS_6TensorERKS4_S7_T1_EUldhE_St5arrayIPcLm3EELi4E23TrivialOffsetCalculatorILi2EjESD_ILi1EjENS0_6memory15LoadWithoutCastENSG_16StoreWithoutCastEEEviT_T0_T2_T3_T4_T5_,comdat
	.globl	_ZN2at6native27unrolled_elementwise_kernelIZNS0_12_GLOBAL__N_119masked_scale_kernelIhddEEvRNS_6TensorERKS4_S7_T1_EUldhE_St5arrayIPcLm3EELi4E23TrivialOffsetCalculatorILi2EjESD_ILi1EjENS0_6memory15LoadWithoutCastENSG_16StoreWithoutCastEEEviT_T0_T2_T3_T4_T5_ ; -- Begin function _ZN2at6native27unrolled_elementwise_kernelIZNS0_12_GLOBAL__N_119masked_scale_kernelIhddEEvRNS_6TensorERKS4_S7_T1_EUldhE_St5arrayIPcLm3EELi4E23TrivialOffsetCalculatorILi2EjESD_ILi1EjENS0_6memory15LoadWithoutCastENSG_16StoreWithoutCastEEEviT_T0_T2_T3_T4_T5_
	.p2align	8
	.type	_ZN2at6native27unrolled_elementwise_kernelIZNS0_12_GLOBAL__N_119masked_scale_kernelIhddEEvRNS_6TensorERKS4_S7_T1_EUldhE_St5arrayIPcLm3EELi4E23TrivialOffsetCalculatorILi2EjESD_ILi1EjENS0_6memory15LoadWithoutCastENSG_16StoreWithoutCastEEEviT_T0_T2_T3_T4_T5_,@function
_ZN2at6native27unrolled_elementwise_kernelIZNS0_12_GLOBAL__N_119masked_scale_kernelIhddEEvRNS_6TensorERKS4_S7_T1_EUldhE_St5arrayIPcLm3EELi4E23TrivialOffsetCalculatorILi2EjESD_ILi1EjENS0_6memory15LoadWithoutCastENSG_16StoreWithoutCastEEEviT_T0_T2_T3_T4_T5_: ; @_ZN2at6native27unrolled_elementwise_kernelIZNS0_12_GLOBAL__N_119masked_scale_kernelIhddEEvRNS_6TensorERKS4_S7_T1_EUldhE_St5arrayIPcLm3EELi4E23TrivialOffsetCalculatorILi2EjESD_ILi1EjENS0_6memory15LoadWithoutCastENSG_16StoreWithoutCastEEEviT_T0_T2_T3_T4_T5_
; %bb.0:
	s_clause 0x1
	s_load_b32 s2, s[0:1], 0x0
	s_load_b256 s[4:11], s[0:1], 0x8
	v_mov_b32_e32 v11, 0
	v_dual_mov_b32 v12, 0 :: v_dual_mov_b32 v1, v0
	s_lshl_b32 s1, s15, 10
	v_or_b32_e32 v27, 0x100, v0
	v_or_b32_e32 v9, s1, v0
	s_delay_alu instid0(VALU_DEP_3) | instskip(SKIP_3) | instid1(SALU_CYCLE_1)
	v_dual_mov_b32 v14, v12 :: v_dual_mov_b32 v13, v11
	v_dual_mov_b32 v16, v12 :: v_dual_mov_b32 v15, v11
	s_waitcnt lgkmcnt(0)
	s_sub_i32 s2, s2, s1
	v_cmp_gt_i32_e32 vcc_lo, s2, v0
	s_and_saveexec_b32 s3, vcc_lo
	s_cbranch_execz .LBB148_2
; %bb.1:
	global_load_u8 v3, v9, s[10:11]
	v_mov_b32_e32 v10, 0
	s_delay_alu instid0(VALU_DEP_1) | instskip(NEXT) | instid1(VALU_DEP_1)
	v_lshlrev_b64 v[1:2], 3, v[9:10]
	v_add_co_u32 v1, s0, s8, v1
	s_delay_alu instid0(VALU_DEP_1)
	v_add_co_ci_u32_e64 v2, s0, s9, v2, s0
	global_load_b64 v[13:14], v[1:2], off
	v_or_b32_e32 v1, 0x100, v0
	s_waitcnt vmcnt(1)
	v_cvt_f64_u32_e32 v[15:16], v3
.LBB148_2:
	s_or_b32 exec_lo, exec_lo, s3
	v_dual_mov_b32 v20, v12 :: v_dual_mov_b32 v19, v11
	s_mov_b32 s3, exec_lo
	v_cmpx_gt_i32_e64 s2, v1
	s_cbranch_execz .LBB148_4
; %bb.3:
	v_dual_mov_b32 v3, 0 :: v_dual_add_nc_u32 v2, s1, v1
	v_add_nc_u32_e32 v1, 0x100, v1
	global_load_u8 v4, v2, s[10:11]
	v_lshlrev_b64 v[2:3], 3, v[2:3]
	s_delay_alu instid0(VALU_DEP_1) | instskip(NEXT) | instid1(VALU_DEP_1)
	v_add_co_u32 v2, s0, s8, v2
	v_add_co_ci_u32_e64 v3, s0, s9, v3, s0
	global_load_b64 v[11:12], v[2:3], off
	s_waitcnt vmcnt(1)
	v_cvt_f64_u32_e32 v[19:20], v4
.LBB148_4:
	s_or_b32 exec_lo, exec_lo, s3
	v_mov_b32_e32 v17, 0
	v_mov_b32_e32 v18, 0
	s_mov_b32 s3, exec_lo
	s_delay_alu instid0(VALU_DEP_1)
	v_dual_mov_b32 v22, v18 :: v_dual_mov_b32 v21, v17
	v_dual_mov_b32 v24, v18 :: v_dual_mov_b32 v23, v17
	v_cmpx_gt_i32_e64 s2, v1
	s_cbranch_execz .LBB148_6
; %bb.5:
	v_dual_mov_b32 v3, 0 :: v_dual_add_nc_u32 v2, s1, v1
	v_add_nc_u32_e32 v1, 0x100, v1
	global_load_u8 v4, v2, s[10:11]
	v_lshlrev_b64 v[2:3], 3, v[2:3]
	s_delay_alu instid0(VALU_DEP_1) | instskip(NEXT) | instid1(VALU_DEP_1)
	v_add_co_u32 v2, s0, s8, v2
	v_add_co_ci_u32_e64 v3, s0, s9, v3, s0
	global_load_b64 v[21:22], v[2:3], off
	s_waitcnt vmcnt(1)
	v_cvt_f64_u32_e32 v[23:24], v4
.LBB148_6:
	s_or_b32 exec_lo, exec_lo, s3
	v_dual_mov_b32 v26, v18 :: v_dual_mov_b32 v25, v17
	s_mov_b32 s3, exec_lo
	v_cmpx_gt_i32_e64 s2, v1
	s_cbranch_execnz .LBB148_18
; %bb.7:
	s_or_b32 exec_lo, exec_lo, s3
                                        ; implicit-def: $vgpr1_vgpr2_vgpr3_vgpr4_vgpr5_vgpr6_vgpr7_vgpr8
	s_and_saveexec_b32 s0, vcc_lo
	s_cbranch_execnz .LBB148_19
.LBB148_8:
	s_or_b32 exec_lo, exec_lo, s0
	s_delay_alu instid0(SALU_CYCLE_1)
	s_mov_b32 s3, exec_lo
	v_cmpx_gt_i32_e64 s2, v27
	s_cbranch_execz .LBB148_10
.LBB148_9:
	s_waitcnt vmcnt(0)
	v_mul_f64 v[3:4], v[11:12], v[19:20]
	s_delay_alu instid0(VALU_DEP_1)
	v_mul_f64 v[3:4], v[3:4], s[4:5]
.LBB148_10:
	s_or_b32 exec_lo, exec_lo, s3
	v_or_b32_e32 v10, 0x200, v0
	s_mov_b32 s3, exec_lo
	s_delay_alu instid0(VALU_DEP_1)
	v_cmpx_gt_i32_e64 s2, v10
	s_cbranch_execz .LBB148_12
; %bb.11:
	s_waitcnt vmcnt(0)
	v_mul_f64 v[5:6], v[21:22], v[23:24]
	s_delay_alu instid0(VALU_DEP_1)
	v_mul_f64 v[5:6], v[5:6], s[4:5]
.LBB148_12:
	s_or_b32 exec_lo, exec_lo, s3
	v_or_b32_e32 v10, 0x300, v0
	s_mov_b32 s3, exec_lo
	s_delay_alu instid0(VALU_DEP_1)
	v_cmpx_gt_i32_e64 s2, v10
	s_cbranch_execnz .LBB148_20
; %bb.13:
	s_or_b32 exec_lo, exec_lo, s3
	s_and_saveexec_b32 s0, vcc_lo
	s_delay_alu instid0(SALU_CYCLE_1)
	s_xor_b32 s0, exec_lo, s0
	s_cbranch_execnz .LBB148_21
.LBB148_14:
	s_or_b32 exec_lo, exec_lo, s0
	s_delay_alu instid0(SALU_CYCLE_1)
	s_mov_b32 s0, exec_lo
	v_cmpx_gt_i32_e64 s2, v0
	s_cbranch_execnz .LBB148_22
.LBB148_15:
	s_or_b32 exec_lo, exec_lo, s0
	s_delay_alu instid0(SALU_CYCLE_1)
	s_mov_b32 s0, exec_lo
	v_cmpx_gt_i32_e64 s2, v0
	s_cbranch_execnz .LBB148_23
.LBB148_16:
	s_or_b32 exec_lo, exec_lo, s0
	s_delay_alu instid0(SALU_CYCLE_1)
	s_mov_b32 s0, exec_lo
	v_cmpx_gt_i32_e64 s2, v0
	s_cbranch_execnz .LBB148_24
.LBB148_17:
	s_nop 0
	s_sendmsg sendmsg(MSG_DEALLOC_VGPRS)
	s_endpgm
.LBB148_18:
	v_dual_mov_b32 v2, 0 :: v_dual_add_nc_u32 v1, s1, v1
	global_load_u8 v3, v1, s[10:11]
	v_lshlrev_b64 v[1:2], 3, v[1:2]
	s_delay_alu instid0(VALU_DEP_1) | instskip(NEXT) | instid1(VALU_DEP_1)
	v_add_co_u32 v1, s0, s8, v1
	v_add_co_ci_u32_e64 v2, s0, s9, v2, s0
	global_load_b64 v[25:26], v[1:2], off
	s_waitcnt vmcnt(1)
	v_cvt_f64_u32_e32 v[17:18], v3
	s_or_b32 exec_lo, exec_lo, s3
                                        ; implicit-def: $vgpr1_vgpr2_vgpr3_vgpr4_vgpr5_vgpr6_vgpr7_vgpr8
	s_and_saveexec_b32 s0, vcc_lo
	s_cbranch_execz .LBB148_8
.LBB148_19:
	s_waitcnt vmcnt(0)
	v_mul_f64 v[1:2], v[13:14], v[15:16]
	s_delay_alu instid0(VALU_DEP_1) | instskip(SKIP_1) | instid1(SALU_CYCLE_1)
	v_mul_f64 v[1:2], v[1:2], s[4:5]
	s_or_b32 exec_lo, exec_lo, s0
	s_mov_b32 s3, exec_lo
	v_cmpx_gt_i32_e64 s2, v27
	s_cbranch_execnz .LBB148_9
	s_branch .LBB148_10
.LBB148_20:
	s_waitcnt vmcnt(0)
	v_mul_f64 v[7:8], v[17:18], v[25:26]
	s_delay_alu instid0(VALU_DEP_1) | instskip(SKIP_2) | instid1(SALU_CYCLE_1)
	v_mul_f64 v[7:8], v[7:8], s[4:5]
	s_or_b32 exec_lo, exec_lo, s3
	s_and_saveexec_b32 s0, vcc_lo
	s_xor_b32 s0, exec_lo, s0
	s_cbranch_execz .LBB148_14
.LBB148_21:
	v_mov_b32_e32 v10, 0
	v_mov_b32_e32 v0, v27
	s_delay_alu instid0(VALU_DEP_2) | instskip(NEXT) | instid1(VALU_DEP_1)
	v_lshlrev_b64 v[9:10], 3, v[9:10]
	v_add_co_u32 v9, vcc_lo, s6, v9
	s_delay_alu instid0(VALU_DEP_2) | instskip(SKIP_2) | instid1(SALU_CYCLE_1)
	v_add_co_ci_u32_e32 v10, vcc_lo, s7, v10, vcc_lo
	global_store_b64 v[9:10], v[1:2], off
	s_or_b32 exec_lo, exec_lo, s0
	s_mov_b32 s0, exec_lo
	v_cmpx_gt_i32_e64 s2, v0
	s_cbranch_execz .LBB148_15
.LBB148_22:
	v_dual_mov_b32 v2, 0 :: v_dual_add_nc_u32 v1, s1, v0
	v_add_nc_u32_e32 v0, 0x100, v0
	s_delay_alu instid0(VALU_DEP_2) | instskip(NEXT) | instid1(VALU_DEP_1)
	v_lshlrev_b64 v[1:2], 3, v[1:2]
	v_add_co_u32 v1, vcc_lo, s6, v1
	s_delay_alu instid0(VALU_DEP_2) | instskip(SKIP_2) | instid1(SALU_CYCLE_1)
	v_add_co_ci_u32_e32 v2, vcc_lo, s7, v2, vcc_lo
	global_store_b64 v[1:2], v[3:4], off
	s_or_b32 exec_lo, exec_lo, s0
	s_mov_b32 s0, exec_lo
	v_cmpx_gt_i32_e64 s2, v0
	s_cbranch_execz .LBB148_16
.LBB148_23:
	v_dual_mov_b32 v2, 0 :: v_dual_add_nc_u32 v1, s1, v0
	v_add_nc_u32_e32 v0, 0x100, v0
	s_delay_alu instid0(VALU_DEP_2) | instskip(NEXT) | instid1(VALU_DEP_1)
	v_lshlrev_b64 v[1:2], 3, v[1:2]
	v_add_co_u32 v1, vcc_lo, s6, v1
	s_delay_alu instid0(VALU_DEP_2) | instskip(SKIP_2) | instid1(SALU_CYCLE_1)
	v_add_co_ci_u32_e32 v2, vcc_lo, s7, v2, vcc_lo
	global_store_b64 v[1:2], v[5:6], off
	s_or_b32 exec_lo, exec_lo, s0
	s_mov_b32 s0, exec_lo
	v_cmpx_gt_i32_e64 s2, v0
	s_cbranch_execz .LBB148_17
.LBB148_24:
	v_dual_mov_b32 v1, 0 :: v_dual_add_nc_u32 v0, s1, v0
	s_delay_alu instid0(VALU_DEP_1) | instskip(NEXT) | instid1(VALU_DEP_1)
	v_lshlrev_b64 v[0:1], 3, v[0:1]
	v_add_co_u32 v0, vcc_lo, s6, v0
	s_delay_alu instid0(VALU_DEP_2)
	v_add_co_ci_u32_e32 v1, vcc_lo, s7, v1, vcc_lo
	global_store_b64 v[0:1], v[7:8], off
	s_nop 0
	s_sendmsg sendmsg(MSG_DEALLOC_VGPRS)
	s_endpgm
	.section	.rodata,"a",@progbits
	.p2align	6, 0x0
	.amdhsa_kernel _ZN2at6native27unrolled_elementwise_kernelIZNS0_12_GLOBAL__N_119masked_scale_kernelIhddEEvRNS_6TensorERKS4_S7_T1_EUldhE_St5arrayIPcLm3EELi4E23TrivialOffsetCalculatorILi2EjESD_ILi1EjENS0_6memory15LoadWithoutCastENSG_16StoreWithoutCastEEEviT_T0_T2_T3_T4_T5_
		.amdhsa_group_segment_fixed_size 0
		.amdhsa_private_segment_fixed_size 0
		.amdhsa_kernarg_size 44
		.amdhsa_user_sgpr_count 15
		.amdhsa_user_sgpr_dispatch_ptr 0
		.amdhsa_user_sgpr_queue_ptr 0
		.amdhsa_user_sgpr_kernarg_segment_ptr 1
		.amdhsa_user_sgpr_dispatch_id 0
		.amdhsa_user_sgpr_private_segment_size 0
		.amdhsa_wavefront_size32 1
		.amdhsa_uses_dynamic_stack 0
		.amdhsa_enable_private_segment 0
		.amdhsa_system_sgpr_workgroup_id_x 1
		.amdhsa_system_sgpr_workgroup_id_y 0
		.amdhsa_system_sgpr_workgroup_id_z 0
		.amdhsa_system_sgpr_workgroup_info 0
		.amdhsa_system_vgpr_workitem_id 0
		.amdhsa_next_free_vgpr 28
		.amdhsa_next_free_sgpr 16
		.amdhsa_reserve_vcc 1
		.amdhsa_float_round_mode_32 0
		.amdhsa_float_round_mode_16_64 0
		.amdhsa_float_denorm_mode_32 3
		.amdhsa_float_denorm_mode_16_64 3
		.amdhsa_dx10_clamp 1
		.amdhsa_ieee_mode 1
		.amdhsa_fp16_overflow 0
		.amdhsa_workgroup_processor_mode 1
		.amdhsa_memory_ordered 1
		.amdhsa_forward_progress 0
		.amdhsa_shared_vgpr_count 0
		.amdhsa_exception_fp_ieee_invalid_op 0
		.amdhsa_exception_fp_denorm_src 0
		.amdhsa_exception_fp_ieee_div_zero 0
		.amdhsa_exception_fp_ieee_overflow 0
		.amdhsa_exception_fp_ieee_underflow 0
		.amdhsa_exception_fp_ieee_inexact 0
		.amdhsa_exception_int_div_zero 0
	.end_amdhsa_kernel
	.section	.text._ZN2at6native27unrolled_elementwise_kernelIZNS0_12_GLOBAL__N_119masked_scale_kernelIhddEEvRNS_6TensorERKS4_S7_T1_EUldhE_St5arrayIPcLm3EELi4E23TrivialOffsetCalculatorILi2EjESD_ILi1EjENS0_6memory15LoadWithoutCastENSG_16StoreWithoutCastEEEviT_T0_T2_T3_T4_T5_,"axG",@progbits,_ZN2at6native27unrolled_elementwise_kernelIZNS0_12_GLOBAL__N_119masked_scale_kernelIhddEEvRNS_6TensorERKS4_S7_T1_EUldhE_St5arrayIPcLm3EELi4E23TrivialOffsetCalculatorILi2EjESD_ILi1EjENS0_6memory15LoadWithoutCastENSG_16StoreWithoutCastEEEviT_T0_T2_T3_T4_T5_,comdat
.Lfunc_end148:
	.size	_ZN2at6native27unrolled_elementwise_kernelIZNS0_12_GLOBAL__N_119masked_scale_kernelIhddEEvRNS_6TensorERKS4_S7_T1_EUldhE_St5arrayIPcLm3EELi4E23TrivialOffsetCalculatorILi2EjESD_ILi1EjENS0_6memory15LoadWithoutCastENSG_16StoreWithoutCastEEEviT_T0_T2_T3_T4_T5_, .Lfunc_end148-_ZN2at6native27unrolled_elementwise_kernelIZNS0_12_GLOBAL__N_119masked_scale_kernelIhddEEvRNS_6TensorERKS4_S7_T1_EUldhE_St5arrayIPcLm3EELi4E23TrivialOffsetCalculatorILi2EjESD_ILi1EjENS0_6memory15LoadWithoutCastENSG_16StoreWithoutCastEEEviT_T0_T2_T3_T4_T5_
                                        ; -- End function
	.section	.AMDGPU.csdata,"",@progbits
; Kernel info:
; codeLenInByte = 1072
; NumSgprs: 18
; NumVgprs: 28
; ScratchSize: 0
; MemoryBound: 0
; FloatMode: 240
; IeeeMode: 1
; LDSByteSize: 0 bytes/workgroup (compile time only)
; SGPRBlocks: 2
; VGPRBlocks: 3
; NumSGPRsForWavesPerEU: 18
; NumVGPRsForWavesPerEU: 28
; Occupancy: 16
; WaveLimiterHint : 0
; COMPUTE_PGM_RSRC2:SCRATCH_EN: 0
; COMPUTE_PGM_RSRC2:USER_SGPR: 15
; COMPUTE_PGM_RSRC2:TRAP_HANDLER: 0
; COMPUTE_PGM_RSRC2:TGID_X_EN: 1
; COMPUTE_PGM_RSRC2:TGID_Y_EN: 0
; COMPUTE_PGM_RSRC2:TGID_Z_EN: 0
; COMPUTE_PGM_RSRC2:TIDIG_COMP_CNT: 0
	.section	.text._ZN2at6native32elementwise_kernel_manual_unrollILi128ELi4EZNS0_22gpu_kernel_impl_nocastIZNS0_12_GLOBAL__N_119masked_scale_kernelIhddEEvRNS_6TensorERKS5_S8_T1_EUldhE_EEvRNS_18TensorIteratorBaseERKT_EUlibE_EEviS9_,"axG",@progbits,_ZN2at6native32elementwise_kernel_manual_unrollILi128ELi4EZNS0_22gpu_kernel_impl_nocastIZNS0_12_GLOBAL__N_119masked_scale_kernelIhddEEvRNS_6TensorERKS5_S8_T1_EUldhE_EEvRNS_18TensorIteratorBaseERKT_EUlibE_EEviS9_,comdat
	.globl	_ZN2at6native32elementwise_kernel_manual_unrollILi128ELi4EZNS0_22gpu_kernel_impl_nocastIZNS0_12_GLOBAL__N_119masked_scale_kernelIhddEEvRNS_6TensorERKS5_S8_T1_EUldhE_EEvRNS_18TensorIteratorBaseERKT_EUlibE_EEviS9_ ; -- Begin function _ZN2at6native32elementwise_kernel_manual_unrollILi128ELi4EZNS0_22gpu_kernel_impl_nocastIZNS0_12_GLOBAL__N_119masked_scale_kernelIhddEEvRNS_6TensorERKS5_S8_T1_EUldhE_EEvRNS_18TensorIteratorBaseERKT_EUlibE_EEviS9_
	.p2align	8
	.type	_ZN2at6native32elementwise_kernel_manual_unrollILi128ELi4EZNS0_22gpu_kernel_impl_nocastIZNS0_12_GLOBAL__N_119masked_scale_kernelIhddEEvRNS_6TensorERKS5_S8_T1_EUldhE_EEvRNS_18TensorIteratorBaseERKT_EUlibE_EEviS9_,@function
_ZN2at6native32elementwise_kernel_manual_unrollILi128ELi4EZNS0_22gpu_kernel_impl_nocastIZNS0_12_GLOBAL__N_119masked_scale_kernelIhddEEvRNS_6TensorERKS5_S8_T1_EUldhE_EEvRNS_18TensorIteratorBaseERKT_EUlibE_EEviS9_: ; @_ZN2at6native32elementwise_kernel_manual_unrollILi128ELi4EZNS0_22gpu_kernel_impl_nocastIZNS0_12_GLOBAL__N_119masked_scale_kernelIhddEEvRNS_6TensorERKS5_S8_T1_EUldhE_EEvRNS_18TensorIteratorBaseERKT_EUlibE_EEviS9_
; %bb.0:
	s_clause 0x1
	s_load_b32 s24, s[0:1], 0x8
	s_load_b32 s30, s[0:1], 0x0
	v_lshl_or_b32 v6, s15, 9, v0
	s_or_b32 s0, s0, 8
	s_mov_b32 s2, exec_lo
	s_delay_alu instid0(VALU_DEP_1) | instskip(SKIP_2) | instid1(SALU_CYCLE_1)
	v_or_b32_e32 v12, 0x180, v6
	s_waitcnt lgkmcnt(0)
	s_add_i32 s25, s24, -1
	s_cmp_gt_u32 s25, 1
	s_cselect_b32 s26, -1, 0
	v_cmpx_le_i32_e64 s30, v12
	s_xor_b32 s27, exec_lo, s2
	s_cbranch_execz .LBB149_8
; %bb.1:
	s_clause 0x4
	s_load_b128 s[16:19], s[0:1], 0x4
	s_load_b64 s[20:21], s[0:1], 0x14
	s_load_b128 s[12:15], s[0:1], 0xc4
	s_load_b64 s[2:3], s[0:1], 0xd4
	s_load_b256 s[4:11], s[0:1], 0x188
	s_cmp_lg_u32 s24, 0
	s_mov_b32 s33, exec_lo
	s_cselect_b32 s31, -1, 0
	s_min_u32 s29, s25, 15
	s_cmp_gt_u32 s24, 1
	s_cselect_b32 s28, -1, 0
	v_cmpx_gt_i32_e64 s30, v6
	s_cbranch_execz .LBB149_15
; %bb.2:
	s_and_not1_b32 vcc_lo, exec_lo, s26
	s_cbranch_vccnz .LBB149_57
; %bb.3:
	v_dual_mov_b32 v0, 0 :: v_dual_mov_b32 v1, 0
	v_mov_b32_e32 v2, 0
	s_and_not1_b32 vcc_lo, exec_lo, s31
	s_mov_b32 s34, 0
	s_cbranch_vccnz .LBB149_58
; %bb.4:
	s_add_i32 s22, s29, 1
	v_dual_mov_b32 v1, 0 :: v_dual_mov_b32 v2, 0
	v_dual_mov_b32 v0, 0 :: v_dual_mov_b32 v3, v6
	s_and_b32 s35, s22, 30
	s_add_u32 s22, s0, 0xffffffec
	s_addc_u32 s23, s1, -1
	s_set_inst_prefetch_distance 0x1
	.p2align	6
.LBB149_5:                              ; =>This Inner Loop Header: Depth=1
	s_clause 0x2
	s_load_b128 s[36:39], s[22:23], 0x18
	s_load_b64 s[44:45], s[22:23], 0x28
	s_load_b128 s[40:43], s[22:23], 0xd8
	s_waitcnt lgkmcnt(0)
	v_mul_hi_u32 v4, s37, v3
	s_delay_alu instid0(VALU_DEP_1) | instskip(NEXT) | instid1(VALU_DEP_1)
	v_add_nc_u32_e32 v4, v3, v4
	v_lshrrev_b32_e32 v4, s38, v4
	s_delay_alu instid0(VALU_DEP_1)
	v_mul_hi_u32 v5, s44, v4
	v_mul_lo_u32 v7, v4, s36
	s_load_b64 s[36:37], s[22:23], 0xe8
	s_add_u32 s22, s22, 24
	s_addc_u32 s23, s23, 0
	s_add_i32 s35, s35, -2
	s_delay_alu instid0(SALU_CYCLE_1) | instskip(NEXT) | instid1(VALU_DEP_2)
	s_cmp_lg_u32 s35, 0
	v_add_nc_u32_e32 v5, v4, v5
	s_delay_alu instid0(VALU_DEP_2) | instskip(NEXT) | instid1(VALU_DEP_2)
	v_sub_nc_u32_e32 v7, v3, v7
	v_lshrrev_b32_e32 v3, s45, v5
	s_delay_alu instid0(VALU_DEP_2) | instskip(NEXT) | instid1(VALU_DEP_2)
	v_mul_lo_u32 v8, v7, s40
	v_mul_lo_u32 v5, v3, s39
	s_delay_alu instid0(VALU_DEP_1) | instskip(SKIP_2) | instid1(VALU_DEP_3)
	v_sub_nc_u32_e32 v4, v4, v5
	v_mul_lo_u32 v5, v7, s41
	v_mul_lo_u32 v7, v7, s42
	v_mul_lo_u32 v9, v4, s43
	s_waitcnt lgkmcnt(0)
	v_mul_lo_u32 v10, v4, s36
	v_mul_lo_u32 v4, v4, s37
	s_delay_alu instid0(VALU_DEP_3) | instskip(NEXT) | instid1(VALU_DEP_3)
	v_add3_u32 v0, v8, v0, v9
	v_add3_u32 v2, v5, v2, v10
	s_delay_alu instid0(VALU_DEP_3)
	v_add3_u32 v1, v7, v1, v4
	s_cbranch_scc1 .LBB149_5
; %bb.6:
	s_set_inst_prefetch_distance 0x2
	s_bitcmp1_b32 s29, 0
	s_cselect_b32 s35, -1, 0
	s_delay_alu instid0(SALU_CYCLE_1)
	s_and_b32 vcc_lo, exec_lo, s35
	s_cbranch_vccnz .LBB149_58
; %bb.7:
	s_clause 0x3
	s_load_b64 s[36:37], s[22:23], 0x18
	s_load_b32 s35, s[22:23], 0x20
	s_load_b64 s[38:39], s[22:23], 0xd8
	s_load_b32 s22, s[22:23], 0xe0
	s_waitcnt lgkmcnt(0)
	v_mul_hi_u32 v4, s37, v3
	s_delay_alu instid0(VALU_DEP_1) | instskip(NEXT) | instid1(VALU_DEP_1)
	v_add_nc_u32_e32 v4, v3, v4
	v_lshrrev_b32_e32 v4, s35, v4
	s_delay_alu instid0(VALU_DEP_1) | instskip(NEXT) | instid1(VALU_DEP_1)
	v_mul_lo_u32 v4, v4, s36
	v_sub_nc_u32_e32 v9, v3, v4
	s_delay_alu instid0(VALU_DEP_1) | instskip(SKIP_1) | instid1(VALU_DEP_2)
	v_mad_u64_u32 v[3:4], null, v9, s38, v[0:1]
	v_mad_u64_u32 v[7:8], null, v9, s22, v[1:2]
	;; [unrolled: 1-line block ×3, first 2 shown]
	v_mov_b32_e32 v0, v3
	s_delay_alu instid0(VALU_DEP_2)
	v_dual_mov_b32 v1, v7 :: v_dual_mov_b32 v2, v4
	s_branch .LBB149_58
.LBB149_8:
	s_and_not1_saveexec_b32 s2, s27
	s_cbranch_execz .LBB149_76
.LBB149_9:
	v_cndmask_b32_e64 v9, 0, 1, s26
	s_and_not1_b32 vcc_lo, exec_lo, s26
	s_cbranch_vccnz .LBB149_22
; %bb.10:
	v_dual_mov_b32 v0, 0 :: v_dual_mov_b32 v1, 0
	v_mov_b32_e32 v2, 0
	s_cmp_lg_u32 s24, 0
	s_mov_b32 s4, 0
	s_cbranch_scc0 .LBB149_23
; %bb.11:
	s_min_u32 s5, s25, 15
	v_dual_mov_b32 v2, 0 :: v_dual_mov_b32 v1, 0
	s_add_i32 s2, s5, 1
	v_dual_mov_b32 v0, 0 :: v_dual_mov_b32 v3, v6
	s_and_b32 s6, s2, 30
	s_add_u32 s2, s0, 0xffffffec
	s_addc_u32 s3, s1, -1
	s_set_inst_prefetch_distance 0x1
	.p2align	6
.LBB149_12:                             ; =>This Inner Loop Header: Depth=1
	s_clause 0x2
	s_load_b128 s[8:11], s[2:3], 0x18
	s_load_b64 s[16:17], s[2:3], 0x28
	s_load_b128 s[12:15], s[2:3], 0xd8
	s_waitcnt lgkmcnt(0)
	v_mul_hi_u32 v4, s9, v3
	s_delay_alu instid0(VALU_DEP_1) | instskip(NEXT) | instid1(VALU_DEP_1)
	v_add_nc_u32_e32 v4, v3, v4
	v_lshrrev_b32_e32 v4, s10, v4
	s_delay_alu instid0(VALU_DEP_1)
	v_mul_hi_u32 v5, s16, v4
	v_mul_lo_u32 v7, v4, s8
	s_load_b64 s[8:9], s[2:3], 0xe8
	s_add_u32 s2, s2, 24
	s_addc_u32 s3, s3, 0
	s_add_i32 s6, s6, -2
	s_delay_alu instid0(SALU_CYCLE_1) | instskip(NEXT) | instid1(VALU_DEP_2)
	s_cmp_lg_u32 s6, 0
	v_add_nc_u32_e32 v5, v4, v5
	s_delay_alu instid0(VALU_DEP_2) | instskip(NEXT) | instid1(VALU_DEP_2)
	v_sub_nc_u32_e32 v7, v3, v7
	v_lshrrev_b32_e32 v3, s17, v5
	s_delay_alu instid0(VALU_DEP_2) | instskip(NEXT) | instid1(VALU_DEP_2)
	v_mul_lo_u32 v8, v7, s12
	v_mul_lo_u32 v5, v3, s11
	s_delay_alu instid0(VALU_DEP_1) | instskip(SKIP_2) | instid1(VALU_DEP_3)
	v_sub_nc_u32_e32 v4, v4, v5
	v_mul_lo_u32 v5, v7, s13
	v_mul_lo_u32 v7, v7, s14
	;; [unrolled: 1-line block ×3, first 2 shown]
	s_waitcnt lgkmcnt(0)
	v_mul_lo_u32 v11, v4, s8
	v_mul_lo_u32 v4, v4, s9
	s_delay_alu instid0(VALU_DEP_3) | instskip(NEXT) | instid1(VALU_DEP_3)
	v_add3_u32 v0, v8, v0, v10
	v_add3_u32 v1, v5, v1, v11
	s_delay_alu instid0(VALU_DEP_3)
	v_add3_u32 v2, v7, v2, v4
	s_cbranch_scc1 .LBB149_12
; %bb.13:
	s_set_inst_prefetch_distance 0x2
	s_bitcmp1_b32 s5, 0
	s_cselect_b32 s5, -1, 0
	s_delay_alu instid0(SALU_CYCLE_1)
	s_and_b32 vcc_lo, exec_lo, s5
	s_cbranch_vccnz .LBB149_23
; %bb.14:
	s_clause 0x3
	s_load_b64 s[6:7], s[2:3], 0x18
	s_load_b32 s5, s[2:3], 0x20
	s_load_b64 s[8:9], s[2:3], 0xd8
	s_load_b32 s2, s[2:3], 0xe0
	s_waitcnt lgkmcnt(0)
	v_mul_hi_u32 v4, s7, v3
	s_delay_alu instid0(VALU_DEP_1) | instskip(NEXT) | instid1(VALU_DEP_1)
	v_add_nc_u32_e32 v4, v3, v4
	v_lshrrev_b32_e32 v4, s5, v4
	s_delay_alu instid0(VALU_DEP_1) | instskip(NEXT) | instid1(VALU_DEP_1)
	v_mul_lo_u32 v4, v4, s6
	v_sub_nc_u32_e32 v10, v3, v4
	s_delay_alu instid0(VALU_DEP_1) | instskip(SKIP_1) | instid1(VALU_DEP_2)
	v_mad_u64_u32 v[3:4], null, v10, s8, v[0:1]
	v_mad_u64_u32 v[4:5], null, v10, s9, v[1:2]
	;; [unrolled: 1-line block ×3, first 2 shown]
	s_delay_alu instid0(VALU_DEP_2) | instskip(NEXT) | instid1(VALU_DEP_2)
	v_dual_mov_b32 v0, v3 :: v_dual_mov_b32 v1, v4
	v_mov_b32_e32 v2, v7
	s_branch .LBB149_23
.LBB149_15:
	s_or_b32 exec_lo, exec_lo, s33
	s_delay_alu instid0(SALU_CYCLE_1)
	s_mov_b32 s33, exec_lo
	v_cmpx_gt_i32_e64 s30, v6
	s_cbranch_execz .LBB149_62
.LBB149_16:
	s_and_not1_b32 vcc_lo, exec_lo, s26
	s_cbranch_vccnz .LBB149_69
; %bb.17:
	v_dual_mov_b32 v0, 0 :: v_dual_mov_b32 v1, 0
	v_mov_b32_e32 v2, 0
	s_and_not1_b32 vcc_lo, exec_lo, s31
	s_mov_b32 s34, 0
	s_cbranch_vccnz .LBB149_70
; %bb.18:
	s_add_i32 s22, s29, 1
	v_dual_mov_b32 v1, 0 :: v_dual_mov_b32 v2, 0
	v_dual_mov_b32 v0, 0 :: v_dual_mov_b32 v3, v6
	s_and_b32 s35, s22, 30
	s_add_u32 s22, s0, 0xffffffec
	s_addc_u32 s23, s1, -1
	s_set_inst_prefetch_distance 0x1
	.p2align	6
.LBB149_19:                             ; =>This Inner Loop Header: Depth=1
	s_clause 0x2
	s_load_b128 s[36:39], s[22:23], 0x18
	s_load_b64 s[44:45], s[22:23], 0x28
	s_load_b128 s[40:43], s[22:23], 0xd8
	s_waitcnt lgkmcnt(0)
	v_mul_hi_u32 v4, s37, v3
	s_delay_alu instid0(VALU_DEP_1) | instskip(NEXT) | instid1(VALU_DEP_1)
	v_add_nc_u32_e32 v4, v3, v4
	v_lshrrev_b32_e32 v4, s38, v4
	s_delay_alu instid0(VALU_DEP_1)
	v_mul_hi_u32 v5, s44, v4
	v_mul_lo_u32 v7, v4, s36
	s_load_b64 s[36:37], s[22:23], 0xe8
	s_add_u32 s22, s22, 24
	s_addc_u32 s23, s23, 0
	s_add_i32 s35, s35, -2
	s_delay_alu instid0(SALU_CYCLE_1) | instskip(NEXT) | instid1(VALU_DEP_2)
	s_cmp_eq_u32 s35, 0
	v_add_nc_u32_e32 v5, v4, v5
	s_delay_alu instid0(VALU_DEP_2) | instskip(NEXT) | instid1(VALU_DEP_2)
	v_sub_nc_u32_e32 v7, v3, v7
	v_lshrrev_b32_e32 v3, s45, v5
	s_delay_alu instid0(VALU_DEP_2) | instskip(NEXT) | instid1(VALU_DEP_2)
	v_mul_lo_u32 v8, v7, s40
	v_mul_lo_u32 v5, v3, s39
	s_delay_alu instid0(VALU_DEP_1) | instskip(SKIP_2) | instid1(VALU_DEP_3)
	v_sub_nc_u32_e32 v4, v4, v5
	v_mul_lo_u32 v5, v7, s41
	v_mul_lo_u32 v7, v7, s42
	;; [unrolled: 1-line block ×3, first 2 shown]
	s_waitcnt lgkmcnt(0)
	v_mul_lo_u32 v10, v4, s36
	v_mul_lo_u32 v4, v4, s37
	s_delay_alu instid0(VALU_DEP_3) | instskip(NEXT) | instid1(VALU_DEP_3)
	v_add3_u32 v0, v8, v0, v9
	v_add3_u32 v2, v5, v2, v10
	s_delay_alu instid0(VALU_DEP_3)
	v_add3_u32 v1, v7, v1, v4
	s_cbranch_scc0 .LBB149_19
; %bb.20:
	s_set_inst_prefetch_distance 0x2
	s_bitcmp1_b32 s29, 0
	s_cselect_b32 s35, -1, 0
	s_delay_alu instid0(SALU_CYCLE_1)
	s_and_b32 vcc_lo, exec_lo, s35
	s_cbranch_vccnz .LBB149_70
; %bb.21:
	s_clause 0x3
	s_load_b64 s[36:37], s[22:23], 0x18
	s_load_b32 s35, s[22:23], 0x20
	s_load_b64 s[38:39], s[22:23], 0xd8
	s_load_b32 s22, s[22:23], 0xe0
	s_waitcnt lgkmcnt(0)
	v_mul_hi_u32 v4, s37, v3
	s_delay_alu instid0(VALU_DEP_1) | instskip(NEXT) | instid1(VALU_DEP_1)
	v_add_nc_u32_e32 v4, v3, v4
	v_lshrrev_b32_e32 v4, s35, v4
	s_delay_alu instid0(VALU_DEP_1) | instskip(NEXT) | instid1(VALU_DEP_1)
	v_mul_lo_u32 v4, v4, s36
	v_sub_nc_u32_e32 v9, v3, v4
	s_delay_alu instid0(VALU_DEP_1) | instskip(SKIP_1) | instid1(VALU_DEP_2)
	v_mad_u64_u32 v[3:4], null, v9, s38, v[0:1]
	v_mad_u64_u32 v[7:8], null, v9, s22, v[1:2]
	;; [unrolled: 1-line block ×3, first 2 shown]
	v_mov_b32_e32 v0, v3
	s_delay_alu instid0(VALU_DEP_2)
	v_dual_mov_b32 v1, v7 :: v_dual_mov_b32 v2, v4
	s_branch .LBB149_70
.LBB149_22:
	s_mov_b32 s4, -1
                                        ; implicit-def: $vgpr0
                                        ; implicit-def: $vgpr1
                                        ; implicit-def: $vgpr2
.LBB149_23:
	s_delay_alu instid0(SALU_CYCLE_1)
	s_and_not1_b32 vcc_lo, exec_lo, s4
	s_cbranch_vccnz .LBB149_26
; %bb.24:
	s_clause 0x1
	s_load_b128 s[4:7], s[0:1], 0x4
	s_load_b128 s[8:11], s[0:1], 0xc4
	s_cmp_lt_u32 s24, 2
	s_waitcnt lgkmcnt(0)
	v_mul_hi_u32 v0, s5, v6
	s_delay_alu instid0(VALU_DEP_1) | instskip(NEXT) | instid1(VALU_DEP_1)
	v_add_nc_u32_e32 v0, v6, v0
	v_lshrrev_b32_e32 v3, s6, v0
	s_delay_alu instid0(VALU_DEP_1) | instskip(NEXT) | instid1(VALU_DEP_1)
	v_mul_lo_u32 v0, v3, s4
	v_sub_nc_u32_e32 v2, v6, v0
	s_delay_alu instid0(VALU_DEP_1)
	v_mul_lo_u32 v0, v2, s8
	v_mul_lo_u32 v1, v2, s9
	;; [unrolled: 1-line block ×3, first 2 shown]
	s_cbranch_scc1 .LBB149_26
; %bb.25:
	s_clause 0x1
	s_load_b128 s[4:7], s[0:1], 0x10
	s_load_b128 s[8:11], s[0:1], 0xd0
	s_waitcnt lgkmcnt(0)
	v_mul_hi_u32 v4, s5, v3
	s_delay_alu instid0(VALU_DEP_1) | instskip(NEXT) | instid1(VALU_DEP_1)
	v_add_nc_u32_e32 v4, v3, v4
	v_lshrrev_b32_e32 v4, s6, v4
	s_delay_alu instid0(VALU_DEP_1) | instskip(NEXT) | instid1(VALU_DEP_1)
	v_mul_lo_u32 v4, v4, s4
	v_sub_nc_u32_e32 v10, v3, v4
	s_delay_alu instid0(VALU_DEP_1) | instskip(SKIP_1) | instid1(VALU_DEP_2)
	v_mad_u64_u32 v[3:4], null, v10, s8, v[0:1]
	v_mad_u64_u32 v[4:5], null, v10, s9, v[1:2]
	;; [unrolled: 1-line block ×3, first 2 shown]
	s_delay_alu instid0(VALU_DEP_2) | instskip(NEXT) | instid1(VALU_DEP_2)
	v_dual_mov_b32 v0, v3 :: v_dual_mov_b32 v1, v4
	v_mov_b32_e32 v2, v7
.LBB149_26:
	v_cmp_ne_u32_e32 vcc_lo, 1, v9
	v_add_nc_u32_e32 v7, 0x80, v6
	s_cbranch_vccnz .LBB149_32
; %bb.27:
	v_dual_mov_b32 v3, 0 :: v_dual_mov_b32 v4, 0
	v_mov_b32_e32 v5, 0
	s_cmp_lg_u32 s24, 0
	s_mov_b32 s4, 0
	s_cbranch_scc0 .LBB149_33
; %bb.28:
	s_min_u32 s5, s25, 15
	v_dual_mov_b32 v5, 0 :: v_dual_mov_b32 v4, 0
	s_add_i32 s2, s5, 1
	v_dual_mov_b32 v3, 0 :: v_dual_mov_b32 v8, v7
	s_and_b32 s6, s2, 30
	s_add_u32 s2, s0, 0xffffffec
	s_addc_u32 s3, s1, -1
	s_set_inst_prefetch_distance 0x1
	.p2align	6
.LBB149_29:                             ; =>This Inner Loop Header: Depth=1
	s_clause 0x2
	s_load_b128 s[8:11], s[2:3], 0x18
	s_load_b64 s[16:17], s[2:3], 0x28
	s_load_b128 s[12:15], s[2:3], 0xd8
	s_waitcnt lgkmcnt(0)
	v_mul_hi_u32 v10, s9, v8
	s_delay_alu instid0(VALU_DEP_1) | instskip(NEXT) | instid1(VALU_DEP_1)
	v_add_nc_u32_e32 v10, v8, v10
	v_lshrrev_b32_e32 v10, s10, v10
	s_delay_alu instid0(VALU_DEP_1)
	v_mul_hi_u32 v11, s16, v10
	v_mul_lo_u32 v13, v10, s8
	s_load_b64 s[8:9], s[2:3], 0xe8
	s_add_u32 s2, s2, 24
	s_addc_u32 s3, s3, 0
	s_add_i32 s6, s6, -2
	s_delay_alu instid0(SALU_CYCLE_1) | instskip(NEXT) | instid1(VALU_DEP_2)
	s_cmp_lg_u32 s6, 0
	v_add_nc_u32_e32 v11, v10, v11
	s_delay_alu instid0(VALU_DEP_2) | instskip(NEXT) | instid1(VALU_DEP_2)
	v_sub_nc_u32_e32 v13, v8, v13
	v_lshrrev_b32_e32 v8, s17, v11
	s_delay_alu instid0(VALU_DEP_2) | instskip(NEXT) | instid1(VALU_DEP_2)
	v_mul_lo_u32 v14, v13, s12
	v_mul_lo_u32 v11, v8, s11
	s_delay_alu instid0(VALU_DEP_1) | instskip(SKIP_2) | instid1(VALU_DEP_3)
	v_sub_nc_u32_e32 v10, v10, v11
	v_mul_lo_u32 v11, v13, s13
	v_mul_lo_u32 v13, v13, s14
	;; [unrolled: 1-line block ×3, first 2 shown]
	s_waitcnt lgkmcnt(0)
	v_mul_lo_u32 v16, v10, s8
	v_mul_lo_u32 v10, v10, s9
	s_delay_alu instid0(VALU_DEP_3) | instskip(NEXT) | instid1(VALU_DEP_3)
	v_add3_u32 v3, v14, v3, v15
	v_add3_u32 v4, v11, v4, v16
	s_delay_alu instid0(VALU_DEP_3)
	v_add3_u32 v5, v13, v5, v10
	s_cbranch_scc1 .LBB149_29
; %bb.30:
	s_set_inst_prefetch_distance 0x2
	s_bitcmp1_b32 s5, 0
	s_cselect_b32 s5, -1, 0
	s_delay_alu instid0(SALU_CYCLE_1)
	s_and_b32 vcc_lo, exec_lo, s5
	s_cbranch_vccnz .LBB149_33
; %bb.31:
	s_clause 0x3
	s_load_b64 s[6:7], s[2:3], 0x18
	s_load_b32 s5, s[2:3], 0x20
	s_load_b64 s[8:9], s[2:3], 0xd8
	s_load_b32 s2, s[2:3], 0xe0
	s_waitcnt lgkmcnt(0)
	v_mul_hi_u32 v10, s7, v8
	s_delay_alu instid0(VALU_DEP_1) | instskip(NEXT) | instid1(VALU_DEP_1)
	v_add_nc_u32_e32 v10, v8, v10
	v_lshrrev_b32_e32 v10, s5, v10
	s_delay_alu instid0(VALU_DEP_1) | instskip(NEXT) | instid1(VALU_DEP_1)
	v_mul_lo_u32 v10, v10, s6
	v_sub_nc_u32_e32 v8, v8, v10
	s_delay_alu instid0(VALU_DEP_1) | instskip(SKIP_2) | instid1(VALU_DEP_2)
	v_mad_u64_u32 v[13:14], null, v8, s9, v[4:5]
	v_mad_u64_u32 v[10:11], null, v8, s8, v[3:4]
	;; [unrolled: 1-line block ×3, first 2 shown]
	v_dual_mov_b32 v4, v13 :: v_dual_mov_b32 v3, v10
	s_delay_alu instid0(VALU_DEP_2)
	v_mov_b32_e32 v5, v14
	s_branch .LBB149_33
.LBB149_32:
	s_mov_b32 s4, -1
                                        ; implicit-def: $vgpr3
                                        ; implicit-def: $vgpr4
                                        ; implicit-def: $vgpr5
.LBB149_33:
	s_delay_alu instid0(SALU_CYCLE_1)
	s_and_not1_b32 vcc_lo, exec_lo, s4
	s_cbranch_vccnz .LBB149_36
; %bb.34:
	s_clause 0x1
	s_load_b128 s[4:7], s[0:1], 0x4
	s_load_b128 s[8:11], s[0:1], 0xc4
	s_cmp_lt_u32 s24, 2
	s_waitcnt lgkmcnt(0)
	v_mul_hi_u32 v3, s5, v7
	s_delay_alu instid0(VALU_DEP_1) | instskip(NEXT) | instid1(VALU_DEP_1)
	v_add_nc_u32_e32 v3, v7, v3
	v_lshrrev_b32_e32 v8, s6, v3
	s_delay_alu instid0(VALU_DEP_1) | instskip(NEXT) | instid1(VALU_DEP_1)
	v_mul_lo_u32 v3, v8, s4
	v_sub_nc_u32_e32 v5, v7, v3
	s_delay_alu instid0(VALU_DEP_1)
	v_mul_lo_u32 v3, v5, s8
	v_mul_lo_u32 v4, v5, s9
	;; [unrolled: 1-line block ×3, first 2 shown]
	s_cbranch_scc1 .LBB149_36
; %bb.35:
	s_clause 0x1
	s_load_b128 s[4:7], s[0:1], 0x10
	s_load_b128 s[8:11], s[0:1], 0xd0
	s_waitcnt lgkmcnt(0)
	v_mul_hi_u32 v7, s5, v8
	s_delay_alu instid0(VALU_DEP_1) | instskip(NEXT) | instid1(VALU_DEP_1)
	v_add_nc_u32_e32 v7, v8, v7
	v_lshrrev_b32_e32 v7, s6, v7
	s_delay_alu instid0(VALU_DEP_1) | instskip(NEXT) | instid1(VALU_DEP_1)
	v_mul_lo_u32 v7, v7, s4
	v_sub_nc_u32_e32 v15, v8, v7
	s_delay_alu instid0(VALU_DEP_1) | instskip(SKIP_2) | instid1(VALU_DEP_2)
	v_mad_u64_u32 v[7:8], null, v15, s8, v[3:4]
	v_mad_u64_u32 v[10:11], null, v15, s9, v[4:5]
	;; [unrolled: 1-line block ×3, first 2 shown]
	v_dual_mov_b32 v3, v7 :: v_dual_mov_b32 v4, v10
	s_delay_alu instid0(VALU_DEP_2)
	v_mov_b32_e32 v5, v13
.LBB149_36:
	v_cmp_ne_u32_e32 vcc_lo, 1, v9
	v_add_nc_u32_e32 v10, 0x100, v6
	s_cbranch_vccnz .LBB149_42
; %bb.37:
	v_dual_mov_b32 v6, 0 :: v_dual_mov_b32 v7, 0
	v_mov_b32_e32 v8, 0
	s_cmp_lg_u32 s24, 0
	s_mov_b32 s4, 0
	s_cbranch_scc0 .LBB149_43
; %bb.38:
	s_min_u32 s5, s25, 15
	v_dual_mov_b32 v8, 0 :: v_dual_mov_b32 v7, 0
	s_add_i32 s2, s5, 1
	v_dual_mov_b32 v6, 0 :: v_dual_mov_b32 v11, v10
	s_and_b32 s6, s2, 30
	s_add_u32 s2, s0, 0xffffffec
	s_addc_u32 s3, s1, -1
	s_set_inst_prefetch_distance 0x1
	.p2align	6
.LBB149_39:                             ; =>This Inner Loop Header: Depth=1
	s_clause 0x2
	s_load_b128 s[8:11], s[2:3], 0x18
	s_load_b64 s[16:17], s[2:3], 0x28
	s_load_b128 s[12:15], s[2:3], 0xd8
	s_waitcnt lgkmcnt(0)
	v_mul_hi_u32 v13, s9, v11
	s_delay_alu instid0(VALU_DEP_1) | instskip(NEXT) | instid1(VALU_DEP_1)
	v_add_nc_u32_e32 v13, v11, v13
	v_lshrrev_b32_e32 v13, s10, v13
	s_delay_alu instid0(VALU_DEP_1)
	v_mul_hi_u32 v14, s16, v13
	v_mul_lo_u32 v15, v13, s8
	s_load_b64 s[8:9], s[2:3], 0xe8
	s_add_u32 s2, s2, 24
	s_addc_u32 s3, s3, 0
	s_add_i32 s6, s6, -2
	s_delay_alu instid0(SALU_CYCLE_1) | instskip(NEXT) | instid1(VALU_DEP_2)
	s_cmp_lg_u32 s6, 0
	v_add_nc_u32_e32 v14, v13, v14
	s_delay_alu instid0(VALU_DEP_2) | instskip(NEXT) | instid1(VALU_DEP_2)
	v_sub_nc_u32_e32 v15, v11, v15
	v_lshrrev_b32_e32 v11, s17, v14
	s_delay_alu instid0(VALU_DEP_2) | instskip(NEXT) | instid1(VALU_DEP_2)
	v_mul_lo_u32 v16, v15, s12
	v_mul_lo_u32 v14, v11, s11
	s_delay_alu instid0(VALU_DEP_1) | instskip(SKIP_2) | instid1(VALU_DEP_3)
	v_sub_nc_u32_e32 v13, v13, v14
	v_mul_lo_u32 v14, v15, s13
	v_mul_lo_u32 v15, v15, s14
	;; [unrolled: 1-line block ×3, first 2 shown]
	s_waitcnt lgkmcnt(0)
	v_mul_lo_u32 v18, v13, s8
	v_mul_lo_u32 v13, v13, s9
	s_delay_alu instid0(VALU_DEP_3) | instskip(NEXT) | instid1(VALU_DEP_3)
	v_add3_u32 v6, v16, v6, v17
	v_add3_u32 v7, v14, v7, v18
	s_delay_alu instid0(VALU_DEP_3)
	v_add3_u32 v8, v15, v8, v13
	s_cbranch_scc1 .LBB149_39
; %bb.40:
	s_set_inst_prefetch_distance 0x2
	s_bitcmp1_b32 s5, 0
	s_cselect_b32 s5, -1, 0
	s_delay_alu instid0(SALU_CYCLE_1)
	s_and_b32 vcc_lo, exec_lo, s5
	s_cbranch_vccnz .LBB149_43
; %bb.41:
	s_clause 0x3
	s_load_b64 s[6:7], s[2:3], 0x18
	s_load_b32 s5, s[2:3], 0x20
	s_load_b64 s[8:9], s[2:3], 0xd8
	s_load_b32 s2, s[2:3], 0xe0
	s_waitcnt lgkmcnt(0)
	v_mul_hi_u32 v13, s7, v11
	s_delay_alu instid0(VALU_DEP_1) | instskip(NEXT) | instid1(VALU_DEP_1)
	v_add_nc_u32_e32 v13, v11, v13
	v_lshrrev_b32_e32 v13, s5, v13
	s_delay_alu instid0(VALU_DEP_1) | instskip(NEXT) | instid1(VALU_DEP_1)
	v_mul_lo_u32 v13, v13, s6
	v_sub_nc_u32_e32 v11, v11, v13
	s_delay_alu instid0(VALU_DEP_1) | instskip(SKIP_2) | instid1(VALU_DEP_2)
	v_mad_u64_u32 v[13:14], null, v11, s8, v[6:7]
	v_mad_u64_u32 v[14:15], null, v11, s9, v[7:8]
	;; [unrolled: 1-line block ×3, first 2 shown]
	v_dual_mov_b32 v6, v13 :: v_dual_mov_b32 v7, v14
	s_delay_alu instid0(VALU_DEP_2)
	v_mov_b32_e32 v8, v15
	s_branch .LBB149_43
.LBB149_42:
	s_mov_b32 s4, -1
                                        ; implicit-def: $vgpr6
                                        ; implicit-def: $vgpr7
                                        ; implicit-def: $vgpr8
.LBB149_43:
	s_delay_alu instid0(SALU_CYCLE_1)
	s_and_not1_b32 vcc_lo, exec_lo, s4
	s_cbranch_vccnz .LBB149_46
; %bb.44:
	s_clause 0x1
	s_load_b128 s[4:7], s[0:1], 0x4
	s_load_b128 s[8:11], s[0:1], 0xc4
	s_cmp_lt_u32 s24, 2
	s_waitcnt lgkmcnt(0)
	v_mul_hi_u32 v6, s5, v10
	s_delay_alu instid0(VALU_DEP_1) | instskip(NEXT) | instid1(VALU_DEP_1)
	v_add_nc_u32_e32 v6, v10, v6
	v_lshrrev_b32_e32 v11, s6, v6
	s_delay_alu instid0(VALU_DEP_1) | instskip(NEXT) | instid1(VALU_DEP_1)
	v_mul_lo_u32 v6, v11, s4
	v_sub_nc_u32_e32 v8, v10, v6
	s_delay_alu instid0(VALU_DEP_1)
	v_mul_lo_u32 v6, v8, s8
	v_mul_lo_u32 v7, v8, s9
	;; [unrolled: 1-line block ×3, first 2 shown]
	s_cbranch_scc1 .LBB149_46
; %bb.45:
	s_clause 0x1
	s_load_b128 s[4:7], s[0:1], 0x10
	s_load_b128 s[8:11], s[0:1], 0xd0
	s_waitcnt lgkmcnt(0)
	v_mul_hi_u32 v10, s5, v11
	s_delay_alu instid0(VALU_DEP_1) | instskip(NEXT) | instid1(VALU_DEP_1)
	v_add_nc_u32_e32 v10, v11, v10
	v_lshrrev_b32_e32 v10, s6, v10
	s_delay_alu instid0(VALU_DEP_1) | instskip(NEXT) | instid1(VALU_DEP_1)
	v_mul_lo_u32 v10, v10, s4
	v_sub_nc_u32_e32 v16, v11, v10
	s_delay_alu instid0(VALU_DEP_1) | instskip(SKIP_2) | instid1(VALU_DEP_2)
	v_mad_u64_u32 v[13:14], null, v16, s9, v[7:8]
	v_mad_u64_u32 v[10:11], null, v16, s8, v[6:7]
	;; [unrolled: 1-line block ×3, first 2 shown]
	v_dual_mov_b32 v7, v13 :: v_dual_mov_b32 v6, v10
	s_delay_alu instid0(VALU_DEP_2)
	v_mov_b32_e32 v8, v14
.LBB149_46:
	v_cmp_ne_u32_e32 vcc_lo, 1, v9
	s_cbranch_vccnz .LBB149_52
; %bb.47:
	v_dual_mov_b32 v9, 0 :: v_dual_mov_b32 v10, 0
	v_mov_b32_e32 v11, 0
	s_cmp_lg_u32 s24, 0
	s_mov_b32 s4, 0
	s_cbranch_scc0 .LBB149_53
; %bb.48:
	s_min_u32 s5, s25, 15
	v_dual_mov_b32 v10, 0 :: v_dual_mov_b32 v11, 0
	s_add_i32 s2, s5, 1
	v_mov_b32_e32 v9, 0
	v_mov_b32_e32 v13, v12
	s_and_b32 s6, s2, 30
	s_add_u32 s2, s0, 0xffffffec
	s_addc_u32 s3, s1, -1
	s_set_inst_prefetch_distance 0x1
	.p2align	6
.LBB149_49:                             ; =>This Inner Loop Header: Depth=1
	s_clause 0x2
	s_load_b128 s[8:11], s[2:3], 0x18
	s_load_b64 s[16:17], s[2:3], 0x28
	s_load_b128 s[12:15], s[2:3], 0xd8
	s_waitcnt lgkmcnt(0)
	v_mul_hi_u32 v14, s9, v13
	s_delay_alu instid0(VALU_DEP_1) | instskip(NEXT) | instid1(VALU_DEP_1)
	v_add_nc_u32_e32 v14, v13, v14
	v_lshrrev_b32_e32 v14, s10, v14
	s_delay_alu instid0(VALU_DEP_1)
	v_mul_hi_u32 v15, s16, v14
	v_mul_lo_u32 v16, v14, s8
	s_load_b64 s[8:9], s[2:3], 0xe8
	s_add_u32 s2, s2, 24
	s_addc_u32 s3, s3, 0
	s_add_i32 s6, s6, -2
	s_delay_alu instid0(SALU_CYCLE_1) | instskip(NEXT) | instid1(VALU_DEP_2)
	s_cmp_lg_u32 s6, 0
	v_add_nc_u32_e32 v15, v14, v15
	s_delay_alu instid0(VALU_DEP_2) | instskip(NEXT) | instid1(VALU_DEP_2)
	v_sub_nc_u32_e32 v16, v13, v16
	v_lshrrev_b32_e32 v13, s17, v15
	s_delay_alu instid0(VALU_DEP_2) | instskip(NEXT) | instid1(VALU_DEP_2)
	v_mul_lo_u32 v17, v16, s12
	v_mul_lo_u32 v15, v13, s11
	s_delay_alu instid0(VALU_DEP_1) | instskip(SKIP_2) | instid1(VALU_DEP_3)
	v_sub_nc_u32_e32 v14, v14, v15
	v_mul_lo_u32 v15, v16, s13
	v_mul_lo_u32 v16, v16, s14
	;; [unrolled: 1-line block ×3, first 2 shown]
	s_waitcnt lgkmcnt(0)
	v_mul_lo_u32 v19, v14, s8
	v_mul_lo_u32 v14, v14, s9
	s_delay_alu instid0(VALU_DEP_3) | instskip(NEXT) | instid1(VALU_DEP_3)
	v_add3_u32 v9, v17, v9, v18
	v_add3_u32 v11, v15, v11, v19
	s_delay_alu instid0(VALU_DEP_3)
	v_add3_u32 v10, v16, v10, v14
	s_cbranch_scc1 .LBB149_49
; %bb.50:
	s_set_inst_prefetch_distance 0x2
	s_bitcmp1_b32 s5, 0
	s_cselect_b32 s5, -1, 0
	s_delay_alu instid0(SALU_CYCLE_1)
	s_and_b32 vcc_lo, exec_lo, s5
	s_cbranch_vccnz .LBB149_53
; %bb.51:
	s_clause 0x3
	s_load_b64 s[6:7], s[2:3], 0x18
	s_load_b32 s5, s[2:3], 0x20
	s_load_b64 s[8:9], s[2:3], 0xd8
	s_load_b32 s2, s[2:3], 0xe0
	s_waitcnt lgkmcnt(0)
	v_mul_hi_u32 v14, s7, v13
	s_delay_alu instid0(VALU_DEP_1) | instskip(NEXT) | instid1(VALU_DEP_1)
	v_add_nc_u32_e32 v14, v13, v14
	v_lshrrev_b32_e32 v14, s5, v14
	s_delay_alu instid0(VALU_DEP_1) | instskip(NEXT) | instid1(VALU_DEP_1)
	v_mul_lo_u32 v14, v14, s6
	v_sub_nc_u32_e32 v17, v13, v14
	s_delay_alu instid0(VALU_DEP_1) | instskip(SKIP_2) | instid1(VALU_DEP_3)
	v_mad_u64_u32 v[13:14], null, v17, s8, v[9:10]
	v_mad_u64_u32 v[14:15], null, v17, s9, v[11:12]
	;; [unrolled: 1-line block ×3, first 2 shown]
	v_mov_b32_e32 v9, v13
	s_delay_alu instid0(VALU_DEP_2)
	v_dual_mov_b32 v11, v14 :: v_dual_mov_b32 v10, v15
	s_branch .LBB149_53
.LBB149_52:
	s_mov_b32 s4, -1
                                        ; implicit-def: $vgpr9
                                        ; implicit-def: $vgpr11
                                        ; implicit-def: $vgpr10
.LBB149_53:
	s_delay_alu instid0(SALU_CYCLE_1)
	s_and_not1_b32 vcc_lo, exec_lo, s4
	s_cbranch_vccnz .LBB149_56
; %bb.54:
	s_clause 0x1
	s_load_b128 s[4:7], s[0:1], 0x4
	s_load_b128 s[8:11], s[0:1], 0xc4
	s_cmp_lt_u32 s24, 2
	s_waitcnt lgkmcnt(0)
	v_mul_hi_u32 v9, s5, v12
	s_delay_alu instid0(VALU_DEP_1) | instskip(NEXT) | instid1(VALU_DEP_1)
	v_add_nc_u32_e32 v9, v12, v9
	v_lshrrev_b32_e32 v13, s6, v9
	s_delay_alu instid0(VALU_DEP_1) | instskip(NEXT) | instid1(VALU_DEP_1)
	v_mul_lo_u32 v9, v13, s4
	v_sub_nc_u32_e32 v10, v12, v9
	s_delay_alu instid0(VALU_DEP_1)
	v_mul_lo_u32 v9, v10, s8
	v_mul_lo_u32 v11, v10, s9
	;; [unrolled: 1-line block ×3, first 2 shown]
	s_cbranch_scc1 .LBB149_56
; %bb.55:
	s_clause 0x1
	s_load_b128 s[4:7], s[0:1], 0x10
	s_load_b128 s[8:11], s[0:1], 0xd0
	s_waitcnt lgkmcnt(0)
	v_mul_hi_u32 v12, s5, v13
	s_delay_alu instid0(VALU_DEP_1) | instskip(NEXT) | instid1(VALU_DEP_1)
	v_add_nc_u32_e32 v12, v13, v12
	v_lshrrev_b32_e32 v12, s6, v12
	s_delay_alu instid0(VALU_DEP_1) | instskip(NEXT) | instid1(VALU_DEP_1)
	v_mul_lo_u32 v12, v12, s4
	v_sub_nc_u32_e32 v16, v13, v12
	s_delay_alu instid0(VALU_DEP_1) | instskip(NEXT) | instid1(VALU_DEP_1)
	v_mad_u64_u32 v[12:13], null, v16, s8, v[9:10]
	v_mad_u64_u32 v[13:14], null, v16, s9, v[11:12]
	v_mad_u64_u32 v[14:15], null, v16, s10, v[10:11]
	v_mov_b32_e32 v9, v12
	s_delay_alu instid0(VALU_DEP_2)
	v_dual_mov_b32 v11, v13 :: v_dual_mov_b32 v10, v14
.LBB149_56:
	s_load_b256 s[0:7], s[0:1], 0x188
	s_waitcnt lgkmcnt(0)
	s_clause 0x3
	global_load_u8 v12, v2, s[4:5]
	global_load_u8 v14, v5, s[4:5]
	global_load_u8 v16, v8, s[4:5]
	global_load_u8 v18, v10, s[4:5]
	s_clause 0x3
	global_load_b64 v[1:2], v1, s[2:3]
	global_load_b64 v[4:5], v4, s[2:3]
	;; [unrolled: 1-line block ×4, first 2 shown]
	s_waitcnt vmcnt(7)
	v_cvt_f64_u32_e32 v[12:13], v12
	s_waitcnt vmcnt(6)
	v_cvt_f64_u32_e32 v[14:15], v14
	;; [unrolled: 2-line block ×4, first 2 shown]
	s_waitcnt vmcnt(3)
	s_delay_alu instid0(VALU_DEP_4) | instskip(SKIP_1) | instid1(VALU_DEP_4)
	v_mul_f64 v[1:2], v[1:2], v[12:13]
	s_waitcnt vmcnt(2)
	v_mul_f64 v[4:5], v[4:5], v[14:15]
	s_waitcnt vmcnt(1)
	s_delay_alu instid0(VALU_DEP_4) | instskip(SKIP_1) | instid1(VALU_DEP_4)
	v_mul_f64 v[7:8], v[7:8], v[16:17]
	s_waitcnt vmcnt(0)
	v_mul_f64 v[10:11], v[10:11], v[18:19]
	s_delay_alu instid0(VALU_DEP_4) | instskip(NEXT) | instid1(VALU_DEP_4)
	v_mul_f64 v[1:2], s[6:7], v[1:2]
	v_mul_f64 v[4:5], s[6:7], v[4:5]
	s_delay_alu instid0(VALU_DEP_4) | instskip(NEXT) | instid1(VALU_DEP_4)
	v_mul_f64 v[7:8], s[6:7], v[7:8]
	v_mul_f64 v[10:11], s[6:7], v[10:11]
	s_clause 0x3
	global_store_b64 v0, v[1:2], s[0:1]
	global_store_b64 v3, v[4:5], s[0:1]
	global_store_b64 v6, v[7:8], s[0:1]
	global_store_b64 v9, v[10:11], s[0:1]
	s_nop 0
	s_sendmsg sendmsg(MSG_DEALLOC_VGPRS)
	s_endpgm
.LBB149_57:
	s_mov_b32 s34, -1
                                        ; implicit-def: $vgpr0
                                        ; implicit-def: $vgpr2
                                        ; implicit-def: $vgpr1
.LBB149_58:
	s_delay_alu instid0(SALU_CYCLE_1)
	s_and_not1_b32 vcc_lo, exec_lo, s34
	s_cbranch_vccnz .LBB149_61
; %bb.59:
	s_waitcnt lgkmcnt(0)
	v_mul_hi_u32 v0, s17, v6
	s_and_not1_b32 vcc_lo, exec_lo, s28
	s_delay_alu instid0(VALU_DEP_1) | instskip(NEXT) | instid1(VALU_DEP_1)
	v_add_nc_u32_e32 v0, v6, v0
	v_lshrrev_b32_e32 v3, s18, v0
	s_delay_alu instid0(VALU_DEP_1) | instskip(NEXT) | instid1(VALU_DEP_1)
	v_mul_lo_u32 v0, v3, s16
	v_sub_nc_u32_e32 v1, v6, v0
	s_delay_alu instid0(VALU_DEP_1)
	v_mul_lo_u32 v0, v1, s12
	v_mul_lo_u32 v2, v1, s13
	;; [unrolled: 1-line block ×3, first 2 shown]
	s_cbranch_vccnz .LBB149_61
; %bb.60:
	v_mul_hi_u32 v4, s20, v3
	s_delay_alu instid0(VALU_DEP_1) | instskip(NEXT) | instid1(VALU_DEP_1)
	v_add_nc_u32_e32 v4, v3, v4
	v_lshrrev_b32_e32 v4, s21, v4
	s_delay_alu instid0(VALU_DEP_1) | instskip(NEXT) | instid1(VALU_DEP_1)
	v_mul_lo_u32 v4, v4, s19
	v_sub_nc_u32_e32 v9, v3, v4
	s_delay_alu instid0(VALU_DEP_1) | instskip(SKIP_1) | instid1(VALU_DEP_2)
	v_mad_u64_u32 v[3:4], null, v9, s15, v[0:1]
	v_mad_u64_u32 v[7:8], null, v9, s3, v[1:2]
	;; [unrolled: 1-line block ×3, first 2 shown]
	v_mov_b32_e32 v0, v3
	s_delay_alu instid0(VALU_DEP_2)
	v_dual_mov_b32 v1, v7 :: v_dual_mov_b32 v2, v4
.LBB149_61:
	s_waitcnt lgkmcnt(0)
	global_load_u8 v3, v1, s[8:9]
	global_load_b64 v[1:2], v2, s[6:7]
	v_add_nc_u32_e32 v6, 0x80, v6
	s_waitcnt vmcnt(1)
	v_cvt_f64_u32_e32 v[3:4], v3
	s_waitcnt vmcnt(0)
	s_delay_alu instid0(VALU_DEP_1) | instskip(NEXT) | instid1(VALU_DEP_1)
	v_mul_f64 v[1:2], v[1:2], v[3:4]
	v_mul_f64 v[1:2], s[10:11], v[1:2]
	global_store_b64 v0, v[1:2], s[4:5]
	s_or_b32 exec_lo, exec_lo, s33
	s_delay_alu instid0(SALU_CYCLE_1)
	s_mov_b32 s33, exec_lo
	v_cmpx_gt_i32_e64 s30, v6
	s_cbranch_execnz .LBB149_16
.LBB149_62:
	s_or_b32 exec_lo, exec_lo, s33
	s_delay_alu instid0(SALU_CYCLE_1)
	s_mov_b32 s33, exec_lo
	v_cmpx_gt_i32_e64 s30, v6
	s_cbranch_execz .LBB149_74
.LBB149_63:
	s_and_not1_b32 vcc_lo, exec_lo, s26
	s_cbranch_vccnz .LBB149_77
; %bb.64:
	v_dual_mov_b32 v0, 0 :: v_dual_mov_b32 v1, 0
	v_mov_b32_e32 v2, 0
	s_and_not1_b32 vcc_lo, exec_lo, s31
	s_mov_b32 s34, 0
	s_cbranch_vccnz .LBB149_78
; %bb.65:
	s_add_i32 s22, s29, 1
	v_dual_mov_b32 v1, 0 :: v_dual_mov_b32 v2, 0
	v_dual_mov_b32 v0, 0 :: v_dual_mov_b32 v3, v6
	s_and_b32 s35, s22, 30
	s_add_u32 s22, s0, 0xffffffec
	s_addc_u32 s23, s1, -1
	s_set_inst_prefetch_distance 0x1
	.p2align	6
.LBB149_66:                             ; =>This Inner Loop Header: Depth=1
	s_clause 0x2
	s_load_b128 s[36:39], s[22:23], 0x18
	s_load_b64 s[44:45], s[22:23], 0x28
	s_load_b128 s[40:43], s[22:23], 0xd8
	s_waitcnt lgkmcnt(0)
	v_mul_hi_u32 v4, s37, v3
	s_delay_alu instid0(VALU_DEP_1) | instskip(NEXT) | instid1(VALU_DEP_1)
	v_add_nc_u32_e32 v4, v3, v4
	v_lshrrev_b32_e32 v4, s38, v4
	s_delay_alu instid0(VALU_DEP_1)
	v_mul_hi_u32 v5, s44, v4
	v_mul_lo_u32 v7, v4, s36
	s_load_b64 s[36:37], s[22:23], 0xe8
	s_add_u32 s22, s22, 24
	s_addc_u32 s23, s23, 0
	s_add_i32 s35, s35, -2
	s_delay_alu instid0(SALU_CYCLE_1) | instskip(NEXT) | instid1(VALU_DEP_2)
	s_cmp_eq_u32 s35, 0
	v_add_nc_u32_e32 v5, v4, v5
	s_delay_alu instid0(VALU_DEP_2) | instskip(NEXT) | instid1(VALU_DEP_2)
	v_sub_nc_u32_e32 v7, v3, v7
	v_lshrrev_b32_e32 v3, s45, v5
	s_delay_alu instid0(VALU_DEP_2) | instskip(NEXT) | instid1(VALU_DEP_2)
	v_mul_lo_u32 v8, v7, s40
	v_mul_lo_u32 v5, v3, s39
	s_delay_alu instid0(VALU_DEP_1) | instskip(SKIP_2) | instid1(VALU_DEP_3)
	v_sub_nc_u32_e32 v4, v4, v5
	v_mul_lo_u32 v5, v7, s41
	v_mul_lo_u32 v7, v7, s42
	;; [unrolled: 1-line block ×3, first 2 shown]
	s_waitcnt lgkmcnt(0)
	v_mul_lo_u32 v10, v4, s36
	v_mul_lo_u32 v4, v4, s37
	s_delay_alu instid0(VALU_DEP_3) | instskip(NEXT) | instid1(VALU_DEP_3)
	v_add3_u32 v0, v8, v0, v9
	v_add3_u32 v2, v5, v2, v10
	s_delay_alu instid0(VALU_DEP_3)
	v_add3_u32 v1, v7, v1, v4
	s_cbranch_scc0 .LBB149_66
; %bb.67:
	s_set_inst_prefetch_distance 0x2
	s_bitcmp1_b32 s29, 0
	s_cselect_b32 s35, -1, 0
	s_delay_alu instid0(SALU_CYCLE_1)
	s_and_b32 vcc_lo, exec_lo, s35
	s_cbranch_vccnz .LBB149_78
; %bb.68:
	s_clause 0x3
	s_load_b64 s[36:37], s[22:23], 0x18
	s_load_b32 s35, s[22:23], 0x20
	s_load_b64 s[38:39], s[22:23], 0xd8
	s_load_b32 s22, s[22:23], 0xe0
	s_waitcnt lgkmcnt(0)
	v_mul_hi_u32 v4, s37, v3
	s_delay_alu instid0(VALU_DEP_1) | instskip(NEXT) | instid1(VALU_DEP_1)
	v_add_nc_u32_e32 v4, v3, v4
	v_lshrrev_b32_e32 v4, s35, v4
	s_delay_alu instid0(VALU_DEP_1) | instskip(NEXT) | instid1(VALU_DEP_1)
	v_mul_lo_u32 v4, v4, s36
	v_sub_nc_u32_e32 v9, v3, v4
	s_delay_alu instid0(VALU_DEP_1) | instskip(SKIP_1) | instid1(VALU_DEP_2)
	v_mad_u64_u32 v[3:4], null, v9, s38, v[0:1]
	v_mad_u64_u32 v[7:8], null, v9, s22, v[1:2]
	;; [unrolled: 1-line block ×3, first 2 shown]
	v_mov_b32_e32 v0, v3
	s_delay_alu instid0(VALU_DEP_2)
	v_dual_mov_b32 v1, v7 :: v_dual_mov_b32 v2, v4
	s_branch .LBB149_78
.LBB149_69:
	s_mov_b32 s34, -1
                                        ; implicit-def: $vgpr0
                                        ; implicit-def: $vgpr2
                                        ; implicit-def: $vgpr1
.LBB149_70:
	s_delay_alu instid0(SALU_CYCLE_1)
	s_and_not1_b32 vcc_lo, exec_lo, s34
	s_cbranch_vccnz .LBB149_73
; %bb.71:
	s_waitcnt lgkmcnt(0)
	v_mul_hi_u32 v0, s17, v6
	s_and_not1_b32 vcc_lo, exec_lo, s28
	s_delay_alu instid0(VALU_DEP_1) | instskip(NEXT) | instid1(VALU_DEP_1)
	v_add_nc_u32_e32 v0, v6, v0
	v_lshrrev_b32_e32 v3, s18, v0
	s_delay_alu instid0(VALU_DEP_1) | instskip(NEXT) | instid1(VALU_DEP_1)
	v_mul_lo_u32 v0, v3, s16
	v_sub_nc_u32_e32 v1, v6, v0
	s_delay_alu instid0(VALU_DEP_1)
	v_mul_lo_u32 v0, v1, s12
	v_mul_lo_u32 v2, v1, s13
	;; [unrolled: 1-line block ×3, first 2 shown]
	s_cbranch_vccnz .LBB149_73
; %bb.72:
	v_mul_hi_u32 v4, s20, v3
	s_delay_alu instid0(VALU_DEP_1) | instskip(NEXT) | instid1(VALU_DEP_1)
	v_add_nc_u32_e32 v4, v3, v4
	v_lshrrev_b32_e32 v4, s21, v4
	s_delay_alu instid0(VALU_DEP_1) | instskip(NEXT) | instid1(VALU_DEP_1)
	v_mul_lo_u32 v4, v4, s19
	v_sub_nc_u32_e32 v9, v3, v4
	s_delay_alu instid0(VALU_DEP_1) | instskip(SKIP_1) | instid1(VALU_DEP_2)
	v_mad_u64_u32 v[3:4], null, v9, s15, v[0:1]
	v_mad_u64_u32 v[7:8], null, v9, s3, v[1:2]
	;; [unrolled: 1-line block ×3, first 2 shown]
	v_mov_b32_e32 v0, v3
	s_delay_alu instid0(VALU_DEP_2)
	v_dual_mov_b32 v1, v7 :: v_dual_mov_b32 v2, v4
.LBB149_73:
	s_waitcnt lgkmcnt(0)
	global_load_u8 v3, v1, s[8:9]
	global_load_b64 v[1:2], v2, s[6:7]
	v_add_nc_u32_e32 v6, 0x80, v6
	s_waitcnt vmcnt(1)
	v_cvt_f64_u32_e32 v[3:4], v3
	s_waitcnt vmcnt(0)
	s_delay_alu instid0(VALU_DEP_1) | instskip(NEXT) | instid1(VALU_DEP_1)
	v_mul_f64 v[1:2], v[1:2], v[3:4]
	v_mul_f64 v[1:2], s[10:11], v[1:2]
	global_store_b64 v0, v[1:2], s[4:5]
	s_or_b32 exec_lo, exec_lo, s33
	s_delay_alu instid0(SALU_CYCLE_1)
	s_mov_b32 s33, exec_lo
	v_cmpx_gt_i32_e64 s30, v6
	s_cbranch_execnz .LBB149_63
.LBB149_74:
	s_or_b32 exec_lo, exec_lo, s33
	v_cmp_gt_i32_e32 vcc_lo, s30, v6
	s_and_saveexec_b32 s30, vcc_lo
	s_cbranch_execnz .LBB149_82
.LBB149_75:
	s_or_b32 exec_lo, exec_lo, s30
                                        ; implicit-def: $vgpr12
                                        ; implicit-def: $vgpr6
	s_waitcnt lgkmcnt(0)
	s_and_not1_saveexec_b32 s2, s27
	s_cbranch_execnz .LBB149_9
.LBB149_76:
	s_nop 0
	s_sendmsg sendmsg(MSG_DEALLOC_VGPRS)
	s_endpgm
.LBB149_77:
	s_mov_b32 s34, -1
                                        ; implicit-def: $vgpr0
                                        ; implicit-def: $vgpr2
                                        ; implicit-def: $vgpr1
.LBB149_78:
	s_delay_alu instid0(SALU_CYCLE_1)
	s_and_not1_b32 vcc_lo, exec_lo, s34
	s_cbranch_vccnz .LBB149_81
; %bb.79:
	s_waitcnt lgkmcnt(0)
	v_mul_hi_u32 v0, s17, v6
	s_and_not1_b32 vcc_lo, exec_lo, s28
	s_delay_alu instid0(VALU_DEP_1) | instskip(NEXT) | instid1(VALU_DEP_1)
	v_add_nc_u32_e32 v0, v6, v0
	v_lshrrev_b32_e32 v3, s18, v0
	s_delay_alu instid0(VALU_DEP_1) | instskip(NEXT) | instid1(VALU_DEP_1)
	v_mul_lo_u32 v0, v3, s16
	v_sub_nc_u32_e32 v1, v6, v0
	s_delay_alu instid0(VALU_DEP_1)
	v_mul_lo_u32 v0, v1, s12
	v_mul_lo_u32 v2, v1, s13
	;; [unrolled: 1-line block ×3, first 2 shown]
	s_cbranch_vccnz .LBB149_81
; %bb.80:
	v_mul_hi_u32 v4, s20, v3
	s_delay_alu instid0(VALU_DEP_1) | instskip(NEXT) | instid1(VALU_DEP_1)
	v_add_nc_u32_e32 v4, v3, v4
	v_lshrrev_b32_e32 v4, s21, v4
	s_delay_alu instid0(VALU_DEP_1) | instskip(NEXT) | instid1(VALU_DEP_1)
	v_mul_lo_u32 v4, v4, s19
	v_sub_nc_u32_e32 v9, v3, v4
	s_delay_alu instid0(VALU_DEP_1) | instskip(SKIP_1) | instid1(VALU_DEP_2)
	v_mad_u64_u32 v[3:4], null, v9, s15, v[0:1]
	v_mad_u64_u32 v[7:8], null, v9, s3, v[1:2]
	;; [unrolled: 1-line block ×3, first 2 shown]
	v_mov_b32_e32 v0, v3
	s_delay_alu instid0(VALU_DEP_2)
	v_dual_mov_b32 v1, v7 :: v_dual_mov_b32 v2, v4
.LBB149_81:
	s_waitcnt lgkmcnt(0)
	global_load_u8 v3, v1, s[8:9]
	global_load_b64 v[1:2], v2, s[6:7]
	v_add_nc_u32_e32 v6, 0x80, v6
	s_waitcnt vmcnt(1)
	v_cvt_f64_u32_e32 v[3:4], v3
	s_waitcnt vmcnt(0)
	s_delay_alu instid0(VALU_DEP_1) | instskip(NEXT) | instid1(VALU_DEP_1)
	v_mul_f64 v[1:2], v[1:2], v[3:4]
	v_mul_f64 v[1:2], s[10:11], v[1:2]
	global_store_b64 v0, v[1:2], s[4:5]
	s_or_b32 exec_lo, exec_lo, s33
	v_cmp_gt_i32_e32 vcc_lo, s30, v6
	s_and_saveexec_b32 s30, vcc_lo
	s_cbranch_execz .LBB149_75
.LBB149_82:
	s_and_not1_b32 vcc_lo, exec_lo, s26
	s_cbranch_vccnz .LBB149_88
; %bb.83:
	v_dual_mov_b32 v1, 0 :: v_dual_mov_b32 v2, 0
	v_mov_b32_e32 v0, 0
	s_and_not1_b32 vcc_lo, exec_lo, s31
	s_mov_b32 s31, 0
	s_cbranch_vccnz .LBB149_89
; %bb.84:
	s_add_i32 s22, s29, 1
	v_dual_mov_b32 v0, 0 :: v_dual_mov_b32 v1, 0
	v_dual_mov_b32 v2, 0 :: v_dual_mov_b32 v3, v6
	s_and_b32 s33, s22, 30
	s_add_u32 s22, s0, 0xffffffec
	s_addc_u32 s23, s1, -1
	s_set_inst_prefetch_distance 0x1
	.p2align	6
.LBB149_85:                             ; =>This Inner Loop Header: Depth=1
	s_clause 0x2
	s_load_b128 s[36:39], s[22:23], 0x18
	s_load_b64 s[34:35], s[22:23], 0x28
	s_load_b128 s[40:43], s[22:23], 0xd8
	s_waitcnt lgkmcnt(0)
	v_mul_hi_u32 v4, s37, v3
	s_delay_alu instid0(VALU_DEP_1) | instskip(NEXT) | instid1(VALU_DEP_1)
	v_add_nc_u32_e32 v4, v3, v4
	v_lshrrev_b32_e32 v4, s38, v4
	s_delay_alu instid0(VALU_DEP_1)
	v_mul_hi_u32 v5, s34, v4
	v_mul_lo_u32 v7, v4, s36
	s_load_b64 s[36:37], s[22:23], 0xe8
	s_add_u32 s22, s22, 24
	s_addc_u32 s23, s23, 0
	s_add_i32 s33, s33, -2
	s_delay_alu instid0(SALU_CYCLE_1) | instskip(NEXT) | instid1(VALU_DEP_2)
	s_cmp_eq_u32 s33, 0
	v_add_nc_u32_e32 v5, v4, v5
	s_delay_alu instid0(VALU_DEP_2) | instskip(NEXT) | instid1(VALU_DEP_2)
	v_sub_nc_u32_e32 v7, v3, v7
	v_lshrrev_b32_e32 v3, s35, v5
	s_delay_alu instid0(VALU_DEP_2) | instskip(NEXT) | instid1(VALU_DEP_2)
	v_mul_lo_u32 v8, v7, s40
	v_mul_lo_u32 v5, v3, s39
	s_delay_alu instid0(VALU_DEP_1) | instskip(SKIP_2) | instid1(VALU_DEP_3)
	v_sub_nc_u32_e32 v4, v4, v5
	v_mul_lo_u32 v5, v7, s41
	v_mul_lo_u32 v7, v7, s42
	;; [unrolled: 1-line block ×3, first 2 shown]
	s_waitcnt lgkmcnt(0)
	v_mul_lo_u32 v10, v4, s36
	v_mul_lo_u32 v4, v4, s37
	s_delay_alu instid0(VALU_DEP_3) | instskip(NEXT) | instid1(VALU_DEP_3)
	v_add3_u32 v1, v8, v1, v9
	v_add3_u32 v2, v5, v2, v10
	s_delay_alu instid0(VALU_DEP_3)
	v_add3_u32 v0, v7, v0, v4
	s_cbranch_scc0 .LBB149_85
; %bb.86:
	s_set_inst_prefetch_distance 0x2
	s_bitcmp1_b32 s29, 0
	s_cselect_b32 s29, -1, 0
	s_delay_alu instid0(SALU_CYCLE_1)
	s_and_b32 vcc_lo, exec_lo, s29
	s_cbranch_vccnz .LBB149_89
; %bb.87:
	s_clause 0x3
	s_load_b64 s[34:35], s[22:23], 0x18
	s_load_b32 s29, s[22:23], 0x20
	s_load_b64 s[36:37], s[22:23], 0xd8
	s_load_b32 s22, s[22:23], 0xe0
	s_waitcnt lgkmcnt(0)
	v_mul_hi_u32 v4, s35, v3
	s_delay_alu instid0(VALU_DEP_1) | instskip(NEXT) | instid1(VALU_DEP_1)
	v_add_nc_u32_e32 v4, v3, v4
	v_lshrrev_b32_e32 v4, s29, v4
	s_delay_alu instid0(VALU_DEP_1) | instskip(NEXT) | instid1(VALU_DEP_1)
	v_mul_lo_u32 v4, v4, s34
	v_sub_nc_u32_e32 v9, v3, v4
	s_delay_alu instid0(VALU_DEP_1) | instskip(SKIP_1) | instid1(VALU_DEP_2)
	v_mad_u64_u32 v[3:4], null, v9, s36, v[1:2]
	v_mad_u64_u32 v[7:8], null, v9, s22, v[0:1]
	;; [unrolled: 1-line block ×3, first 2 shown]
	v_mov_b32_e32 v1, v3
	s_delay_alu instid0(VALU_DEP_3) | instskip(NEXT) | instid1(VALU_DEP_3)
	v_mov_b32_e32 v0, v7
	v_mov_b32_e32 v2, v4
	s_branch .LBB149_89
.LBB149_88:
	s_mov_b32 s31, -1
                                        ; implicit-def: $vgpr1
                                        ; implicit-def: $vgpr2
                                        ; implicit-def: $vgpr0
.LBB149_89:
	s_delay_alu instid0(SALU_CYCLE_1)
	s_and_not1_b32 vcc_lo, exec_lo, s31
	s_cbranch_vccnz .LBB149_92
; %bb.90:
	s_waitcnt lgkmcnt(0)
	v_mul_hi_u32 v0, s17, v6
	s_and_not1_b32 vcc_lo, exec_lo, s28
	s_delay_alu instid0(VALU_DEP_1) | instskip(NEXT) | instid1(VALU_DEP_1)
	v_add_nc_u32_e32 v0, v6, v0
	v_lshrrev_b32_e32 v3, s18, v0
	s_delay_alu instid0(VALU_DEP_1) | instskip(NEXT) | instid1(VALU_DEP_1)
	v_mul_lo_u32 v0, v3, s16
	v_sub_nc_u32_e32 v0, v6, v0
	s_delay_alu instid0(VALU_DEP_1)
	v_mul_lo_u32 v1, v0, s12
	v_mul_lo_u32 v2, v0, s13
	;; [unrolled: 1-line block ×3, first 2 shown]
	s_cbranch_vccnz .LBB149_92
; %bb.91:
	v_mul_hi_u32 v4, s20, v3
	s_delay_alu instid0(VALU_DEP_1) | instskip(NEXT) | instid1(VALU_DEP_1)
	v_add_nc_u32_e32 v4, v3, v4
	v_lshrrev_b32_e32 v4, s21, v4
	s_delay_alu instid0(VALU_DEP_1) | instskip(NEXT) | instid1(VALU_DEP_1)
	v_mul_lo_u32 v4, v4, s19
	v_sub_nc_u32_e32 v7, v3, v4
	s_delay_alu instid0(VALU_DEP_1) | instskip(NEXT) | instid1(VALU_DEP_1)
	v_mad_u64_u32 v[3:4], null, v7, s15, v[1:2]
	v_mad_u64_u32 v[4:5], null, v7, s2, v[2:3]
	;; [unrolled: 1-line block ×3, first 2 shown]
	s_delay_alu instid0(VALU_DEP_2) | instskip(NEXT) | instid1(VALU_DEP_2)
	v_dual_mov_b32 v1, v3 :: v_dual_mov_b32 v2, v4
	v_mov_b32_e32 v0, v5
.LBB149_92:
	s_waitcnt lgkmcnt(0)
	global_load_u8 v0, v0, s[8:9]
	global_load_b64 v[2:3], v2, s[6:7]
	s_waitcnt vmcnt(1)
	v_cvt_f64_u32_e32 v[4:5], v0
	s_waitcnt vmcnt(0)
	s_delay_alu instid0(VALU_DEP_1) | instskip(NEXT) | instid1(VALU_DEP_1)
	v_mul_f64 v[2:3], v[2:3], v[4:5]
	v_mul_f64 v[2:3], s[10:11], v[2:3]
	global_store_b64 v1, v[2:3], s[4:5]
	s_or_b32 exec_lo, exec_lo, s30
                                        ; implicit-def: $vgpr12
                                        ; implicit-def: $vgpr6
	s_and_not1_saveexec_b32 s2, s27
	s_cbranch_execz .LBB149_76
	s_branch .LBB149_9
	.section	.rodata,"a",@progbits
	.p2align	6, 0x0
	.amdhsa_kernel _ZN2at6native32elementwise_kernel_manual_unrollILi128ELi4EZNS0_22gpu_kernel_impl_nocastIZNS0_12_GLOBAL__N_119masked_scale_kernelIhddEEvRNS_6TensorERKS5_S8_T1_EUldhE_EEvRNS_18TensorIteratorBaseERKT_EUlibE_EEviS9_
		.amdhsa_group_segment_fixed_size 0
		.amdhsa_private_segment_fixed_size 0
		.amdhsa_kernarg_size 432
		.amdhsa_user_sgpr_count 15
		.amdhsa_user_sgpr_dispatch_ptr 0
		.amdhsa_user_sgpr_queue_ptr 0
		.amdhsa_user_sgpr_kernarg_segment_ptr 1
		.amdhsa_user_sgpr_dispatch_id 0
		.amdhsa_user_sgpr_private_segment_size 0
		.amdhsa_wavefront_size32 1
		.amdhsa_uses_dynamic_stack 0
		.amdhsa_enable_private_segment 0
		.amdhsa_system_sgpr_workgroup_id_x 1
		.amdhsa_system_sgpr_workgroup_id_y 0
		.amdhsa_system_sgpr_workgroup_id_z 0
		.amdhsa_system_sgpr_workgroup_info 0
		.amdhsa_system_vgpr_workitem_id 0
		.amdhsa_next_free_vgpr 20
		.amdhsa_next_free_sgpr 46
		.amdhsa_reserve_vcc 1
		.amdhsa_float_round_mode_32 0
		.amdhsa_float_round_mode_16_64 0
		.amdhsa_float_denorm_mode_32 3
		.amdhsa_float_denorm_mode_16_64 3
		.amdhsa_dx10_clamp 1
		.amdhsa_ieee_mode 1
		.amdhsa_fp16_overflow 0
		.amdhsa_workgroup_processor_mode 1
		.amdhsa_memory_ordered 1
		.amdhsa_forward_progress 0
		.amdhsa_shared_vgpr_count 0
		.amdhsa_exception_fp_ieee_invalid_op 0
		.amdhsa_exception_fp_denorm_src 0
		.amdhsa_exception_fp_ieee_div_zero 0
		.amdhsa_exception_fp_ieee_overflow 0
		.amdhsa_exception_fp_ieee_underflow 0
		.amdhsa_exception_fp_ieee_inexact 0
		.amdhsa_exception_int_div_zero 0
	.end_amdhsa_kernel
	.section	.text._ZN2at6native32elementwise_kernel_manual_unrollILi128ELi4EZNS0_22gpu_kernel_impl_nocastIZNS0_12_GLOBAL__N_119masked_scale_kernelIhddEEvRNS_6TensorERKS5_S8_T1_EUldhE_EEvRNS_18TensorIteratorBaseERKT_EUlibE_EEviS9_,"axG",@progbits,_ZN2at6native32elementwise_kernel_manual_unrollILi128ELi4EZNS0_22gpu_kernel_impl_nocastIZNS0_12_GLOBAL__N_119masked_scale_kernelIhddEEvRNS_6TensorERKS5_S8_T1_EUldhE_EEvRNS_18TensorIteratorBaseERKT_EUlibE_EEviS9_,comdat
.Lfunc_end149:
	.size	_ZN2at6native32elementwise_kernel_manual_unrollILi128ELi4EZNS0_22gpu_kernel_impl_nocastIZNS0_12_GLOBAL__N_119masked_scale_kernelIhddEEvRNS_6TensorERKS5_S8_T1_EUldhE_EEvRNS_18TensorIteratorBaseERKT_EUlibE_EEviS9_, .Lfunc_end149-_ZN2at6native32elementwise_kernel_manual_unrollILi128ELi4EZNS0_22gpu_kernel_impl_nocastIZNS0_12_GLOBAL__N_119masked_scale_kernelIhddEEvRNS_6TensorERKS5_S8_T1_EUldhE_EEvRNS_18TensorIteratorBaseERKT_EUlibE_EEviS9_
                                        ; -- End function
	.section	.AMDGPU.csdata,"",@progbits
; Kernel info:
; codeLenInByte = 6008
; NumSgprs: 48
; NumVgprs: 20
; ScratchSize: 0
; MemoryBound: 0
; FloatMode: 240
; IeeeMode: 1
; LDSByteSize: 0 bytes/workgroup (compile time only)
; SGPRBlocks: 5
; VGPRBlocks: 2
; NumSGPRsForWavesPerEU: 48
; NumVGPRsForWavesPerEU: 20
; Occupancy: 16
; WaveLimiterHint : 1
; COMPUTE_PGM_RSRC2:SCRATCH_EN: 0
; COMPUTE_PGM_RSRC2:USER_SGPR: 15
; COMPUTE_PGM_RSRC2:TRAP_HANDLER: 0
; COMPUTE_PGM_RSRC2:TGID_X_EN: 1
; COMPUTE_PGM_RSRC2:TGID_Y_EN: 0
; COMPUTE_PGM_RSRC2:TGID_Z_EN: 0
; COMPUTE_PGM_RSRC2:TIDIG_COMP_CNT: 0
	.section	.text._ZN2at6native32elementwise_kernel_manual_unrollILi128ELi4EZNS0_15gpu_kernel_implIZNS0_12_GLOBAL__N_119masked_scale_kernelIhddEEvRNS_6TensorERKS5_S8_T1_EUldhE_EEvRNS_18TensorIteratorBaseERKT_EUlibE_EEviS9_,"axG",@progbits,_ZN2at6native32elementwise_kernel_manual_unrollILi128ELi4EZNS0_15gpu_kernel_implIZNS0_12_GLOBAL__N_119masked_scale_kernelIhddEEvRNS_6TensorERKS5_S8_T1_EUldhE_EEvRNS_18TensorIteratorBaseERKT_EUlibE_EEviS9_,comdat
	.globl	_ZN2at6native32elementwise_kernel_manual_unrollILi128ELi4EZNS0_15gpu_kernel_implIZNS0_12_GLOBAL__N_119masked_scale_kernelIhddEEvRNS_6TensorERKS5_S8_T1_EUldhE_EEvRNS_18TensorIteratorBaseERKT_EUlibE_EEviS9_ ; -- Begin function _ZN2at6native32elementwise_kernel_manual_unrollILi128ELi4EZNS0_15gpu_kernel_implIZNS0_12_GLOBAL__N_119masked_scale_kernelIhddEEvRNS_6TensorERKS5_S8_T1_EUldhE_EEvRNS_18TensorIteratorBaseERKT_EUlibE_EEviS9_
	.p2align	8
	.type	_ZN2at6native32elementwise_kernel_manual_unrollILi128ELi4EZNS0_15gpu_kernel_implIZNS0_12_GLOBAL__N_119masked_scale_kernelIhddEEvRNS_6TensorERKS5_S8_T1_EUldhE_EEvRNS_18TensorIteratorBaseERKT_EUlibE_EEviS9_,@function
_ZN2at6native32elementwise_kernel_manual_unrollILi128ELi4EZNS0_15gpu_kernel_implIZNS0_12_GLOBAL__N_119masked_scale_kernelIhddEEvRNS_6TensorERKS5_S8_T1_EUldhE_EEvRNS_18TensorIteratorBaseERKT_EUlibE_EEviS9_: ; @_ZN2at6native32elementwise_kernel_manual_unrollILi128ELi4EZNS0_15gpu_kernel_implIZNS0_12_GLOBAL__N_119masked_scale_kernelIhddEEvRNS_6TensorERKS5_S8_T1_EUldhE_EEvRNS_18TensorIteratorBaseERKT_EUlibE_EEviS9_
; %bb.0:
	s_clause 0x5
	s_load_b32 s14, s[0:1], 0x38
	s_load_b32 s19, s[0:1], 0x0
	s_load_b64 s[2:3], s[0:1], 0x30
	s_load_b128 s[4:7], s[0:1], 0x8
	s_load_b64 s[12:13], s[0:1], 0x18
	s_load_b128 s[8:11], s[0:1], 0x20
	v_lshl_or_b32 v16, s15, 9, v0
	s_mov_b32 s15, 0
	s_mov_b32 s18, 0
	s_mov_b32 s0, exec_lo
	s_delay_alu instid0(VALU_DEP_1) | instskip(SKIP_3) | instid1(VALU_DEP_1)
	v_or_b32_e32 v0, 0x180, v16
	s_waitcnt lgkmcnt(0)
	s_lshr_b32 s16, s14, 8
	s_lshr_b32 s11, s14, 16
	v_cmpx_le_i32_e64 s19, v0
	s_xor_b32 s17, exec_lo, s0
	s_cbranch_execz .LBB150_1535
; %bb.1:
	s_mov_b32 s1, -1
	s_mov_b32 s23, 0
	s_mov_b32 s21, 0
	;; [unrolled: 1-line block ×3, first 2 shown]
	s_mov_b32 s22, exec_lo
	v_cmpx_gt_i32_e64 s19, v16
	s_cbranch_execz .LBB150_377
; %bb.2:
	v_mul_lo_u32 v0, v16, s9
	v_and_b32_e64 v4, 0xff, s16
	s_delay_alu instid0(VALU_DEP_1) | instskip(NEXT) | instid1(VALU_DEP_3)
	v_cmp_gt_i16_e32 vcc_lo, 11, v4
	v_ashrrev_i32_e32 v1, 31, v0
	v_add_co_u32 v2, s0, s6, v0
	s_delay_alu instid0(VALU_DEP_1)
	v_add_co_ci_u32_e64 v3, s0, s7, v1, s0
	s_cbranch_vccnz .LBB150_9
; %bb.3:
	v_cmp_lt_i16_e32 vcc_lo, 25, v4
	s_cbranch_vccz .LBB150_18
; %bb.4:
	v_cmp_lt_i16_e32 vcc_lo, 28, v4
	s_cbranch_vccz .LBB150_28
	;; [unrolled: 3-line block ×4, first 2 shown]
; %bb.7:
	v_cmp_eq_u16_e32 vcc_lo, 46, v4
	s_mov_b32 s1, 0
	s_cbranch_vccz .LBB150_36
; %bb.8:
	global_load_b32 v0, v[2:3], off
	s_mov_b32 s0, -1
	s_waitcnt vmcnt(0)
	v_lshlrev_b32_e32 v0, 16, v0
	s_delay_alu instid0(VALU_DEP_1)
	v_cvt_f64_f32_e32 v[0:1], v0
	s_branch .LBB150_38
.LBB150_9:
	s_mov_b32 s0, 0
                                        ; implicit-def: $vgpr0_vgpr1
	s_and_b32 vcc_lo, exec_lo, s1
	s_cbranch_vccnz .LBB150_104
.LBB150_10:
	s_and_not1_b32 vcc_lo, exec_lo, s0
	s_cbranch_vccnz .LBB150_151
.LBB150_11:
	v_mul_lo_u32 v2, v16, s10
	v_and_b32_e64 v6, 0xff, s11
	s_delay_alu instid0(VALU_DEP_1) | instskip(NEXT) | instid1(VALU_DEP_3)
	v_cmp_gt_i16_e32 vcc_lo, 11, v6
	v_ashrrev_i32_e32 v3, 31, v2
	v_add_co_u32 v2, s0, s12, v2
	s_delay_alu instid0(VALU_DEP_1)
	v_add_co_ci_u32_e64 v3, s0, s13, v3, s0
	s_cbranch_vccnz .LBB150_19
; %bb.12:
	v_cmp_lt_i16_e32 vcc_lo, 25, v6
	s_cbranch_vccz .LBB150_29
; %bb.13:
	v_cmp_lt_i16_e32 vcc_lo, 28, v6
	s_cbranch_vccz .LBB150_32
	;; [unrolled: 3-line block ×4, first 2 shown]
; %bb.16:
	v_cmp_eq_u16_e32 vcc_lo, 46, v6
	s_mov_b32 s18, 0
	s_cbranch_vccz .LBB150_152
; %bb.17:
	global_load_b32 v4, v[2:3], off
	s_mov_b32 s0, -1
	s_mov_b32 s1, 0
	s_waitcnt vmcnt(0)
	v_lshlrev_b32_e32 v4, 16, v4
	s_delay_alu instid0(VALU_DEP_1) | instskip(NEXT) | instid1(VALU_DEP_1)
	v_trunc_f32_e32 v4, v4
	v_mul_f32_e64 v5, 0x2f800000, |v4|
	s_delay_alu instid0(VALU_DEP_1) | instskip(NEXT) | instid1(VALU_DEP_1)
	v_floor_f32_e32 v5, v5
	v_fma_f32 v5, 0xcf800000, v5, |v4|
	v_ashrrev_i32_e32 v4, 31, v4
	s_delay_alu instid0(VALU_DEP_2) | instskip(NEXT) | instid1(VALU_DEP_1)
	v_cvt_u32_f32_e32 v5, v5
	v_xor_b32_e32 v5, v5, v4
	s_delay_alu instid0(VALU_DEP_1)
	v_sub_nc_u32_e32 v4, v5, v4
	s_branch .LBB150_154
.LBB150_18:
	s_mov_b32 s0, 0
                                        ; implicit-def: $vgpr0_vgpr1
	s_and_b32 vcc_lo, exec_lo, s1
	s_cbranch_vccnz .LBB150_71
	s_branch .LBB150_103
.LBB150_19:
	s_mov_b32 s1, 0
	s_mov_b32 s0, 0
                                        ; implicit-def: $vgpr4
	s_cbranch_execnz .LBB150_326
.LBB150_20:
	s_and_not1_b32 vcc_lo, exec_lo, s0
	s_cbranch_vccnz .LBB150_374
.LBB150_21:
	s_waitcnt vmcnt(0)
	s_delay_alu instid0(VALU_DEP_1) | instskip(SKIP_1) | instid1(VALU_DEP_2)
	v_and_b32_e32 v2, 0xff, v4
	v_and_b32_e64 v6, 0xff, s14
	v_and_b32_e32 v2, 0xffff, v2
	s_delay_alu instid0(VALU_DEP_2) | instskip(NEXT) | instid1(VALU_DEP_2)
	v_cmp_gt_i16_e32 vcc_lo, 11, v6
	v_cvt_f64_u32_e32 v[2:3], v2
	s_and_b32 vcc_lo, exec_lo, vcc_lo
	s_delay_alu instid0(VALU_DEP_1) | instskip(SKIP_1) | instid1(VALU_DEP_1)
	v_mul_f64 v[0:1], v[0:1], v[2:3]
	v_mul_lo_u32 v2, v16, s8
	v_ashrrev_i32_e32 v3, 31, v2
	v_add_co_u32 v4, s0, s4, v2
	s_delay_alu instid0(VALU_DEP_1)
	v_add_co_ci_u32_e64 v5, s0, s5, v3, s0
	v_mul_f64 v[0:1], s[2:3], v[0:1]
	s_cbranch_vccnz .LBB150_30
; %bb.22:
	v_cmp_lt_i16_e32 vcc_lo, 25, v6
	s_cbranch_vccz .LBB150_33
; %bb.23:
	v_cmp_lt_i16_e32 vcc_lo, 28, v6
	s_cbranch_vccz .LBB150_35
	;; [unrolled: 3-line block ×4, first 2 shown]
; %bb.26:
	v_cmp_eq_u16_e32 vcc_lo, 46, v6
	s_mov_b32 s20, 0
	s_mov_b32 s0, -1
	s_mov_b32 s18, 0
	s_cbranch_vccz .LBB150_158
; %bb.27:
	v_cvt_f32_f64_e32 v2, v[0:1]
	s_mov_b32 s18, -1
	s_mov_b32 s0, 0
	s_delay_alu instid0(VALU_DEP_1) | instskip(SKIP_1) | instid1(VALU_DEP_2)
	v_bfe_u32 v3, v2, 16, 1
	v_cmp_o_f32_e32 vcc_lo, v2, v2
	v_add3_u32 v3, v2, v3, 0x7fff
	s_delay_alu instid0(VALU_DEP_1) | instskip(NEXT) | instid1(VALU_DEP_1)
	v_lshrrev_b32_e32 v3, 16, v3
	v_cndmask_b32_e32 v2, 0x7fc0, v3, vcc_lo
	global_store_b32 v[4:5], v2, off
	s_branch .LBB150_158
.LBB150_28:
	s_mov_b32 s0, 0
                                        ; implicit-def: $vgpr0_vgpr1
	s_branch .LBB150_50
.LBB150_29:
	s_mov_b32 s18, -1
	s_mov_b32 s1, 0
	s_mov_b32 s0, 0
                                        ; implicit-def: $vgpr4
	s_branch .LBB150_292
.LBB150_30:
	s_mov_b32 s20, -1
	s_mov_b32 s0, 0
	s_mov_b32 s18, 0
	s_branch .LBB150_227
.LBB150_31:
	s_mov_b32 s0, 0
                                        ; implicit-def: $vgpr0_vgpr1
	s_branch .LBB150_45
.LBB150_32:
	s_mov_b32 s18, -1
	s_mov_b32 s1, 0
	s_mov_b32 s0, 0
                                        ; implicit-def: $vgpr4
	s_branch .LBB150_275
.LBB150_33:
	s_mov_b32 s20, -1
	s_mov_b32 s0, 0
	s_mov_b32 s18, 0
	s_branch .LBB150_185
.LBB150_34:
	s_mov_b32 s18, -1
	s_mov_b32 s1, 0
	s_mov_b32 s0, 0
                                        ; implicit-def: $vgpr4
	s_branch .LBB150_270
.LBB150_35:
	s_mov_b32 s20, -1
	s_mov_b32 s0, 0
	s_mov_b32 s18, 0
	s_branch .LBB150_168
.LBB150_36:
	s_mov_b32 s21, -1
.LBB150_37:
	s_mov_b32 s0, 0
                                        ; implicit-def: $vgpr0_vgpr1
.LBB150_38:
	s_and_b32 vcc_lo, exec_lo, s1
	s_cbranch_vccz .LBB150_44
; %bb.39:
	v_cmp_eq_u16_e32 vcc_lo, 44, v4
	s_cbranch_vccz .LBB150_43
; %bb.40:
	global_load_u8 v5, v[2:3], off
	s_mov_b32 s21, 0
	s_mov_b32 s0, -1
	s_waitcnt vmcnt(0)
	v_lshlrev_b32_e32 v0, 23, v5
	v_cmp_ne_u32_e32 vcc_lo, 0xff, v5
	s_delay_alu instid0(VALU_DEP_2) | instskip(NEXT) | instid1(VALU_DEP_1)
	v_cvt_f64_f32_e32 v[0:1], v0
	v_cndmask_b32_e32 v0, 0x20000000, v0, vcc_lo
	s_delay_alu instid0(VALU_DEP_2) | instskip(SKIP_1) | instid1(VALU_DEP_2)
	v_cndmask_b32_e32 v1, 0x7ff80000, v1, vcc_lo
	v_cmp_ne_u32_e32 vcc_lo, 0, v5
	v_cndmask_b32_e32 v1, 0x38000000, v1, vcc_lo
	s_delay_alu instid0(VALU_DEP_4)
	v_cndmask_b32_e32 v0, 0, v0, vcc_lo
	s_branch .LBB150_44
.LBB150_41:
	s_mov_b32 s18, -1
	s_mov_b32 s1, 0
	s_branch .LBB150_153
.LBB150_42:
	s_mov_b32 s20, -1
	s_mov_b32 s0, 0
	s_mov_b32 s18, 0
	s_branch .LBB150_164
.LBB150_43:
	s_mov_b32 s21, -1
                                        ; implicit-def: $vgpr0_vgpr1
.LBB150_44:
	s_mov_b32 s1, 0
.LBB150_45:
	s_delay_alu instid0(SALU_CYCLE_1)
	s_and_b32 vcc_lo, exec_lo, s1
	s_cbranch_vccz .LBB150_49
; %bb.46:
	v_cmp_eq_u16_e32 vcc_lo, 29, v4
	s_cbranch_vccz .LBB150_48
; %bb.47:
	global_load_b64 v[0:1], v[2:3], off
	s_mov_b32 s0, -1
	s_mov_b32 s21, 0
	s_mov_b32 s1, 0
	s_waitcnt vmcnt(0)
	v_cvt_f64_u32_e32 v[5:6], v1
	v_cvt_f64_u32_e32 v[0:1], v0
	s_delay_alu instid0(VALU_DEP_2) | instskip(NEXT) | instid1(VALU_DEP_1)
	v_ldexp_f64 v[5:6], v[5:6], 32
	v_add_f64 v[0:1], v[5:6], v[0:1]
	s_branch .LBB150_50
.LBB150_48:
	s_mov_b32 s21, -1
                                        ; implicit-def: $vgpr0_vgpr1
.LBB150_49:
	s_mov_b32 s1, 0
.LBB150_50:
	s_delay_alu instid0(SALU_CYCLE_1)
	s_and_b32 vcc_lo, exec_lo, s1
	s_cbranch_vccz .LBB150_70
; %bb.51:
	v_cmp_gt_i16_e32 vcc_lo, 27, v4
	s_cbranch_vccnz .LBB150_54
; %bb.52:
	v_cmp_lt_i16_e32 vcc_lo, 27, v4
	s_cbranch_vccz .LBB150_55
; %bb.53:
	global_load_b32 v0, v[2:3], off
	s_mov_b32 s0, 0
	s_waitcnt vmcnt(0)
	v_cvt_f64_u32_e32 v[0:1], v0
	s_branch .LBB150_56
.LBB150_54:
	s_mov_b32 s0, -1
                                        ; implicit-def: $vgpr0_vgpr1
	s_branch .LBB150_59
.LBB150_55:
	s_mov_b32 s0, -1
                                        ; implicit-def: $vgpr0_vgpr1
.LBB150_56:
	s_delay_alu instid0(SALU_CYCLE_1)
	s_and_not1_b32 vcc_lo, exec_lo, s0
	s_cbranch_vccnz .LBB150_58
; %bb.57:
	global_load_u16 v0, v[2:3], off
	s_waitcnt vmcnt(0)
	v_cvt_f64_u32_e32 v[0:1], v0
.LBB150_58:
	s_mov_b32 s0, 0
.LBB150_59:
	s_delay_alu instid0(SALU_CYCLE_1)
	s_and_not1_b32 vcc_lo, exec_lo, s0
	s_cbranch_vccnz .LBB150_69
; %bb.60:
	global_load_u8 v5, v[2:3], off
	s_mov_b32 s20, exec_lo
                                        ; implicit-def: $sgpr0_sgpr1
	s_waitcnt vmcnt(0)
	v_cmpx_lt_i16_e32 0x7f, v5
	s_xor_b32 s20, exec_lo, s20
	s_cbranch_execz .LBB150_64
; %bb.61:
	s_mov_b32 s24, -1
	s_mov_b32 s18, exec_lo
                                        ; implicit-def: $sgpr0_sgpr1
	v_cmpx_eq_u16_e32 0x80, v5
; %bb.62:
	s_mov_b32 s1, 0x7ff80000
	s_brev_b32 s0, 4
	s_xor_b32 s24, exec_lo, -1
; %bb.63:
	s_or_b32 exec_lo, exec_lo, s18
	s_delay_alu instid0(SALU_CYCLE_1)
	s_and_b32 s18, s24, exec_lo
.LBB150_64:
	s_or_saveexec_b32 s20, s20
	v_dual_mov_b32 v0, s0 :: v_dual_mov_b32 v1, s1
	s_xor_b32 exec_lo, exec_lo, s20
; %bb.65:
	v_cmp_ne_u16_e32 vcc_lo, 0, v5
	v_mov_b32_e32 v0, 0
	v_mov_b32_e32 v1, 0
	s_and_not1_b32 s0, s18, exec_lo
	s_and_b32 s1, vcc_lo, exec_lo
	s_delay_alu instid0(SALU_CYCLE_1)
	s_or_b32 s18, s0, s1
; %bb.66:
	s_or_b32 exec_lo, exec_lo, s20
	s_and_saveexec_b32 s0, s18
	s_cbranch_execz .LBB150_68
; %bb.67:
	v_and_b32_e32 v0, 0xffff, v5
	v_lshlrev_b32_e32 v5, 24, v5
	s_delay_alu instid0(VALU_DEP_2) | instskip(NEXT) | instid1(VALU_DEP_2)
	v_and_b32_e32 v1, 7, v0
	v_and_b32_e32 v5, 0x80000000, v5
	s_delay_alu instid0(VALU_DEP_2) | instskip(NEXT) | instid1(VALU_DEP_1)
	v_clz_i32_u32_e32 v6, v1
	v_min_u32_e32 v6, 32, v6
	s_delay_alu instid0(VALU_DEP_1) | instskip(SKIP_1) | instid1(VALU_DEP_2)
	v_subrev_nc_u32_e32 v7, 28, v6
	v_sub_nc_u32_e32 v6, 29, v6
	v_lshlrev_b32_e32 v7, v7, v0
	v_bfe_u32 v0, v0, 3, 4
	s_delay_alu instid0(VALU_DEP_2) | instskip(NEXT) | instid1(VALU_DEP_2)
	v_and_b32_e32 v7, 7, v7
	v_cmp_eq_u32_e32 vcc_lo, 0, v0
	s_delay_alu instid0(VALU_DEP_2) | instskip(NEXT) | instid1(VALU_DEP_1)
	v_dual_cndmask_b32 v0, v0, v6 :: v_dual_cndmask_b32 v1, v1, v7
	v_lshl_add_u32 v0, v0, 23, 0x3b800000
	s_delay_alu instid0(VALU_DEP_2) | instskip(NEXT) | instid1(VALU_DEP_1)
	v_lshlrev_b32_e32 v1, 20, v1
	v_or3_b32 v0, v5, v0, v1
	s_delay_alu instid0(VALU_DEP_1)
	v_cvt_f64_f32_e32 v[0:1], v0
.LBB150_68:
	s_or_b32 exec_lo, exec_lo, s0
.LBB150_69:
	s_mov_b32 s0, -1
.LBB150_70:
	s_branch .LBB150_103
.LBB150_71:
	v_cmp_lt_i16_e32 vcc_lo, 22, v4
	s_cbranch_vccz .LBB150_83
; %bb.72:
	v_cmp_gt_i16_e32 vcc_lo, 24, v4
	s_cbranch_vccnz .LBB150_84
; %bb.73:
	v_cmp_lt_i16_e32 vcc_lo, 24, v4
	s_cbranch_vccz .LBB150_85
; %bb.74:
	global_load_u8 v5, v[2:3], off
	s_mov_b32 s18, 0
	s_mov_b32 s20, exec_lo
                                        ; implicit-def: $sgpr0_sgpr1
	s_waitcnt vmcnt(0)
	v_cmpx_lt_i16_e32 0x7f, v5
	s_xor_b32 s20, exec_lo, s20
	s_cbranch_execz .LBB150_78
; %bb.75:
	s_mov_b32 s24, -1
	s_mov_b32 s18, exec_lo
                                        ; implicit-def: $sgpr0_sgpr1
	v_cmpx_eq_u16_e32 0x80, v5
; %bb.76:
	s_mov_b32 s1, 0x7ff80000
	s_brev_b32 s0, 4
	s_xor_b32 s24, exec_lo, -1
; %bb.77:
	s_or_b32 exec_lo, exec_lo, s18
	s_delay_alu instid0(SALU_CYCLE_1)
	s_and_b32 s18, s24, exec_lo
.LBB150_78:
	s_or_saveexec_b32 s20, s20
	v_dual_mov_b32 v0, s0 :: v_dual_mov_b32 v1, s1
	s_xor_b32 exec_lo, exec_lo, s20
; %bb.79:
	v_cmp_ne_u16_e32 vcc_lo, 0, v5
	v_mov_b32_e32 v0, 0
	v_mov_b32_e32 v1, 0
	s_and_not1_b32 s0, s18, exec_lo
	s_and_b32 s1, vcc_lo, exec_lo
	s_delay_alu instid0(SALU_CYCLE_1)
	s_or_b32 s18, s0, s1
; %bb.80:
	s_or_b32 exec_lo, exec_lo, s20
	s_and_saveexec_b32 s0, s18
	s_cbranch_execz .LBB150_82
; %bb.81:
	v_and_b32_e32 v0, 0xffff, v5
	v_lshlrev_b32_e32 v5, 24, v5
	s_delay_alu instid0(VALU_DEP_2) | instskip(NEXT) | instid1(VALU_DEP_2)
	v_and_b32_e32 v1, 3, v0
	v_and_b32_e32 v5, 0x80000000, v5
	s_delay_alu instid0(VALU_DEP_2) | instskip(NEXT) | instid1(VALU_DEP_1)
	v_clz_i32_u32_e32 v6, v1
	v_min_u32_e32 v6, 32, v6
	s_delay_alu instid0(VALU_DEP_1) | instskip(SKIP_1) | instid1(VALU_DEP_2)
	v_subrev_nc_u32_e32 v7, 29, v6
	v_sub_nc_u32_e32 v6, 30, v6
	v_lshlrev_b32_e32 v7, v7, v0
	v_bfe_u32 v0, v0, 2, 5
	s_delay_alu instid0(VALU_DEP_2) | instskip(NEXT) | instid1(VALU_DEP_2)
	v_and_b32_e32 v7, 3, v7
	v_cmp_eq_u32_e32 vcc_lo, 0, v0
	s_delay_alu instid0(VALU_DEP_2) | instskip(NEXT) | instid1(VALU_DEP_1)
	v_dual_cndmask_b32 v0, v0, v6 :: v_dual_cndmask_b32 v1, v1, v7
	v_lshl_add_u32 v0, v0, 23, 0x37800000
	s_delay_alu instid0(VALU_DEP_2) | instskip(NEXT) | instid1(VALU_DEP_1)
	v_lshlrev_b32_e32 v1, 21, v1
	v_or3_b32 v0, v5, v0, v1
	s_delay_alu instid0(VALU_DEP_1)
	v_cvt_f64_f32_e32 v[0:1], v0
.LBB150_82:
	s_or_b32 exec_lo, exec_lo, s0
	s_mov_b32 s0, 0
	s_branch .LBB150_86
.LBB150_83:
	s_mov_b32 s1, -1
                                        ; implicit-def: $vgpr0_vgpr1
	s_branch .LBB150_92
.LBB150_84:
	s_mov_b32 s0, -1
                                        ; implicit-def: $vgpr0_vgpr1
	s_branch .LBB150_89
.LBB150_85:
	s_mov_b32 s0, -1
                                        ; implicit-def: $vgpr0_vgpr1
.LBB150_86:
	s_delay_alu instid0(SALU_CYCLE_1)
	s_and_b32 vcc_lo, exec_lo, s0
	s_cbranch_vccz .LBB150_88
; %bb.87:
	global_load_u8 v0, v[2:3], off
	s_waitcnt vmcnt(0)
	v_lshlrev_b32_e32 v0, 24, v0
	s_delay_alu instid0(VALU_DEP_1) | instskip(NEXT) | instid1(VALU_DEP_1)
	v_and_b32_e32 v1, 0x7f000000, v0
	v_clz_i32_u32_e32 v5, v1
	v_add_nc_u32_e32 v7, 0x1000000, v1
	v_cmp_ne_u32_e32 vcc_lo, 0, v1
	s_delay_alu instid0(VALU_DEP_3) | instskip(NEXT) | instid1(VALU_DEP_1)
	v_min_u32_e32 v5, 32, v5
	v_sub_nc_u32_e64 v5, v5, 4 clamp
	s_delay_alu instid0(VALU_DEP_1) | instskip(SKIP_1) | instid1(VALU_DEP_2)
	v_lshlrev_b32_e32 v6, v5, v1
	v_lshlrev_b32_e32 v5, 23, v5
	v_lshrrev_b32_e32 v6, 4, v6
	s_delay_alu instid0(VALU_DEP_1) | instskip(SKIP_1) | instid1(VALU_DEP_2)
	v_sub_nc_u32_e32 v5, v6, v5
	v_ashrrev_i32_e32 v6, 8, v7
	v_add_nc_u32_e32 v5, 0x3c000000, v5
	s_delay_alu instid0(VALU_DEP_1) | instskip(NEXT) | instid1(VALU_DEP_1)
	v_and_or_b32 v5, 0x7f800000, v6, v5
	v_cndmask_b32_e32 v1, 0, v5, vcc_lo
	s_delay_alu instid0(VALU_DEP_1) | instskip(NEXT) | instid1(VALU_DEP_1)
	v_and_or_b32 v0, 0x80000000, v0, v1
	v_cvt_f64_f32_e32 v[0:1], v0
.LBB150_88:
	s_mov_b32 s0, 0
.LBB150_89:
	s_delay_alu instid0(SALU_CYCLE_1)
	s_and_not1_b32 vcc_lo, exec_lo, s0
	s_cbranch_vccnz .LBB150_91
; %bb.90:
	global_load_u8 v0, v[2:3], off
	s_waitcnt vmcnt(0)
	v_lshlrev_b32_e32 v1, 25, v0
	v_lshlrev_b16 v0, 8, v0
	s_delay_alu instid0(VALU_DEP_1) | instskip(SKIP_1) | instid1(VALU_DEP_2)
	v_and_or_b32 v6, 0x7f00, v0, 0.5
	v_bfe_i32 v0, v0, 0, 16
	v_add_f32_e32 v6, -0.5, v6
	v_lshrrev_b32_e32 v5, 4, v1
	v_cmp_gt_u32_e32 vcc_lo, 0x8000000, v1
	s_delay_alu instid0(VALU_DEP_2) | instskip(NEXT) | instid1(VALU_DEP_1)
	v_or_b32_e32 v5, 0x70000000, v5
	v_mul_f32_e32 v5, 0x7800000, v5
	s_delay_alu instid0(VALU_DEP_1) | instskip(NEXT) | instid1(VALU_DEP_1)
	v_cndmask_b32_e32 v1, v5, v6, vcc_lo
	v_and_or_b32 v0, 0x80000000, v0, v1
	s_delay_alu instid0(VALU_DEP_1)
	v_cvt_f64_f32_e32 v[0:1], v0
.LBB150_91:
	s_mov_b32 s1, 0
	s_mov_b32 s0, -1
.LBB150_92:
	s_and_not1_b32 vcc_lo, exec_lo, s1
	s_cbranch_vccnz .LBB150_103
; %bb.93:
	v_cmp_lt_i16_e32 vcc_lo, 14, v4
	s_cbranch_vccz .LBB150_96
; %bb.94:
	v_cmp_eq_u16_e32 vcc_lo, 15, v4
	s_cbranch_vccz .LBB150_97
; %bb.95:
	global_load_u16 v0, v[2:3], off
	s_mov_b32 s0, -1
	s_mov_b32 s21, 0
	s_waitcnt vmcnt(0)
	v_lshlrev_b32_e32 v0, 16, v0
	s_delay_alu instid0(VALU_DEP_1)
	v_cvt_f64_f32_e32 v[0:1], v0
	s_branch .LBB150_98
.LBB150_96:
	s_mov_b32 s1, -1
                                        ; implicit-def: $vgpr0_vgpr1
	s_branch .LBB150_99
.LBB150_97:
	s_mov_b32 s21, -1
                                        ; implicit-def: $vgpr0_vgpr1
.LBB150_98:
	s_mov_b32 s1, 0
.LBB150_99:
	s_delay_alu instid0(SALU_CYCLE_1)
	s_and_b32 vcc_lo, exec_lo, s1
	s_cbranch_vccz .LBB150_103
; %bb.100:
	v_cmp_eq_u16_e32 vcc_lo, 11, v4
	s_cbranch_vccz .LBB150_102
; %bb.101:
	global_load_u8 v0, v[2:3], off
	s_mov_b32 s21, 0
	s_mov_b32 s0, -1
	s_waitcnt vmcnt(0)
	v_cmp_ne_u16_e32 vcc_lo, 0, v0
	v_mov_b32_e32 v0, 0
	v_cndmask_b32_e64 v1, 0, 0x3ff00000, vcc_lo
	s_branch .LBB150_103
.LBB150_102:
	s_mov_b32 s21, -1
                                        ; implicit-def: $vgpr0_vgpr1
.LBB150_103:
	s_branch .LBB150_10
.LBB150_104:
	v_cmp_gt_i16_e32 vcc_lo, 5, v4
	s_cbranch_vccnz .LBB150_109
; %bb.105:
	v_cmp_gt_i16_e32 vcc_lo, 8, v4
	s_cbranch_vccnz .LBB150_110
; %bb.106:
	;; [unrolled: 3-line block ×3, first 2 shown]
	v_cmp_lt_i16_e32 vcc_lo, 9, v4
	s_cbranch_vccz .LBB150_112
; %bb.108:
	global_load_b64 v[0:1], v[2:3], off
	s_mov_b32 s0, 0
	s_branch .LBB150_113
.LBB150_109:
                                        ; implicit-def: $vgpr0_vgpr1
	s_branch .LBB150_131
.LBB150_110:
	s_mov_b32 s0, -1
                                        ; implicit-def: $vgpr0_vgpr1
	s_branch .LBB150_119
.LBB150_111:
	s_mov_b32 s0, -1
                                        ; implicit-def: $vgpr0_vgpr1
	s_branch .LBB150_116
.LBB150_112:
	s_mov_b32 s0, -1
                                        ; implicit-def: $vgpr0_vgpr1
.LBB150_113:
	s_delay_alu instid0(SALU_CYCLE_1)
	s_and_not1_b32 vcc_lo, exec_lo, s0
	s_cbranch_vccnz .LBB150_115
; %bb.114:
	global_load_b32 v0, v[2:3], off
	s_waitcnt vmcnt(0)
	v_cvt_f64_f32_e32 v[0:1], v0
.LBB150_115:
	s_mov_b32 s0, 0
.LBB150_116:
	s_delay_alu instid0(SALU_CYCLE_1)
	s_and_not1_b32 vcc_lo, exec_lo, s0
	s_cbranch_vccnz .LBB150_118
; %bb.117:
	global_load_b32 v0, v[2:3], off
	s_waitcnt vmcnt(0)
	v_cvt_f32_f16_e32 v0, v0
	s_delay_alu instid0(VALU_DEP_1)
	v_cvt_f64_f32_e32 v[0:1], v0
.LBB150_118:
	s_mov_b32 s0, 0
.LBB150_119:
	s_delay_alu instid0(SALU_CYCLE_1)
	s_and_not1_b32 vcc_lo, exec_lo, s0
	s_cbranch_vccnz .LBB150_130
; %bb.120:
	v_cmp_gt_i16_e32 vcc_lo, 6, v4
	s_cbranch_vccnz .LBB150_123
; %bb.121:
	v_cmp_lt_i16_e32 vcc_lo, 6, v4
	s_cbranch_vccz .LBB150_124
; %bb.122:
	global_load_b64 v[0:1], v[2:3], off
	s_mov_b32 s0, 0
	s_branch .LBB150_125
.LBB150_123:
	s_mov_b32 s0, -1
                                        ; implicit-def: $vgpr0_vgpr1
	s_branch .LBB150_128
.LBB150_124:
	s_mov_b32 s0, -1
                                        ; implicit-def: $vgpr0_vgpr1
.LBB150_125:
	s_delay_alu instid0(SALU_CYCLE_1)
	s_and_not1_b32 vcc_lo, exec_lo, s0
	s_cbranch_vccnz .LBB150_127
; %bb.126:
	global_load_b32 v0, v[2:3], off
	s_waitcnt vmcnt(0)
	v_cvt_f64_f32_e32 v[0:1], v0
.LBB150_127:
	s_mov_b32 s0, 0
.LBB150_128:
	s_delay_alu instid0(SALU_CYCLE_1)
	s_and_not1_b32 vcc_lo, exec_lo, s0
	s_cbranch_vccnz .LBB150_130
; %bb.129:
	global_load_u16 v0, v[2:3], off
	s_waitcnt vmcnt(0)
	v_cvt_f32_f16_e32 v0, v0
	s_delay_alu instid0(VALU_DEP_1)
	v_cvt_f64_f32_e32 v[0:1], v0
.LBB150_130:
	s_cbranch_execnz .LBB150_150
.LBB150_131:
	v_cmp_gt_i16_e32 vcc_lo, 2, v4
	s_cbranch_vccnz .LBB150_135
; %bb.132:
	v_cmp_gt_i16_e32 vcc_lo, 3, v4
	s_cbranch_vccnz .LBB150_136
; %bb.133:
	v_cmp_lt_i16_e32 vcc_lo, 3, v4
	s_cbranch_vccz .LBB150_137
; %bb.134:
	global_load_b64 v[0:1], v[2:3], off
	s_mov_b32 s0, 0
	s_waitcnt vmcnt(0)
	v_cvt_f64_i32_e32 v[5:6], v1
	v_cvt_f64_u32_e32 v[0:1], v0
	s_delay_alu instid0(VALU_DEP_2) | instskip(NEXT) | instid1(VALU_DEP_1)
	v_ldexp_f64 v[5:6], v[5:6], 32
	v_add_f64 v[0:1], v[5:6], v[0:1]
	s_branch .LBB150_138
.LBB150_135:
	s_mov_b32 s0, -1
                                        ; implicit-def: $vgpr0_vgpr1
	s_branch .LBB150_144
.LBB150_136:
	s_mov_b32 s0, -1
                                        ; implicit-def: $vgpr0_vgpr1
	s_branch .LBB150_141
.LBB150_137:
	s_mov_b32 s0, -1
                                        ; implicit-def: $vgpr0_vgpr1
.LBB150_138:
	s_delay_alu instid0(SALU_CYCLE_1)
	s_and_not1_b32 vcc_lo, exec_lo, s0
	s_cbranch_vccnz .LBB150_140
; %bb.139:
	global_load_b32 v0, v[2:3], off
	s_waitcnt vmcnt(0)
	v_cvt_f64_i32_e32 v[0:1], v0
.LBB150_140:
	s_mov_b32 s0, 0
.LBB150_141:
	s_delay_alu instid0(SALU_CYCLE_1)
	s_and_not1_b32 vcc_lo, exec_lo, s0
	s_cbranch_vccnz .LBB150_143
; %bb.142:
	global_load_i16 v0, v[2:3], off
	s_waitcnt vmcnt(0)
	v_cvt_f64_i32_e32 v[0:1], v0
.LBB150_143:
	s_mov_b32 s0, 0
.LBB150_144:
	s_delay_alu instid0(SALU_CYCLE_1)
	s_and_not1_b32 vcc_lo, exec_lo, s0
	s_cbranch_vccnz .LBB150_150
; %bb.145:
	v_cmp_lt_i16_e32 vcc_lo, 0, v4
	s_mov_b32 s0, 0
	s_cbranch_vccz .LBB150_147
; %bb.146:
	global_load_i8 v0, v[2:3], off
	s_waitcnt vmcnt(0)
	v_cvt_f64_i32_e32 v[0:1], v0
	s_branch .LBB150_148
.LBB150_147:
	s_mov_b32 s0, -1
                                        ; implicit-def: $vgpr0_vgpr1
.LBB150_148:
	s_delay_alu instid0(SALU_CYCLE_1)
	s_and_not1_b32 vcc_lo, exec_lo, s0
	s_cbranch_vccnz .LBB150_150
; %bb.149:
	global_load_u8 v0, v[2:3], off
	s_waitcnt vmcnt(0)
	v_cvt_f64_u32_e32 v[0:1], v0
.LBB150_150:
	s_branch .LBB150_11
.LBB150_151:
	s_mov_b32 s0, 0
	s_mov_b32 s1, 0
	s_branch .LBB150_375
.LBB150_152:
	s_mov_b32 s1, -1
.LBB150_153:
	s_mov_b32 s0, 0
                                        ; implicit-def: $vgpr4
.LBB150_154:
	s_and_b32 vcc_lo, exec_lo, s18
	s_cbranch_vccz .LBB150_269
; %bb.155:
	v_cmp_eq_u16_e32 vcc_lo, 44, v6
	s_cbranch_vccz .LBB150_268
; %bb.156:
	global_load_u8 v4, v[2:3], off
	s_mov_b32 s1, 0
	s_mov_b32 s0, -1
	s_waitcnt vmcnt(0)
	v_lshlrev_b32_e32 v5, 23, v4
	v_cmp_ne_u32_e32 vcc_lo, 0, v4
	s_delay_alu instid0(VALU_DEP_2) | instskip(NEXT) | instid1(VALU_DEP_1)
	v_trunc_f32_e32 v5, v5
	v_mul_f32_e64 v7, 0x2f800000, |v5|
	s_delay_alu instid0(VALU_DEP_1) | instskip(NEXT) | instid1(VALU_DEP_1)
	v_floor_f32_e32 v7, v7
	v_fma_f32 v7, 0xcf800000, v7, |v5|
	v_ashrrev_i32_e32 v5, 31, v5
	s_delay_alu instid0(VALU_DEP_2) | instskip(NEXT) | instid1(VALU_DEP_1)
	v_cvt_u32_f32_e32 v7, v7
	v_xor_b32_e32 v7, v7, v5
	s_delay_alu instid0(VALU_DEP_1) | instskip(NEXT) | instid1(VALU_DEP_1)
	v_sub_nc_u32_e32 v5, v7, v5
	v_cndmask_b32_e32 v4, 0, v5, vcc_lo
	s_branch .LBB150_269
.LBB150_157:
	s_mov_b32 s20, -1
	s_mov_b32 s0, 0
	s_mov_b32 s18, 0
.LBB150_158:
	s_and_b32 vcc_lo, exec_lo, s20
	s_cbranch_vccz .LBB150_163
; %bb.159:
	v_cmp_eq_u16_e32 vcc_lo, 44, v6
	s_mov_b32 s0, -1
	s_cbranch_vccz .LBB150_163
; %bb.160:
	v_cvt_f32_f64_e32 v2, v[0:1]
	v_mov_b32_e32 v3, 0xff
	s_mov_b32 s18, exec_lo
	s_delay_alu instid0(VALU_DEP_2) | instskip(NEXT) | instid1(VALU_DEP_1)
	v_bfe_u32 v7, v2, 23, 8
	v_cmpx_ne_u32_e32 0xff, v7
; %bb.161:
	v_and_b32_e32 v3, 0x400000, v2
	v_and_or_b32 v7, 0x3fffff, v2, v7
	v_lshrrev_b32_e32 v2, 23, v2
	s_delay_alu instid0(VALU_DEP_3) | instskip(NEXT) | instid1(VALU_DEP_3)
	v_cmp_ne_u32_e32 vcc_lo, 0, v3
	v_cmp_ne_u32_e64 s0, 0, v7
	s_delay_alu instid0(VALU_DEP_1) | instskip(NEXT) | instid1(SALU_CYCLE_1)
	s_and_b32 s0, vcc_lo, s0
	v_cndmask_b32_e64 v3, 0, 1, s0
	s_delay_alu instid0(VALU_DEP_1)
	v_add_nc_u32_e32 v3, v2, v3
; %bb.162:
	s_or_b32 exec_lo, exec_lo, s18
	s_mov_b32 s18, -1
	s_mov_b32 s0, 0
	global_store_b8 v[4:5], v3, off
.LBB150_163:
	s_mov_b32 s20, 0
.LBB150_164:
	s_delay_alu instid0(SALU_CYCLE_1)
	s_and_b32 vcc_lo, exec_lo, s20
	s_cbranch_vccz .LBB150_167
; %bb.165:
	v_cmp_eq_u16_e32 vcc_lo, 29, v6
	s_mov_b32 s0, -1
	s_cbranch_vccz .LBB150_167
; %bb.166:
	v_trunc_f64_e32 v[2:3], v[0:1]
	s_mov_b32 s18, -1
	s_mov_b32 s0, 0
	s_mov_b32 s20, 0
	s_delay_alu instid0(VALU_DEP_1) | instskip(NEXT) | instid1(VALU_DEP_1)
	v_ldexp_f64 v[7:8], v[2:3], 0xffffffe0
	v_floor_f64_e32 v[7:8], v[7:8]
	s_delay_alu instid0(VALU_DEP_1) | instskip(SKIP_1) | instid1(VALU_DEP_2)
	v_fma_f64 v[2:3], 0xc1f00000, v[7:8], v[2:3]
	v_cvt_u32_f64_e32 v8, v[7:8]
	v_cvt_u32_f64_e32 v7, v[2:3]
	global_store_b64 v[4:5], v[7:8], off
	s_branch .LBB150_168
.LBB150_167:
	s_mov_b32 s20, 0
.LBB150_168:
	s_delay_alu instid0(SALU_CYCLE_1)
	s_and_b32 vcc_lo, exec_lo, s20
	s_cbranch_vccz .LBB150_184
; %bb.169:
	v_cmp_gt_i16_e32 vcc_lo, 27, v6
	s_mov_b32 s18, -1
	s_cbranch_vccnz .LBB150_175
; %bb.170:
	v_cmp_lt_i16_e32 vcc_lo, 27, v6
	s_cbranch_vccz .LBB150_172
; %bb.171:
	v_cvt_u32_f64_e32 v2, v[0:1]
	s_mov_b32 s18, 0
	global_store_b32 v[4:5], v2, off
.LBB150_172:
	s_and_not1_b32 vcc_lo, exec_lo, s18
	s_cbranch_vccnz .LBB150_174
; %bb.173:
	v_cvt_u32_f64_e32 v2, v[0:1]
	global_store_b16 v[4:5], v2, off
.LBB150_174:
	s_mov_b32 s18, 0
.LBB150_175:
	s_delay_alu instid0(SALU_CYCLE_1)
	s_and_not1_b32 vcc_lo, exec_lo, s18
	s_cbranch_vccnz .LBB150_183
; %bb.176:
	s_delay_alu instid0(VALU_DEP_4) | instskip(SKIP_2) | instid1(VALU_DEP_2)
	v_cvt_f32_f64_e32 v2, v[0:1]
	v_mov_b32_e32 v7, 0x80
	s_mov_b32 s18, exec_lo
	v_and_b32_e32 v3, 0x7fffffff, v2
	s_delay_alu instid0(VALU_DEP_1)
	v_cmpx_gt_u32_e32 0x43800000, v3
	s_cbranch_execz .LBB150_182
; %bb.177:
	v_cmp_lt_u32_e32 vcc_lo, 0x3bffffff, v3
	s_mov_b32 s20, 0
                                        ; implicit-def: $vgpr3
	s_and_saveexec_b32 s24, vcc_lo
	s_delay_alu instid0(SALU_CYCLE_1)
	s_xor_b32 s24, exec_lo, s24
	s_cbranch_execz .LBB150_403
; %bb.178:
	v_bfe_u32 v3, v2, 20, 1
	s_mov_b32 s20, exec_lo
	s_delay_alu instid0(VALU_DEP_1) | instskip(NEXT) | instid1(VALU_DEP_1)
	v_add3_u32 v3, v2, v3, 0x487ffff
	v_lshrrev_b32_e32 v3, 20, v3
	s_or_saveexec_b32 s24, s24
                                        ; implicit-def: $sgpr25
	s_delay_alu instid0(SALU_CYCLE_1)
	s_xor_b32 exec_lo, exec_lo, s24
	s_cbranch_execnz .LBB150_404
.LBB150_179:
	s_or_b32 exec_lo, exec_lo, s24
	v_mov_b32_e32 v7, s25
	s_and_saveexec_b32 s24, s20
.LBB150_180:
	v_lshrrev_b32_e32 v2, 24, v2
	s_delay_alu instid0(VALU_DEP_1)
	v_and_or_b32 v7, 0x80, v2, v3
.LBB150_181:
	s_or_b32 exec_lo, exec_lo, s24
.LBB150_182:
	s_delay_alu instid0(SALU_CYCLE_1)
	s_or_b32 exec_lo, exec_lo, s18
	global_store_b8 v[4:5], v7, off
.LBB150_183:
	s_mov_b32 s18, -1
.LBB150_184:
	s_mov_b32 s20, 0
.LBB150_185:
	s_delay_alu instid0(SALU_CYCLE_1)
	s_and_b32 vcc_lo, exec_lo, s20
	s_cbranch_vccz .LBB150_226
; %bb.186:
	v_cmp_lt_i16_e32 vcc_lo, 22, v6
	s_mov_b32 s20, -1
	s_cbranch_vccz .LBB150_218
; %bb.187:
	v_cmp_gt_i16_e32 vcc_lo, 24, v6
	s_mov_b32 s18, -1
	s_cbranch_vccnz .LBB150_207
; %bb.188:
	v_cmp_lt_i16_e32 vcc_lo, 24, v6
	s_cbranch_vccz .LBB150_196
; %bb.189:
	v_cvt_f32_f64_e32 v2, v[0:1]
	v_mov_b32_e32 v7, 0x80
	s_mov_b32 s18, exec_lo
	s_delay_alu instid0(VALU_DEP_2) | instskip(NEXT) | instid1(VALU_DEP_1)
	v_and_b32_e32 v3, 0x7fffffff, v2
	v_cmpx_gt_u32_e32 0x47800000, v3
	s_cbranch_execz .LBB150_195
; %bb.190:
	v_cmp_lt_u32_e32 vcc_lo, 0x37ffffff, v3
	s_mov_b32 s20, 0
                                        ; implicit-def: $vgpr3
	s_and_saveexec_b32 s24, vcc_lo
	s_delay_alu instid0(SALU_CYCLE_1)
	s_xor_b32 s24, exec_lo, s24
	s_cbranch_execz .LBB150_522
; %bb.191:
	v_bfe_u32 v3, v2, 21, 1
	s_mov_b32 s20, exec_lo
	s_delay_alu instid0(VALU_DEP_1) | instskip(NEXT) | instid1(VALU_DEP_1)
	v_add3_u32 v3, v2, v3, 0x88fffff
	v_lshrrev_b32_e32 v3, 21, v3
	s_or_saveexec_b32 s24, s24
                                        ; implicit-def: $sgpr25
	s_delay_alu instid0(SALU_CYCLE_1)
	s_xor_b32 exec_lo, exec_lo, s24
	s_cbranch_execnz .LBB150_523
.LBB150_192:
	s_or_b32 exec_lo, exec_lo, s24
	v_mov_b32_e32 v7, s25
	s_and_saveexec_b32 s24, s20
.LBB150_193:
	v_lshrrev_b32_e32 v2, 24, v2
	s_delay_alu instid0(VALU_DEP_1)
	v_and_or_b32 v7, 0x80, v2, v3
.LBB150_194:
	s_or_b32 exec_lo, exec_lo, s24
.LBB150_195:
	s_delay_alu instid0(SALU_CYCLE_1)
	s_or_b32 exec_lo, exec_lo, s18
	s_mov_b32 s18, 0
	global_store_b8 v[4:5], v7, off
.LBB150_196:
	s_and_b32 vcc_lo, exec_lo, s18
	s_cbranch_vccz .LBB150_206
; %bb.197:
	v_cvt_f32_f64_e32 v2, v[0:1]
	s_mov_b32 s18, exec_lo
                                        ; implicit-def: $vgpr3
	s_delay_alu instid0(VALU_DEP_1) | instskip(NEXT) | instid1(VALU_DEP_1)
	v_and_b32_e32 v7, 0x7fffffff, v2
	v_cmpx_gt_u32_e32 0x43f00000, v7
	s_xor_b32 s18, exec_lo, s18
	s_cbranch_execz .LBB150_203
; %bb.198:
	s_mov_b32 s20, exec_lo
                                        ; implicit-def: $vgpr3
	v_cmpx_lt_u32_e32 0x3c7fffff, v7
	s_xor_b32 s20, exec_lo, s20
; %bb.199:
	v_bfe_u32 v3, v2, 20, 1
	s_delay_alu instid0(VALU_DEP_1) | instskip(NEXT) | instid1(VALU_DEP_1)
	v_add3_u32 v3, v2, v3, 0x407ffff
	v_and_b32_e32 v7, 0xff00000, v3
	v_lshrrev_b32_e32 v3, 20, v3
	s_delay_alu instid0(VALU_DEP_2) | instskip(NEXT) | instid1(VALU_DEP_2)
	v_cmp_ne_u32_e32 vcc_lo, 0x7f00000, v7
	v_cndmask_b32_e32 v3, 0x7e, v3, vcc_lo
; %bb.200:
	s_and_not1_saveexec_b32 s20, s20
; %bb.201:
	v_add_f32_e64 v3, 0x46800000, |v2|
; %bb.202:
	s_or_b32 exec_lo, exec_lo, s20
                                        ; implicit-def: $vgpr7
.LBB150_203:
	s_and_not1_saveexec_b32 s18, s18
; %bb.204:
	v_mov_b32_e32 v3, 0x7f
	v_cmp_lt_u32_e32 vcc_lo, 0x7f800000, v7
	s_delay_alu instid0(VALU_DEP_2)
	v_cndmask_b32_e32 v3, 0x7e, v3, vcc_lo
; %bb.205:
	s_or_b32 exec_lo, exec_lo, s18
	v_lshrrev_b32_e32 v2, 24, v2
	s_delay_alu instid0(VALU_DEP_1)
	v_and_or_b32 v2, 0x80, v2, v3
	global_store_b8 v[4:5], v2, off
.LBB150_206:
	s_mov_b32 s18, 0
.LBB150_207:
	s_delay_alu instid0(SALU_CYCLE_1)
	s_and_not1_b32 vcc_lo, exec_lo, s18
	s_cbranch_vccnz .LBB150_217
; %bb.208:
	s_delay_alu instid0(VALU_DEP_4) | instskip(SKIP_1) | instid1(VALU_DEP_1)
	v_cvt_f32_f64_e32 v2, v[0:1]
	s_mov_b32 s18, exec_lo
                                        ; implicit-def: $vgpr3
	v_and_b32_e32 v7, 0x7fffffff, v2
	s_delay_alu instid0(VALU_DEP_1)
	v_cmpx_gt_u32_e32 0x47800000, v7
	s_xor_b32 s18, exec_lo, s18
	s_cbranch_execz .LBB150_214
; %bb.209:
	s_mov_b32 s20, exec_lo
                                        ; implicit-def: $vgpr3
	v_cmpx_lt_u32_e32 0x387fffff, v7
	s_xor_b32 s20, exec_lo, s20
; %bb.210:
	v_bfe_u32 v3, v2, 21, 1
	s_delay_alu instid0(VALU_DEP_1) | instskip(NEXT) | instid1(VALU_DEP_1)
	v_add3_u32 v3, v2, v3, 0x80fffff
	v_lshrrev_b32_e32 v3, 21, v3
; %bb.211:
	s_and_not1_saveexec_b32 s20, s20
; %bb.212:
	v_add_f32_e64 v3, 0x43000000, |v2|
; %bb.213:
	s_or_b32 exec_lo, exec_lo, s20
                                        ; implicit-def: $vgpr7
.LBB150_214:
	s_and_not1_saveexec_b32 s18, s18
; %bb.215:
	v_mov_b32_e32 v3, 0x7f
	v_cmp_lt_u32_e32 vcc_lo, 0x7f800000, v7
	s_delay_alu instid0(VALU_DEP_2)
	v_cndmask_b32_e32 v3, 0x7c, v3, vcc_lo
; %bb.216:
	s_or_b32 exec_lo, exec_lo, s18
	v_lshrrev_b32_e32 v2, 24, v2
	s_delay_alu instid0(VALU_DEP_1)
	v_and_or_b32 v2, 0x80, v2, v3
	global_store_b8 v[4:5], v2, off
.LBB150_217:
	s_mov_b32 s20, 0
	s_mov_b32 s18, -1
.LBB150_218:
	s_and_not1_b32 vcc_lo, exec_lo, s20
	s_cbranch_vccnz .LBB150_226
; %bb.219:
	v_cmp_lt_i16_e32 vcc_lo, 14, v6
	s_mov_b32 s20, -1
	s_cbranch_vccz .LBB150_223
; %bb.220:
	v_cmp_eq_u16_e32 vcc_lo, 15, v6
	s_mov_b32 s0, -1
	s_cbranch_vccz .LBB150_222
; %bb.221:
	v_cvt_f32_f64_e32 v2, v[0:1]
	s_mov_b32 s18, -1
	s_mov_b32 s0, 0
	s_delay_alu instid0(VALU_DEP_1) | instskip(SKIP_1) | instid1(VALU_DEP_2)
	v_bfe_u32 v3, v2, 16, 1
	v_cmp_o_f32_e32 vcc_lo, v2, v2
	v_add3_u32 v3, v2, v3, 0x7fff
	s_delay_alu instid0(VALU_DEP_1) | instskip(NEXT) | instid1(VALU_DEP_1)
	v_lshrrev_b32_e32 v3, 16, v3
	v_cndmask_b32_e32 v2, 0x7fc0, v3, vcc_lo
	global_store_b16 v[4:5], v2, off
.LBB150_222:
	s_mov_b32 s20, 0
.LBB150_223:
	s_delay_alu instid0(SALU_CYCLE_1)
	s_and_b32 vcc_lo, exec_lo, s20
	s_cbranch_vccz .LBB150_226
; %bb.224:
	v_cmp_eq_u16_e32 vcc_lo, 11, v6
	s_mov_b32 s0, -1
	s_cbranch_vccz .LBB150_226
; %bb.225:
	v_cmp_neq_f64_e32 vcc_lo, 0, v[0:1]
	s_mov_b32 s18, -1
	s_mov_b32 s0, 0
	v_cndmask_b32_e64 v2, 0, 1, vcc_lo
	global_store_b8 v[4:5], v2, off
.LBB150_226:
	s_mov_b32 s20, 0
.LBB150_227:
	s_delay_alu instid0(SALU_CYCLE_1)
	s_and_b32 vcc_lo, exec_lo, s20
	s_cbranch_vccz .LBB150_266
; %bb.228:
	v_cmp_gt_i16_e32 vcc_lo, 5, v6
	s_mov_b32 s18, -1
	s_cbranch_vccnz .LBB150_249
; %bb.229:
	v_cmp_gt_i16_e32 vcc_lo, 8, v6
	s_cbranch_vccnz .LBB150_239
; %bb.230:
	v_cmp_gt_i16_e32 vcc_lo, 9, v6
	s_cbranch_vccnz .LBB150_236
; %bb.231:
	v_cmp_lt_i16_e32 vcc_lo, 9, v6
	s_cbranch_vccz .LBB150_233
; %bb.232:
	v_mov_b32_e32 v2, 0
	s_mov_b32 s18, 0
	s_delay_alu instid0(VALU_DEP_1)
	v_mov_b32_e32 v3, v2
	global_store_b128 v[4:5], v[0:3], off
.LBB150_233:
	s_and_not1_b32 vcc_lo, exec_lo, s18
	s_cbranch_vccnz .LBB150_235
; %bb.234:
	v_cvt_f32_f64_e32 v2, v[0:1]
	v_mov_b32_e32 v3, 0
	global_store_b64 v[4:5], v[2:3], off
.LBB150_235:
	s_mov_b32 s18, 0
.LBB150_236:
	s_delay_alu instid0(SALU_CYCLE_1)
	s_and_not1_b32 vcc_lo, exec_lo, s18
	s_cbranch_vccnz .LBB150_238
; %bb.237:
	s_delay_alu instid0(VALU_DEP_4) | instskip(NEXT) | instid1(VALU_DEP_1)
	v_cvt_f32_f64_e32 v2, v[0:1]
	v_cvt_f16_f32_e32 v2, v2
	s_delay_alu instid0(VALU_DEP_1)
	v_and_b32_e32 v2, 0xffff, v2
	global_store_b32 v[4:5], v2, off
.LBB150_238:
	s_mov_b32 s18, 0
.LBB150_239:
	s_delay_alu instid0(SALU_CYCLE_1)
	s_and_not1_b32 vcc_lo, exec_lo, s18
	s_cbranch_vccnz .LBB150_248
; %bb.240:
	v_cmp_gt_i16_e32 vcc_lo, 6, v6
	s_mov_b32 s18, -1
	s_cbranch_vccnz .LBB150_246
; %bb.241:
	v_cmp_lt_i16_e32 vcc_lo, 6, v6
	s_cbranch_vccz .LBB150_243
; %bb.242:
	s_mov_b32 s18, 0
	global_store_b64 v[4:5], v[0:1], off
.LBB150_243:
	s_and_not1_b32 vcc_lo, exec_lo, s18
	s_cbranch_vccnz .LBB150_245
; %bb.244:
	v_cvt_f32_f64_e32 v2, v[0:1]
	global_store_b32 v[4:5], v2, off
.LBB150_245:
	s_mov_b32 s18, 0
.LBB150_246:
	s_delay_alu instid0(SALU_CYCLE_1)
	s_and_not1_b32 vcc_lo, exec_lo, s18
	s_cbranch_vccnz .LBB150_248
; %bb.247:
	s_delay_alu instid0(VALU_DEP_4) | instskip(NEXT) | instid1(VALU_DEP_1)
	v_cvt_f32_f64_e32 v2, v[0:1]
	v_cvt_f16_f32_e32 v2, v2
	global_store_b16 v[4:5], v2, off
.LBB150_248:
	s_mov_b32 s18, 0
.LBB150_249:
	s_delay_alu instid0(SALU_CYCLE_1)
	s_and_not1_b32 vcc_lo, exec_lo, s18
	s_cbranch_vccnz .LBB150_265
; %bb.250:
	v_cmp_gt_i16_e32 vcc_lo, 2, v6
	s_mov_b32 s18, -1
	s_cbranch_vccnz .LBB150_260
; %bb.251:
	v_cmp_gt_i16_e32 vcc_lo, 3, v6
	s_cbranch_vccnz .LBB150_257
; %bb.252:
	v_cmp_lt_i16_e32 vcc_lo, 3, v6
	s_cbranch_vccz .LBB150_254
; %bb.253:
	v_trunc_f64_e32 v[2:3], v[0:1]
	s_mov_b32 s18, 0
	s_delay_alu instid0(VALU_DEP_1) | instskip(NEXT) | instid1(VALU_DEP_1)
	v_ldexp_f64 v[7:8], v[2:3], 0xffffffe0
	v_floor_f64_e32 v[7:8], v[7:8]
	s_delay_alu instid0(VALU_DEP_1) | instskip(SKIP_1) | instid1(VALU_DEP_2)
	v_fma_f64 v[2:3], 0xc1f00000, v[7:8], v[2:3]
	v_cvt_i32_f64_e32 v8, v[7:8]
	v_cvt_u32_f64_e32 v7, v[2:3]
	global_store_b64 v[4:5], v[7:8], off
.LBB150_254:
	s_and_not1_b32 vcc_lo, exec_lo, s18
	s_cbranch_vccnz .LBB150_256
; %bb.255:
	v_cvt_i32_f64_e32 v2, v[0:1]
	global_store_b32 v[4:5], v2, off
.LBB150_256:
	s_mov_b32 s18, 0
.LBB150_257:
	s_delay_alu instid0(SALU_CYCLE_1)
	s_and_not1_b32 vcc_lo, exec_lo, s18
	s_cbranch_vccnz .LBB150_259
; %bb.258:
	s_delay_alu instid0(VALU_DEP_4)
	v_cvt_i32_f64_e32 v2, v[0:1]
	global_store_b16 v[4:5], v2, off
.LBB150_259:
	s_mov_b32 s18, 0
.LBB150_260:
	s_delay_alu instid0(SALU_CYCLE_1)
	s_and_not1_b32 vcc_lo, exec_lo, s18
	s_cbranch_vccnz .LBB150_265
; %bb.261:
	v_cmp_lt_i16_e32 vcc_lo, 0, v6
	s_mov_b32 s18, -1
	s_cbranch_vccz .LBB150_263
; %bb.262:
	s_delay_alu instid0(VALU_DEP_4)
	v_cvt_i32_f64_e32 v2, v[0:1]
	s_mov_b32 s18, 0
	global_store_b8 v[4:5], v2, off
.LBB150_263:
	s_and_not1_b32 vcc_lo, exec_lo, s18
	s_cbranch_vccnz .LBB150_265
; %bb.264:
	s_delay_alu instid0(VALU_DEP_4) | instskip(NEXT) | instid1(VALU_DEP_1)
	v_trunc_f64_e32 v[0:1], v[0:1]
	v_ldexp_f64 v[2:3], v[0:1], 0xffffffe0
	s_delay_alu instid0(VALU_DEP_1) | instskip(NEXT) | instid1(VALU_DEP_1)
	v_floor_f64_e32 v[2:3], v[2:3]
	v_fma_f64 v[0:1], 0xc1f00000, v[2:3], v[0:1]
	s_delay_alu instid0(VALU_DEP_1)
	v_cvt_u32_f64_e32 v0, v[0:1]
	global_store_b8 v[4:5], v0, off
.LBB150_265:
	s_mov_b32 s18, -1
.LBB150_266:
	s_delay_alu instid0(SALU_CYCLE_1)
	s_and_not1_b32 vcc_lo, exec_lo, s18
	s_cbranch_vccnz .LBB150_375
; %bb.267:
	v_add_nc_u32_e32 v16, 0x80, v16
	s_mov_b32 s24, -1
	s_branch .LBB150_376
.LBB150_268:
	s_mov_b32 s1, -1
                                        ; implicit-def: $vgpr4
.LBB150_269:
	s_mov_b32 s18, 0
.LBB150_270:
	s_delay_alu instid0(SALU_CYCLE_1)
	s_and_b32 vcc_lo, exec_lo, s18
	s_cbranch_vccz .LBB150_274
; %bb.271:
	v_cmp_eq_u16_e32 vcc_lo, 29, v6
	s_cbranch_vccz .LBB150_273
; %bb.272:
	global_load_b64 v[4:5], v[2:3], off
	s_mov_b32 s0, -1
	s_mov_b32 s1, 0
	s_branch .LBB150_274
.LBB150_273:
	s_mov_b32 s1, -1
                                        ; implicit-def: $vgpr4
.LBB150_274:
	s_mov_b32 s18, 0
.LBB150_275:
	s_delay_alu instid0(SALU_CYCLE_1)
	s_and_b32 vcc_lo, exec_lo, s18
	s_cbranch_vccz .LBB150_291
; %bb.276:
	v_cmp_gt_i16_e32 vcc_lo, 27, v6
	s_cbranch_vccnz .LBB150_279
; %bb.277:
	v_cmp_lt_i16_e32 vcc_lo, 27, v6
	s_cbranch_vccz .LBB150_280
; %bb.278:
	global_load_b32 v4, v[2:3], off
	s_mov_b32 s0, 0
	s_branch .LBB150_281
.LBB150_279:
	s_mov_b32 s0, -1
                                        ; implicit-def: $vgpr4
	s_branch .LBB150_284
.LBB150_280:
	s_mov_b32 s0, -1
                                        ; implicit-def: $vgpr4
.LBB150_281:
	s_delay_alu instid0(SALU_CYCLE_1)
	s_and_not1_b32 vcc_lo, exec_lo, s0
	s_cbranch_vccnz .LBB150_283
; %bb.282:
	global_load_u16 v4, v[2:3], off
.LBB150_283:
	s_mov_b32 s0, 0
.LBB150_284:
	s_delay_alu instid0(SALU_CYCLE_1)
	s_and_not1_b32 vcc_lo, exec_lo, s0
	s_cbranch_vccnz .LBB150_290
; %bb.285:
	global_load_u8 v5, v[2:3], off
	s_mov_b32 s18, 0
	s_mov_b32 s0, exec_lo
                                        ; implicit-def: $sgpr20
	s_waitcnt vmcnt(0)
	v_cmpx_lt_i16_e32 0x7f, v5
	s_xor_b32 s0, exec_lo, s0
	s_cbranch_execz .LBB150_302
; %bb.286:
	v_cmp_ne_u16_e32 vcc_lo, 0x80, v5
	s_mov_b32 s20, 0
	s_and_b32 s18, vcc_lo, exec_lo
	s_or_saveexec_b32 s0, s0
	v_mov_b32_e32 v4, s20
	s_xor_b32 exec_lo, exec_lo, s0
	s_cbranch_execnz .LBB150_303
.LBB150_287:
	s_or_b32 exec_lo, exec_lo, s0
	s_and_saveexec_b32 s0, s18
	s_cbranch_execz .LBB150_289
.LBB150_288:
	v_and_b32_e32 v4, 0xffff, v5
	v_lshlrev_b32_e32 v5, 24, v5
	s_delay_alu instid0(VALU_DEP_2) | instskip(NEXT) | instid1(VALU_DEP_2)
	v_and_b32_e32 v7, 7, v4
	v_and_b32_e32 v5, 0x80000000, v5
	s_delay_alu instid0(VALU_DEP_2) | instskip(NEXT) | instid1(VALU_DEP_1)
	v_clz_i32_u32_e32 v8, v7
	v_min_u32_e32 v8, 32, v8
	s_delay_alu instid0(VALU_DEP_1) | instskip(SKIP_1) | instid1(VALU_DEP_2)
	v_subrev_nc_u32_e32 v9, 28, v8
	v_sub_nc_u32_e32 v8, 29, v8
	v_lshlrev_b32_e32 v9, v9, v4
	v_bfe_u32 v4, v4, 3, 4
	s_delay_alu instid0(VALU_DEP_1) | instskip(NEXT) | instid1(VALU_DEP_3)
	v_cmp_eq_u32_e32 vcc_lo, 0, v4
	v_dual_cndmask_b32 v4, v4, v8 :: v_dual_and_b32 v9, 7, v9
	s_delay_alu instid0(VALU_DEP_1) | instskip(NEXT) | instid1(VALU_DEP_2)
	v_cndmask_b32_e32 v7, v7, v9, vcc_lo
	v_lshl_add_u32 v4, v4, 23, 0x3b800000
	s_delay_alu instid0(VALU_DEP_2) | instskip(NEXT) | instid1(VALU_DEP_1)
	v_lshlrev_b32_e32 v7, 20, v7
	v_or3_b32 v4, v5, v4, v7
	s_delay_alu instid0(VALU_DEP_1) | instskip(NEXT) | instid1(VALU_DEP_1)
	v_trunc_f32_e32 v4, v4
	v_mul_f32_e64 v5, 0x2f800000, |v4|
	s_delay_alu instid0(VALU_DEP_1) | instskip(NEXT) | instid1(VALU_DEP_1)
	v_floor_f32_e32 v5, v5
	v_fma_f32 v5, 0xcf800000, v5, |v4|
	v_ashrrev_i32_e32 v4, 31, v4
	s_delay_alu instid0(VALU_DEP_2) | instskip(NEXT) | instid1(VALU_DEP_1)
	v_cvt_u32_f32_e32 v5, v5
	v_xor_b32_e32 v5, v5, v4
	s_delay_alu instid0(VALU_DEP_1)
	v_sub_nc_u32_e32 v4, v5, v4
.LBB150_289:
	s_or_b32 exec_lo, exec_lo, s0
.LBB150_290:
	s_mov_b32 s0, -1
.LBB150_291:
	s_mov_b32 s18, 0
.LBB150_292:
	s_delay_alu instid0(SALU_CYCLE_1)
	s_and_b32 vcc_lo, exec_lo, s18
	s_cbranch_vccz .LBB150_325
; %bb.293:
	v_cmp_lt_i16_e32 vcc_lo, 22, v6
	s_cbranch_vccz .LBB150_301
; %bb.294:
	v_cmp_gt_i16_e32 vcc_lo, 24, v6
	s_cbranch_vccnz .LBB150_304
; %bb.295:
	v_cmp_lt_i16_e32 vcc_lo, 24, v6
	s_cbranch_vccz .LBB150_305
; %bb.296:
	global_load_u8 v5, v[2:3], off
	s_mov_b32 s18, 0
	s_mov_b32 s0, exec_lo
                                        ; implicit-def: $sgpr20
	s_waitcnt vmcnt(0)
	v_cmpx_lt_i16_e32 0x7f, v5
	s_xor_b32 s0, exec_lo, s0
	s_cbranch_execz .LBB150_317
; %bb.297:
	v_cmp_ne_u16_e32 vcc_lo, 0x80, v5
	s_mov_b32 s20, 0
	s_and_b32 s18, vcc_lo, exec_lo
	s_or_saveexec_b32 s0, s0
	v_mov_b32_e32 v4, s20
	s_xor_b32 exec_lo, exec_lo, s0
	s_cbranch_execnz .LBB150_318
.LBB150_298:
	s_or_b32 exec_lo, exec_lo, s0
	s_and_saveexec_b32 s0, s18
	s_cbranch_execz .LBB150_300
.LBB150_299:
	v_and_b32_e32 v4, 0xffff, v5
	v_lshlrev_b32_e32 v5, 24, v5
	s_delay_alu instid0(VALU_DEP_2) | instskip(NEXT) | instid1(VALU_DEP_2)
	v_and_b32_e32 v7, 3, v4
	v_and_b32_e32 v5, 0x80000000, v5
	s_delay_alu instid0(VALU_DEP_2) | instskip(NEXT) | instid1(VALU_DEP_1)
	v_clz_i32_u32_e32 v8, v7
	v_min_u32_e32 v8, 32, v8
	s_delay_alu instid0(VALU_DEP_1) | instskip(SKIP_1) | instid1(VALU_DEP_2)
	v_subrev_nc_u32_e32 v9, 29, v8
	v_sub_nc_u32_e32 v8, 30, v8
	v_lshlrev_b32_e32 v9, v9, v4
	v_bfe_u32 v4, v4, 2, 5
	s_delay_alu instid0(VALU_DEP_1) | instskip(NEXT) | instid1(VALU_DEP_3)
	v_cmp_eq_u32_e32 vcc_lo, 0, v4
	v_dual_cndmask_b32 v4, v4, v8 :: v_dual_and_b32 v9, 3, v9
	s_delay_alu instid0(VALU_DEP_1) | instskip(NEXT) | instid1(VALU_DEP_2)
	v_cndmask_b32_e32 v7, v7, v9, vcc_lo
	v_lshl_add_u32 v4, v4, 23, 0x37800000
	s_delay_alu instid0(VALU_DEP_2) | instskip(NEXT) | instid1(VALU_DEP_1)
	v_lshlrev_b32_e32 v7, 21, v7
	v_or3_b32 v4, v5, v4, v7
	s_delay_alu instid0(VALU_DEP_1) | instskip(NEXT) | instid1(VALU_DEP_1)
	v_trunc_f32_e32 v4, v4
	v_mul_f32_e64 v5, 0x2f800000, |v4|
	s_delay_alu instid0(VALU_DEP_1) | instskip(NEXT) | instid1(VALU_DEP_1)
	v_floor_f32_e32 v5, v5
	v_fma_f32 v5, 0xcf800000, v5, |v4|
	v_ashrrev_i32_e32 v4, 31, v4
	s_delay_alu instid0(VALU_DEP_2) | instskip(NEXT) | instid1(VALU_DEP_1)
	v_cvt_u32_f32_e32 v5, v5
	v_xor_b32_e32 v5, v5, v4
	s_delay_alu instid0(VALU_DEP_1)
	v_sub_nc_u32_e32 v4, v5, v4
.LBB150_300:
	s_or_b32 exec_lo, exec_lo, s0
	s_mov_b32 s0, 0
	s_branch .LBB150_306
.LBB150_301:
	s_mov_b32 s18, -1
                                        ; implicit-def: $vgpr4
	s_branch .LBB150_312
.LBB150_302:
	s_or_saveexec_b32 s0, s0
	v_mov_b32_e32 v4, s20
	s_xor_b32 exec_lo, exec_lo, s0
	s_cbranch_execz .LBB150_287
.LBB150_303:
	v_cmp_ne_u16_e32 vcc_lo, 0, v5
	v_mov_b32_e32 v4, 0
	s_and_not1_b32 s18, s18, exec_lo
	s_and_b32 s20, vcc_lo, exec_lo
	s_delay_alu instid0(SALU_CYCLE_1)
	s_or_b32 s18, s18, s20
	s_or_b32 exec_lo, exec_lo, s0
	s_and_saveexec_b32 s0, s18
	s_cbranch_execnz .LBB150_288
	s_branch .LBB150_289
.LBB150_304:
	s_mov_b32 s0, -1
                                        ; implicit-def: $vgpr4
	s_branch .LBB150_309
.LBB150_305:
	s_mov_b32 s0, -1
                                        ; implicit-def: $vgpr4
.LBB150_306:
	s_delay_alu instid0(SALU_CYCLE_1)
	s_and_b32 vcc_lo, exec_lo, s0
	s_cbranch_vccz .LBB150_308
; %bb.307:
	global_load_u8 v4, v[2:3], off
	s_waitcnt vmcnt(0)
	v_lshlrev_b32_e32 v4, 24, v4
	s_delay_alu instid0(VALU_DEP_1) | instskip(NEXT) | instid1(VALU_DEP_1)
	v_and_b32_e32 v5, 0x7f000000, v4
	v_clz_i32_u32_e32 v7, v5
	v_add_nc_u32_e32 v9, 0x1000000, v5
	v_cmp_ne_u32_e32 vcc_lo, 0, v5
	s_delay_alu instid0(VALU_DEP_3) | instskip(NEXT) | instid1(VALU_DEP_1)
	v_min_u32_e32 v7, 32, v7
	v_sub_nc_u32_e64 v7, v7, 4 clamp
	s_delay_alu instid0(VALU_DEP_1) | instskip(SKIP_1) | instid1(VALU_DEP_2)
	v_lshlrev_b32_e32 v8, v7, v5
	v_lshlrev_b32_e32 v7, 23, v7
	v_lshrrev_b32_e32 v8, 4, v8
	s_delay_alu instid0(VALU_DEP_1) | instskip(SKIP_1) | instid1(VALU_DEP_2)
	v_sub_nc_u32_e32 v7, v8, v7
	v_ashrrev_i32_e32 v8, 8, v9
	v_add_nc_u32_e32 v7, 0x3c000000, v7
	s_delay_alu instid0(VALU_DEP_1) | instskip(NEXT) | instid1(VALU_DEP_1)
	v_and_or_b32 v7, 0x7f800000, v8, v7
	v_cndmask_b32_e32 v5, 0, v7, vcc_lo
	s_delay_alu instid0(VALU_DEP_1) | instskip(NEXT) | instid1(VALU_DEP_1)
	v_and_or_b32 v4, 0x80000000, v4, v5
	v_trunc_f32_e32 v4, v4
	s_delay_alu instid0(VALU_DEP_1) | instskip(NEXT) | instid1(VALU_DEP_1)
	v_mul_f32_e64 v5, 0x2f800000, |v4|
	v_floor_f32_e32 v5, v5
	s_delay_alu instid0(VALU_DEP_1) | instskip(SKIP_1) | instid1(VALU_DEP_2)
	v_fma_f32 v5, 0xcf800000, v5, |v4|
	v_ashrrev_i32_e32 v4, 31, v4
	v_cvt_u32_f32_e32 v5, v5
	s_delay_alu instid0(VALU_DEP_1) | instskip(NEXT) | instid1(VALU_DEP_1)
	v_xor_b32_e32 v5, v5, v4
	v_sub_nc_u32_e32 v4, v5, v4
.LBB150_308:
	s_mov_b32 s0, 0
.LBB150_309:
	s_delay_alu instid0(SALU_CYCLE_1)
	s_and_not1_b32 vcc_lo, exec_lo, s0
	s_cbranch_vccnz .LBB150_311
; %bb.310:
	global_load_u8 v4, v[2:3], off
	s_waitcnt vmcnt(0)
	v_lshlrev_b32_e32 v5, 25, v4
	v_lshlrev_b16 v4, 8, v4
	s_delay_alu instid0(VALU_DEP_2) | instskip(NEXT) | instid1(VALU_DEP_2)
	v_lshrrev_b32_e32 v7, 4, v5
	v_and_or_b32 v8, 0x7f00, v4, 0.5
	v_cmp_gt_u32_e32 vcc_lo, 0x8000000, v5
	v_bfe_i32 v4, v4, 0, 16
	s_delay_alu instid0(VALU_DEP_4) | instskip(NEXT) | instid1(VALU_DEP_1)
	v_or_b32_e32 v7, 0x70000000, v7
	v_dual_add_f32 v8, -0.5, v8 :: v_dual_mul_f32 v7, 0x7800000, v7
	s_delay_alu instid0(VALU_DEP_1) | instskip(NEXT) | instid1(VALU_DEP_1)
	v_cndmask_b32_e32 v5, v7, v8, vcc_lo
	v_and_or_b32 v4, 0x80000000, v4, v5
	s_delay_alu instid0(VALU_DEP_1) | instskip(NEXT) | instid1(VALU_DEP_1)
	v_trunc_f32_e32 v4, v4
	v_mul_f32_e64 v5, 0x2f800000, |v4|
	s_delay_alu instid0(VALU_DEP_1) | instskip(NEXT) | instid1(VALU_DEP_1)
	v_floor_f32_e32 v5, v5
	v_fma_f32 v5, 0xcf800000, v5, |v4|
	v_ashrrev_i32_e32 v4, 31, v4
	s_delay_alu instid0(VALU_DEP_2) | instskip(NEXT) | instid1(VALU_DEP_1)
	v_cvt_u32_f32_e32 v5, v5
	v_xor_b32_e32 v5, v5, v4
	s_delay_alu instid0(VALU_DEP_1)
	v_sub_nc_u32_e32 v4, v5, v4
.LBB150_311:
	s_mov_b32 s18, 0
	s_mov_b32 s0, -1
.LBB150_312:
	s_and_not1_b32 vcc_lo, exec_lo, s18
	s_cbranch_vccnz .LBB150_325
; %bb.313:
	v_cmp_lt_i16_e32 vcc_lo, 14, v6
	s_cbranch_vccz .LBB150_316
; %bb.314:
	v_cmp_eq_u16_e32 vcc_lo, 15, v6
	s_cbranch_vccz .LBB150_319
; %bb.315:
	global_load_u16 v4, v[2:3], off
	s_mov_b32 s0, -1
	s_mov_b32 s1, 0
	s_waitcnt vmcnt(0)
	v_lshlrev_b32_e32 v4, 16, v4
	s_delay_alu instid0(VALU_DEP_1) | instskip(NEXT) | instid1(VALU_DEP_1)
	v_trunc_f32_e32 v4, v4
	v_mul_f32_e64 v5, 0x2f800000, |v4|
	s_delay_alu instid0(VALU_DEP_1) | instskip(NEXT) | instid1(VALU_DEP_1)
	v_floor_f32_e32 v5, v5
	v_fma_f32 v5, 0xcf800000, v5, |v4|
	v_ashrrev_i32_e32 v4, 31, v4
	s_delay_alu instid0(VALU_DEP_2) | instskip(NEXT) | instid1(VALU_DEP_1)
	v_cvt_u32_f32_e32 v5, v5
	v_xor_b32_e32 v5, v5, v4
	s_delay_alu instid0(VALU_DEP_1)
	v_sub_nc_u32_e32 v4, v5, v4
	s_branch .LBB150_320
.LBB150_316:
	s_mov_b32 s18, -1
                                        ; implicit-def: $vgpr4
	s_branch .LBB150_321
.LBB150_317:
	s_or_saveexec_b32 s0, s0
	v_mov_b32_e32 v4, s20
	s_xor_b32 exec_lo, exec_lo, s0
	s_cbranch_execz .LBB150_298
.LBB150_318:
	v_cmp_ne_u16_e32 vcc_lo, 0, v5
	v_mov_b32_e32 v4, 0
	s_and_not1_b32 s18, s18, exec_lo
	s_and_b32 s20, vcc_lo, exec_lo
	s_delay_alu instid0(SALU_CYCLE_1)
	s_or_b32 s18, s18, s20
	s_or_b32 exec_lo, exec_lo, s0
	s_and_saveexec_b32 s0, s18
	s_cbranch_execnz .LBB150_299
	s_branch .LBB150_300
.LBB150_319:
	s_mov_b32 s1, -1
                                        ; implicit-def: $vgpr4
.LBB150_320:
	s_mov_b32 s18, 0
.LBB150_321:
	s_delay_alu instid0(SALU_CYCLE_1)
	s_and_b32 vcc_lo, exec_lo, s18
	s_cbranch_vccz .LBB150_325
; %bb.322:
	v_cmp_eq_u16_e32 vcc_lo, 11, v6
	s_cbranch_vccz .LBB150_324
; %bb.323:
	global_load_u8 v4, v[2:3], off
	s_mov_b32 s1, 0
	s_mov_b32 s0, -1
	s_waitcnt vmcnt(0)
	v_cmp_ne_u16_e32 vcc_lo, 0, v4
	v_cndmask_b32_e64 v4, 0, 1, vcc_lo
	s_branch .LBB150_325
.LBB150_324:
	s_mov_b32 s1, -1
                                        ; implicit-def: $vgpr4
.LBB150_325:
	s_branch .LBB150_20
.LBB150_326:
	v_cmp_gt_i16_e32 vcc_lo, 5, v6
	s_cbranch_vccnz .LBB150_331
; %bb.327:
	v_cmp_gt_i16_e32 vcc_lo, 8, v6
	s_cbranch_vccnz .LBB150_332
; %bb.328:
	;; [unrolled: 3-line block ×3, first 2 shown]
	v_cmp_lt_i16_e32 vcc_lo, 9, v6
	s_cbranch_vccz .LBB150_334
; %bb.330:
	global_load_b64 v[4:5], v[2:3], off
	s_mov_b32 s0, 0
	s_waitcnt vmcnt(0)
	v_trunc_f64_e32 v[4:5], v[4:5]
	s_delay_alu instid0(VALU_DEP_1) | instskip(NEXT) | instid1(VALU_DEP_1)
	v_ldexp_f64 v[7:8], v[4:5], 0xffffffe0
	v_floor_f64_e32 v[7:8], v[7:8]
	s_delay_alu instid0(VALU_DEP_1) | instskip(NEXT) | instid1(VALU_DEP_1)
	v_fma_f64 v[4:5], 0xc1f00000, v[7:8], v[4:5]
	v_cvt_u32_f64_e32 v4, v[4:5]
	s_branch .LBB150_335
.LBB150_331:
	s_mov_b32 s0, -1
                                        ; implicit-def: $vgpr4
	s_branch .LBB150_353
.LBB150_332:
	s_mov_b32 s0, -1
                                        ; implicit-def: $vgpr4
	s_branch .LBB150_341
.LBB150_333:
	s_mov_b32 s0, -1
                                        ; implicit-def: $vgpr4
	s_branch .LBB150_338
.LBB150_334:
	s_mov_b32 s0, -1
                                        ; implicit-def: $vgpr4
.LBB150_335:
	s_delay_alu instid0(SALU_CYCLE_1)
	s_and_not1_b32 vcc_lo, exec_lo, s0
	s_cbranch_vccnz .LBB150_337
; %bb.336:
	global_load_b32 v4, v[2:3], off
	s_waitcnt vmcnt(0)
	v_trunc_f32_e32 v4, v4
	s_delay_alu instid0(VALU_DEP_1) | instskip(NEXT) | instid1(VALU_DEP_1)
	v_mul_f32_e64 v5, 0x2f800000, |v4|
	v_floor_f32_e32 v5, v5
	s_delay_alu instid0(VALU_DEP_1) | instskip(SKIP_1) | instid1(VALU_DEP_2)
	v_fma_f32 v5, 0xcf800000, v5, |v4|
	v_ashrrev_i32_e32 v4, 31, v4
	v_cvt_u32_f32_e32 v5, v5
	s_delay_alu instid0(VALU_DEP_1) | instskip(NEXT) | instid1(VALU_DEP_1)
	v_xor_b32_e32 v5, v5, v4
	v_sub_nc_u32_e32 v4, v5, v4
.LBB150_337:
	s_mov_b32 s0, 0
.LBB150_338:
	s_delay_alu instid0(SALU_CYCLE_1)
	s_and_not1_b32 vcc_lo, exec_lo, s0
	s_cbranch_vccnz .LBB150_340
; %bb.339:
	global_load_b32 v4, v[2:3], off
	s_waitcnt vmcnt(0)
	v_cvt_f32_f16_e32 v4, v4
	s_delay_alu instid0(VALU_DEP_1)
	v_cvt_i32_f32_e32 v4, v4
.LBB150_340:
	s_mov_b32 s0, 0
.LBB150_341:
	s_delay_alu instid0(SALU_CYCLE_1)
	s_and_not1_b32 vcc_lo, exec_lo, s0
	s_cbranch_vccnz .LBB150_352
; %bb.342:
	v_cmp_gt_i16_e32 vcc_lo, 6, v6
	s_cbranch_vccnz .LBB150_345
; %bb.343:
	v_cmp_lt_i16_e32 vcc_lo, 6, v6
	s_cbranch_vccz .LBB150_346
; %bb.344:
	global_load_b64 v[4:5], v[2:3], off
	s_mov_b32 s0, 0
	s_waitcnt vmcnt(0)
	v_trunc_f64_e32 v[4:5], v[4:5]
	s_delay_alu instid0(VALU_DEP_1) | instskip(NEXT) | instid1(VALU_DEP_1)
	v_ldexp_f64 v[7:8], v[4:5], 0xffffffe0
	v_floor_f64_e32 v[7:8], v[7:8]
	s_delay_alu instid0(VALU_DEP_1) | instskip(NEXT) | instid1(VALU_DEP_1)
	v_fma_f64 v[4:5], 0xc1f00000, v[7:8], v[4:5]
	v_cvt_u32_f64_e32 v4, v[4:5]
	s_branch .LBB150_347
.LBB150_345:
	s_mov_b32 s0, -1
                                        ; implicit-def: $vgpr4
	s_branch .LBB150_350
.LBB150_346:
	s_mov_b32 s0, -1
                                        ; implicit-def: $vgpr4
.LBB150_347:
	s_delay_alu instid0(SALU_CYCLE_1)
	s_and_not1_b32 vcc_lo, exec_lo, s0
	s_cbranch_vccnz .LBB150_349
; %bb.348:
	global_load_b32 v4, v[2:3], off
	s_waitcnt vmcnt(0)
	v_trunc_f32_e32 v4, v4
	s_delay_alu instid0(VALU_DEP_1) | instskip(NEXT) | instid1(VALU_DEP_1)
	v_mul_f32_e64 v5, 0x2f800000, |v4|
	v_floor_f32_e32 v5, v5
	s_delay_alu instid0(VALU_DEP_1) | instskip(SKIP_1) | instid1(VALU_DEP_2)
	v_fma_f32 v5, 0xcf800000, v5, |v4|
	v_ashrrev_i32_e32 v4, 31, v4
	v_cvt_u32_f32_e32 v5, v5
	s_delay_alu instid0(VALU_DEP_1) | instskip(NEXT) | instid1(VALU_DEP_1)
	v_xor_b32_e32 v5, v5, v4
	v_sub_nc_u32_e32 v4, v5, v4
.LBB150_349:
	s_mov_b32 s0, 0
.LBB150_350:
	s_delay_alu instid0(SALU_CYCLE_1)
	s_and_not1_b32 vcc_lo, exec_lo, s0
	s_cbranch_vccnz .LBB150_352
; %bb.351:
	global_load_u16 v4, v[2:3], off
	s_waitcnt vmcnt(0)
	v_cvt_f32_f16_e32 v4, v4
	s_delay_alu instid0(VALU_DEP_1)
	v_cvt_i32_f32_e32 v4, v4
.LBB150_352:
	s_mov_b32 s0, 0
.LBB150_353:
	s_delay_alu instid0(SALU_CYCLE_1)
	s_and_not1_b32 vcc_lo, exec_lo, s0
	s_cbranch_vccnz .LBB150_373
; %bb.354:
	v_cmp_gt_i16_e32 vcc_lo, 2, v6
	s_cbranch_vccnz .LBB150_358
; %bb.355:
	v_cmp_gt_i16_e32 vcc_lo, 3, v6
	s_cbranch_vccnz .LBB150_359
; %bb.356:
	v_cmp_lt_i16_e32 vcc_lo, 3, v6
	s_cbranch_vccz .LBB150_360
; %bb.357:
	global_load_b64 v[4:5], v[2:3], off
	s_mov_b32 s0, 0
	s_branch .LBB150_361
.LBB150_358:
	s_mov_b32 s0, -1
                                        ; implicit-def: $vgpr4
	s_branch .LBB150_367
.LBB150_359:
	s_mov_b32 s0, -1
                                        ; implicit-def: $vgpr4
	s_branch .LBB150_364
.LBB150_360:
	s_mov_b32 s0, -1
                                        ; implicit-def: $vgpr4
.LBB150_361:
	s_delay_alu instid0(SALU_CYCLE_1)
	s_and_not1_b32 vcc_lo, exec_lo, s0
	s_cbranch_vccnz .LBB150_363
; %bb.362:
	global_load_b32 v4, v[2:3], off
.LBB150_363:
	s_mov_b32 s0, 0
.LBB150_364:
	s_delay_alu instid0(SALU_CYCLE_1)
	s_and_not1_b32 vcc_lo, exec_lo, s0
	s_cbranch_vccnz .LBB150_366
; %bb.365:
	global_load_u16 v4, v[2:3], off
.LBB150_366:
	s_mov_b32 s0, 0
.LBB150_367:
	s_delay_alu instid0(SALU_CYCLE_1)
	s_and_not1_b32 vcc_lo, exec_lo, s0
	s_cbranch_vccnz .LBB150_373
; %bb.368:
	v_cmp_lt_i16_e32 vcc_lo, 0, v6
	s_mov_b32 s0, 0
	s_cbranch_vccz .LBB150_370
; %bb.369:
	global_load_u8 v4, v[2:3], off
	s_branch .LBB150_371
.LBB150_370:
	s_mov_b32 s0, -1
                                        ; implicit-def: $vgpr4
.LBB150_371:
	s_delay_alu instid0(SALU_CYCLE_1)
	s_and_not1_b32 vcc_lo, exec_lo, s0
	s_cbranch_vccnz .LBB150_373
; %bb.372:
	global_load_u8 v4, v[2:3], off
.LBB150_373:
	s_branch .LBB150_21
.LBB150_374:
	s_mov_b32 s0, 0
.LBB150_375:
	s_mov_b32 s24, 0
                                        ; implicit-def: $vgpr16
.LBB150_376:
	s_and_b32 s18, s0, exec_lo
	s_and_b32 s20, s1, exec_lo
	;; [unrolled: 1-line block ×3, first 2 shown]
	s_or_not1_b32 s1, s24, exec_lo
.LBB150_377:
	s_or_b32 exec_lo, exec_lo, s22
	s_mov_b32 s24, 0
	s_mov_b32 s0, 0
                                        ; implicit-def: $vgpr4
                                        ; implicit-def: $vgpr0_vgpr1
                                        ; implicit-def: $vgpr2_vgpr3
	s_and_saveexec_b32 s22, s1
	s_cbranch_execz .LBB150_1235
; %bb.378:
	s_mov_b32 s28, -1
	s_mov_b32 s23, s21
	s_mov_b32 s25, s20
	;; [unrolled: 1-line block ×3, first 2 shown]
	s_mov_b32 s26, exec_lo
	v_cmpx_gt_i32_e64 s19, v16
	s_cbranch_execz .LBB150_763
; %bb.379:
	s_waitcnt vmcnt(0)
	v_mul_lo_u32 v0, v16, s9
	v_and_b32_e64 v4, 0xff, s16
	s_delay_alu instid0(VALU_DEP_1) | instskip(NEXT) | instid1(VALU_DEP_3)
	v_cmp_gt_i16_e32 vcc_lo, 11, v4
	v_ashrrev_i32_e32 v1, 31, v0
	v_add_co_u32 v2, s0, s6, v0
	s_delay_alu instid0(VALU_DEP_1)
	v_add_co_ci_u32_e64 v3, s0, s7, v1, s0
	s_cbranch_vccnz .LBB150_386
; %bb.380:
	v_cmp_lt_i16_e32 vcc_lo, 25, v4
	s_cbranch_vccz .LBB150_395
; %bb.381:
	v_cmp_lt_i16_e32 vcc_lo, 28, v4
	s_cbranch_vccz .LBB150_397
	;; [unrolled: 3-line block ×4, first 2 shown]
; %bb.384:
	v_cmp_eq_u16_e32 vcc_lo, 46, v4
	s_mov_b32 s1, 0
	s_cbranch_vccz .LBB150_405
; %bb.385:
	global_load_b32 v0, v[2:3], off
	s_mov_b32 s0, -1
	s_mov_b32 s23, 0
	s_waitcnt vmcnt(0)
	v_lshlrev_b32_e32 v0, 16, v0
	s_delay_alu instid0(VALU_DEP_1)
	v_cvt_f64_f32_e32 v[0:1], v0
	s_branch .LBB150_407
.LBB150_386:
	s_mov_b32 s0, 0
	s_mov_b32 s23, s21
                                        ; implicit-def: $vgpr0_vgpr1
	s_cbranch_execnz .LBB150_473
.LBB150_387:
	s_and_not1_b32 vcc_lo, exec_lo, s0
	s_cbranch_vccnz .LBB150_521
.LBB150_388:
	v_mul_lo_u32 v2, v16, s10
	v_and_b32_e64 v6, 0xff, s11
	s_delay_alu instid0(VALU_DEP_1) | instskip(NEXT) | instid1(VALU_DEP_3)
	v_cmp_gt_i16_e32 vcc_lo, 11, v6
	v_ashrrev_i32_e32 v3, 31, v2
	v_add_co_u32 v2, s0, s12, v2
	s_delay_alu instid0(VALU_DEP_1)
	v_add_co_ci_u32_e64 v3, s0, s13, v3, s0
	s_cbranch_vccnz .LBB150_396
; %bb.389:
	v_cmp_lt_i16_e32 vcc_lo, 25, v6
	s_cbranch_vccz .LBB150_398
; %bb.390:
	v_cmp_lt_i16_e32 vcc_lo, 28, v6
	s_cbranch_vccz .LBB150_400
	;; [unrolled: 3-line block ×4, first 2 shown]
; %bb.393:
	v_cmp_eq_u16_e32 vcc_lo, 46, v6
	s_mov_b32 s24, 0
	s_cbranch_vccz .LBB150_524
; %bb.394:
	global_load_b32 v4, v[2:3], off
	s_mov_b32 s0, -1
	s_mov_b32 s1, 0
	s_waitcnt vmcnt(0)
	v_lshlrev_b32_e32 v4, 16, v4
	s_delay_alu instid0(VALU_DEP_1) | instskip(NEXT) | instid1(VALU_DEP_1)
	v_trunc_f32_e32 v4, v4
	v_mul_f32_e64 v5, 0x2f800000, |v4|
	s_delay_alu instid0(VALU_DEP_1) | instskip(NEXT) | instid1(VALU_DEP_1)
	v_floor_f32_e32 v5, v5
	v_fma_f32 v5, 0xcf800000, v5, |v4|
	v_ashrrev_i32_e32 v4, 31, v4
	s_delay_alu instid0(VALU_DEP_2) | instskip(NEXT) | instid1(VALU_DEP_1)
	v_cvt_u32_f32_e32 v5, v5
	v_xor_b32_e32 v5, v5, v4
	s_delay_alu instid0(VALU_DEP_1)
	v_sub_nc_u32_e32 v4, v5, v4
	s_branch .LBB150_526
.LBB150_395:
	s_mov_b32 s1, -1
	s_mov_b32 s0, 0
	s_mov_b32 s23, s21
                                        ; implicit-def: $vgpr0_vgpr1
	s_branch .LBB150_439
.LBB150_396:
	s_mov_b32 s24, -1
	s_mov_b32 s0, 0
	s_mov_b32 s1, s20
                                        ; implicit-def: $vgpr4
	s_branch .LBB150_587
.LBB150_397:
	s_mov_b32 s1, -1
	s_mov_b32 s0, 0
	s_mov_b32 s23, s21
                                        ; implicit-def: $vgpr0_vgpr1
	s_branch .LBB150_418
.LBB150_398:
	s_mov_b32 s24, -1
	s_mov_b32 s0, 0
	s_mov_b32 s1, s20
                                        ; implicit-def: $vgpr4
	s_branch .LBB150_553
.LBB150_399:
	s_mov_b32 s1, -1
	s_mov_b32 s0, 0
	s_mov_b32 s23, s21
                                        ; implicit-def: $vgpr0_vgpr1
	s_branch .LBB150_413
.LBB150_400:
	s_mov_b32 s24, -1
	s_mov_b32 s0, 0
	s_mov_b32 s1, s20
                                        ; implicit-def: $vgpr4
	s_branch .LBB150_536
.LBB150_401:
	s_mov_b32 s1, -1
	s_mov_b32 s0, 0
	s_mov_b32 s23, s21
	s_branch .LBB150_406
.LBB150_402:
	s_mov_b32 s24, -1
	s_mov_b32 s0, 0
	s_mov_b32 s1, s20
                                        ; implicit-def: $vgpr4
	s_branch .LBB150_531
.LBB150_403:
	s_or_saveexec_b32 s24, s24
                                        ; implicit-def: $sgpr25
	s_delay_alu instid0(SALU_CYCLE_1)
	s_xor_b32 exec_lo, exec_lo, s24
	s_cbranch_execz .LBB150_179
.LBB150_404:
	v_add_f32_e64 v3, 0x46000000, |v2|
	s_and_not1_b32 s20, s20, exec_lo
	s_mov_b32 s25, 0
	s_delay_alu instid0(VALU_DEP_1) | instskip(NEXT) | instid1(VALU_DEP_1)
	v_and_b32_e32 v3, 0xff, v3
	v_cmp_ne_u32_e32 vcc_lo, 0, v3
	s_and_b32 s26, vcc_lo, exec_lo
	s_delay_alu instid0(SALU_CYCLE_1)
	s_or_b32 s20, s20, s26
	s_or_b32 exec_lo, exec_lo, s24
	v_mov_b32_e32 v7, s25
	s_and_saveexec_b32 s24, s20
	s_cbranch_execnz .LBB150_180
	s_branch .LBB150_181
.LBB150_405:
	s_mov_b32 s23, -1
	s_mov_b32 s0, 0
.LBB150_406:
                                        ; implicit-def: $vgpr0_vgpr1
.LBB150_407:
	s_and_b32 vcc_lo, exec_lo, s1
	s_cbranch_vccz .LBB150_412
; %bb.408:
	v_cmp_eq_u16_e32 vcc_lo, 44, v4
	s_cbranch_vccz .LBB150_411
; %bb.409:
	global_load_u8 v5, v[2:3], off
	s_mov_b32 s23, 0
	s_mov_b32 s0, -1
	s_waitcnt vmcnt(0)
	v_lshlrev_b32_e32 v0, 23, v5
	v_cmp_ne_u32_e32 vcc_lo, 0xff, v5
	s_delay_alu instid0(VALU_DEP_2) | instskip(NEXT) | instid1(VALU_DEP_1)
	v_cvt_f64_f32_e32 v[0:1], v0
	v_cndmask_b32_e32 v0, 0x20000000, v0, vcc_lo
	s_delay_alu instid0(VALU_DEP_2) | instskip(SKIP_1) | instid1(VALU_DEP_2)
	v_cndmask_b32_e32 v1, 0x7ff80000, v1, vcc_lo
	v_cmp_ne_u32_e32 vcc_lo, 0, v5
	v_cndmask_b32_e32 v1, 0x38000000, v1, vcc_lo
	s_delay_alu instid0(VALU_DEP_4)
	v_cndmask_b32_e32 v0, 0, v0, vcc_lo
	s_branch .LBB150_412
.LBB150_410:
	s_mov_b32 s24, -1
	s_mov_b32 s0, 0
	s_mov_b32 s1, s20
	s_branch .LBB150_525
.LBB150_411:
	s_mov_b32 s23, -1
                                        ; implicit-def: $vgpr0_vgpr1
.LBB150_412:
	s_mov_b32 s1, 0
.LBB150_413:
	s_delay_alu instid0(SALU_CYCLE_1)
	s_and_b32 vcc_lo, exec_lo, s1
	s_cbranch_vccz .LBB150_417
; %bb.414:
	v_cmp_eq_u16_e32 vcc_lo, 29, v4
	s_cbranch_vccz .LBB150_416
; %bb.415:
	global_load_b64 v[0:1], v[2:3], off
	s_mov_b32 s0, -1
	s_mov_b32 s23, 0
	s_mov_b32 s1, 0
	s_waitcnt vmcnt(0)
	v_cvt_f64_u32_e32 v[5:6], v1
	v_cvt_f64_u32_e32 v[0:1], v0
	s_delay_alu instid0(VALU_DEP_2) | instskip(NEXT) | instid1(VALU_DEP_1)
	v_ldexp_f64 v[5:6], v[5:6], 32
	v_add_f64 v[0:1], v[5:6], v[0:1]
	s_branch .LBB150_418
.LBB150_416:
	s_mov_b32 s23, -1
                                        ; implicit-def: $vgpr0_vgpr1
.LBB150_417:
	s_mov_b32 s1, 0
.LBB150_418:
	s_delay_alu instid0(SALU_CYCLE_1)
	s_and_b32 vcc_lo, exec_lo, s1
	s_cbranch_vccz .LBB150_438
; %bb.419:
	v_cmp_gt_i16_e32 vcc_lo, 27, v4
	s_cbranch_vccnz .LBB150_422
; %bb.420:
	v_cmp_lt_i16_e32 vcc_lo, 27, v4
	s_cbranch_vccz .LBB150_423
; %bb.421:
	global_load_b32 v0, v[2:3], off
	s_mov_b32 s0, 0
	s_waitcnt vmcnt(0)
	v_cvt_f64_u32_e32 v[0:1], v0
	s_branch .LBB150_424
.LBB150_422:
	s_mov_b32 s0, -1
                                        ; implicit-def: $vgpr0_vgpr1
	s_branch .LBB150_427
.LBB150_423:
	s_mov_b32 s0, -1
                                        ; implicit-def: $vgpr0_vgpr1
.LBB150_424:
	s_delay_alu instid0(SALU_CYCLE_1)
	s_and_not1_b32 vcc_lo, exec_lo, s0
	s_cbranch_vccnz .LBB150_426
; %bb.425:
	global_load_u16 v0, v[2:3], off
	s_waitcnt vmcnt(0)
	v_cvt_f64_u32_e32 v[0:1], v0
.LBB150_426:
	s_mov_b32 s0, 0
.LBB150_427:
	s_delay_alu instid0(SALU_CYCLE_1)
	s_and_not1_b32 vcc_lo, exec_lo, s0
	s_cbranch_vccnz .LBB150_437
; %bb.428:
	global_load_u8 v5, v[2:3], off
	s_mov_b32 s24, 0
	s_mov_b32 s25, exec_lo
                                        ; implicit-def: $sgpr0_sgpr1
	s_waitcnt vmcnt(0)
	v_cmpx_lt_i16_e32 0x7f, v5
	s_xor_b32 s25, exec_lo, s25
	s_cbranch_execz .LBB150_432
; %bb.429:
	s_mov_b32 s27, -1
	s_mov_b32 s24, exec_lo
                                        ; implicit-def: $sgpr0_sgpr1
	v_cmpx_eq_u16_e32 0x80, v5
; %bb.430:
	s_mov_b32 s1, 0x7ff80000
	s_brev_b32 s0, 4
	s_xor_b32 s27, exec_lo, -1
; %bb.431:
	s_or_b32 exec_lo, exec_lo, s24
	s_delay_alu instid0(SALU_CYCLE_1)
	s_and_b32 s24, s27, exec_lo
.LBB150_432:
	s_or_saveexec_b32 s25, s25
	v_dual_mov_b32 v0, s0 :: v_dual_mov_b32 v1, s1
	s_xor_b32 exec_lo, exec_lo, s25
; %bb.433:
	v_cmp_ne_u16_e32 vcc_lo, 0, v5
	v_mov_b32_e32 v0, 0
	v_mov_b32_e32 v1, 0
	s_and_not1_b32 s0, s24, exec_lo
	s_and_b32 s1, vcc_lo, exec_lo
	s_delay_alu instid0(SALU_CYCLE_1)
	s_or_b32 s24, s0, s1
; %bb.434:
	s_or_b32 exec_lo, exec_lo, s25
	s_and_saveexec_b32 s0, s24
	s_cbranch_execz .LBB150_436
; %bb.435:
	v_and_b32_e32 v0, 0xffff, v5
	v_lshlrev_b32_e32 v5, 24, v5
	s_delay_alu instid0(VALU_DEP_2) | instskip(NEXT) | instid1(VALU_DEP_2)
	v_and_b32_e32 v1, 7, v0
	v_and_b32_e32 v5, 0x80000000, v5
	s_delay_alu instid0(VALU_DEP_2) | instskip(NEXT) | instid1(VALU_DEP_1)
	v_clz_i32_u32_e32 v6, v1
	v_min_u32_e32 v6, 32, v6
	s_delay_alu instid0(VALU_DEP_1) | instskip(SKIP_1) | instid1(VALU_DEP_2)
	v_subrev_nc_u32_e32 v7, 28, v6
	v_sub_nc_u32_e32 v6, 29, v6
	v_lshlrev_b32_e32 v7, v7, v0
	v_bfe_u32 v0, v0, 3, 4
	s_delay_alu instid0(VALU_DEP_2) | instskip(NEXT) | instid1(VALU_DEP_2)
	v_and_b32_e32 v7, 7, v7
	v_cmp_eq_u32_e32 vcc_lo, 0, v0
	s_delay_alu instid0(VALU_DEP_2) | instskip(NEXT) | instid1(VALU_DEP_1)
	v_dual_cndmask_b32 v0, v0, v6 :: v_dual_cndmask_b32 v1, v1, v7
	v_lshl_add_u32 v0, v0, 23, 0x3b800000
	s_delay_alu instid0(VALU_DEP_2) | instskip(NEXT) | instid1(VALU_DEP_1)
	v_lshlrev_b32_e32 v1, 20, v1
	v_or3_b32 v0, v5, v0, v1
	s_delay_alu instid0(VALU_DEP_1)
	v_cvt_f64_f32_e32 v[0:1], v0
.LBB150_436:
	s_or_b32 exec_lo, exec_lo, s0
.LBB150_437:
	s_mov_b32 s0, -1
.LBB150_438:
	s_mov_b32 s1, 0
.LBB150_439:
	s_delay_alu instid0(SALU_CYCLE_1)
	s_and_b32 vcc_lo, exec_lo, s1
	s_cbranch_vccz .LBB150_472
; %bb.440:
	v_cmp_lt_i16_e32 vcc_lo, 22, v4
	s_cbranch_vccz .LBB150_452
; %bb.441:
	v_cmp_gt_i16_e32 vcc_lo, 24, v4
	s_cbranch_vccnz .LBB150_453
; %bb.442:
	v_cmp_lt_i16_e32 vcc_lo, 24, v4
	s_cbranch_vccz .LBB150_454
; %bb.443:
	global_load_u8 v5, v[2:3], off
	s_mov_b32 s24, 0
	s_mov_b32 s25, exec_lo
                                        ; implicit-def: $sgpr0_sgpr1
	s_waitcnt vmcnt(0)
	v_cmpx_lt_i16_e32 0x7f, v5
	s_xor_b32 s25, exec_lo, s25
	s_cbranch_execz .LBB150_447
; %bb.444:
	s_mov_b32 s27, -1
	s_mov_b32 s24, exec_lo
                                        ; implicit-def: $sgpr0_sgpr1
	v_cmpx_eq_u16_e32 0x80, v5
; %bb.445:
	s_mov_b32 s1, 0x7ff80000
	s_brev_b32 s0, 4
	s_xor_b32 s27, exec_lo, -1
; %bb.446:
	s_or_b32 exec_lo, exec_lo, s24
	s_delay_alu instid0(SALU_CYCLE_1)
	s_and_b32 s24, s27, exec_lo
.LBB150_447:
	s_or_saveexec_b32 s25, s25
	v_dual_mov_b32 v0, s0 :: v_dual_mov_b32 v1, s1
	s_xor_b32 exec_lo, exec_lo, s25
; %bb.448:
	v_cmp_ne_u16_e32 vcc_lo, 0, v5
	v_mov_b32_e32 v0, 0
	v_mov_b32_e32 v1, 0
	s_and_not1_b32 s0, s24, exec_lo
	s_and_b32 s1, vcc_lo, exec_lo
	s_delay_alu instid0(SALU_CYCLE_1)
	s_or_b32 s24, s0, s1
; %bb.449:
	s_or_b32 exec_lo, exec_lo, s25
	s_and_saveexec_b32 s0, s24
	s_cbranch_execz .LBB150_451
; %bb.450:
	v_and_b32_e32 v0, 0xffff, v5
	v_lshlrev_b32_e32 v5, 24, v5
	s_delay_alu instid0(VALU_DEP_2) | instskip(NEXT) | instid1(VALU_DEP_2)
	v_and_b32_e32 v1, 3, v0
	v_and_b32_e32 v5, 0x80000000, v5
	s_delay_alu instid0(VALU_DEP_2) | instskip(NEXT) | instid1(VALU_DEP_1)
	v_clz_i32_u32_e32 v6, v1
	v_min_u32_e32 v6, 32, v6
	s_delay_alu instid0(VALU_DEP_1) | instskip(SKIP_1) | instid1(VALU_DEP_2)
	v_subrev_nc_u32_e32 v7, 29, v6
	v_sub_nc_u32_e32 v6, 30, v6
	v_lshlrev_b32_e32 v7, v7, v0
	v_bfe_u32 v0, v0, 2, 5
	s_delay_alu instid0(VALU_DEP_2) | instskip(NEXT) | instid1(VALU_DEP_2)
	v_and_b32_e32 v7, 3, v7
	v_cmp_eq_u32_e32 vcc_lo, 0, v0
	s_delay_alu instid0(VALU_DEP_2) | instskip(NEXT) | instid1(VALU_DEP_1)
	v_dual_cndmask_b32 v0, v0, v6 :: v_dual_cndmask_b32 v1, v1, v7
	v_lshl_add_u32 v0, v0, 23, 0x37800000
	s_delay_alu instid0(VALU_DEP_2) | instskip(NEXT) | instid1(VALU_DEP_1)
	v_lshlrev_b32_e32 v1, 21, v1
	v_or3_b32 v0, v5, v0, v1
	s_delay_alu instid0(VALU_DEP_1)
	v_cvt_f64_f32_e32 v[0:1], v0
.LBB150_451:
	s_or_b32 exec_lo, exec_lo, s0
	s_mov_b32 s0, 0
	s_branch .LBB150_455
.LBB150_452:
	s_mov_b32 s1, -1
                                        ; implicit-def: $vgpr0_vgpr1
	s_branch .LBB150_461
.LBB150_453:
	s_mov_b32 s0, -1
                                        ; implicit-def: $vgpr0_vgpr1
	s_branch .LBB150_458
.LBB150_454:
	s_mov_b32 s0, -1
                                        ; implicit-def: $vgpr0_vgpr1
.LBB150_455:
	s_delay_alu instid0(SALU_CYCLE_1)
	s_and_b32 vcc_lo, exec_lo, s0
	s_cbranch_vccz .LBB150_457
; %bb.456:
	global_load_u8 v0, v[2:3], off
	s_waitcnt vmcnt(0)
	v_lshlrev_b32_e32 v0, 24, v0
	s_delay_alu instid0(VALU_DEP_1) | instskip(NEXT) | instid1(VALU_DEP_1)
	v_and_b32_e32 v1, 0x7f000000, v0
	v_clz_i32_u32_e32 v5, v1
	v_add_nc_u32_e32 v7, 0x1000000, v1
	v_cmp_ne_u32_e32 vcc_lo, 0, v1
	s_delay_alu instid0(VALU_DEP_3) | instskip(NEXT) | instid1(VALU_DEP_1)
	v_min_u32_e32 v5, 32, v5
	v_sub_nc_u32_e64 v5, v5, 4 clamp
	s_delay_alu instid0(VALU_DEP_1) | instskip(SKIP_1) | instid1(VALU_DEP_2)
	v_lshlrev_b32_e32 v6, v5, v1
	v_lshlrev_b32_e32 v5, 23, v5
	v_lshrrev_b32_e32 v6, 4, v6
	s_delay_alu instid0(VALU_DEP_1) | instskip(SKIP_1) | instid1(VALU_DEP_2)
	v_sub_nc_u32_e32 v5, v6, v5
	v_ashrrev_i32_e32 v6, 8, v7
	v_add_nc_u32_e32 v5, 0x3c000000, v5
	s_delay_alu instid0(VALU_DEP_1) | instskip(NEXT) | instid1(VALU_DEP_1)
	v_and_or_b32 v5, 0x7f800000, v6, v5
	v_cndmask_b32_e32 v1, 0, v5, vcc_lo
	s_delay_alu instid0(VALU_DEP_1) | instskip(NEXT) | instid1(VALU_DEP_1)
	v_and_or_b32 v0, 0x80000000, v0, v1
	v_cvt_f64_f32_e32 v[0:1], v0
.LBB150_457:
	s_mov_b32 s0, 0
.LBB150_458:
	s_delay_alu instid0(SALU_CYCLE_1)
	s_and_not1_b32 vcc_lo, exec_lo, s0
	s_cbranch_vccnz .LBB150_460
; %bb.459:
	global_load_u8 v0, v[2:3], off
	s_waitcnt vmcnt(0)
	v_lshlrev_b32_e32 v1, 25, v0
	v_lshlrev_b16 v0, 8, v0
	s_delay_alu instid0(VALU_DEP_1) | instskip(SKIP_1) | instid1(VALU_DEP_2)
	v_and_or_b32 v6, 0x7f00, v0, 0.5
	v_bfe_i32 v0, v0, 0, 16
	v_add_f32_e32 v6, -0.5, v6
	v_lshrrev_b32_e32 v5, 4, v1
	v_cmp_gt_u32_e32 vcc_lo, 0x8000000, v1
	s_delay_alu instid0(VALU_DEP_2) | instskip(NEXT) | instid1(VALU_DEP_1)
	v_or_b32_e32 v5, 0x70000000, v5
	v_mul_f32_e32 v5, 0x7800000, v5
	s_delay_alu instid0(VALU_DEP_1) | instskip(NEXT) | instid1(VALU_DEP_1)
	v_cndmask_b32_e32 v1, v5, v6, vcc_lo
	v_and_or_b32 v0, 0x80000000, v0, v1
	s_delay_alu instid0(VALU_DEP_1)
	v_cvt_f64_f32_e32 v[0:1], v0
.LBB150_460:
	s_mov_b32 s1, 0
	s_mov_b32 s0, -1
.LBB150_461:
	s_and_not1_b32 vcc_lo, exec_lo, s1
	s_cbranch_vccnz .LBB150_472
; %bb.462:
	v_cmp_lt_i16_e32 vcc_lo, 14, v4
	s_cbranch_vccz .LBB150_465
; %bb.463:
	v_cmp_eq_u16_e32 vcc_lo, 15, v4
	s_cbranch_vccz .LBB150_466
; %bb.464:
	global_load_u16 v0, v[2:3], off
	s_mov_b32 s0, -1
	s_mov_b32 s23, 0
	s_waitcnt vmcnt(0)
	v_lshlrev_b32_e32 v0, 16, v0
	s_delay_alu instid0(VALU_DEP_1)
	v_cvt_f64_f32_e32 v[0:1], v0
	s_branch .LBB150_467
.LBB150_465:
	s_mov_b32 s1, -1
                                        ; implicit-def: $vgpr0_vgpr1
	s_branch .LBB150_468
.LBB150_466:
	s_mov_b32 s23, -1
                                        ; implicit-def: $vgpr0_vgpr1
.LBB150_467:
	s_mov_b32 s1, 0
.LBB150_468:
	s_delay_alu instid0(SALU_CYCLE_1)
	s_and_b32 vcc_lo, exec_lo, s1
	s_cbranch_vccz .LBB150_472
; %bb.469:
	v_cmp_eq_u16_e32 vcc_lo, 11, v4
	s_cbranch_vccz .LBB150_471
; %bb.470:
	global_load_u8 v0, v[2:3], off
	s_mov_b32 s23, 0
	s_mov_b32 s0, -1
	s_waitcnt vmcnt(0)
	v_cmp_ne_u16_e32 vcc_lo, 0, v0
	v_mov_b32_e32 v0, 0
	v_cndmask_b32_e64 v1, 0, 0x3ff00000, vcc_lo
	s_branch .LBB150_472
.LBB150_471:
	s_mov_b32 s23, -1
                                        ; implicit-def: $vgpr0_vgpr1
.LBB150_472:
	s_branch .LBB150_387
.LBB150_473:
	v_cmp_gt_i16_e32 vcc_lo, 5, v4
	s_cbranch_vccnz .LBB150_478
; %bb.474:
	v_cmp_gt_i16_e32 vcc_lo, 8, v4
	s_cbranch_vccnz .LBB150_479
; %bb.475:
	;; [unrolled: 3-line block ×3, first 2 shown]
	v_cmp_lt_i16_e32 vcc_lo, 9, v4
	s_cbranch_vccz .LBB150_481
; %bb.477:
	global_load_b64 v[0:1], v[2:3], off
	s_mov_b32 s0, 0
	s_branch .LBB150_482
.LBB150_478:
	s_mov_b32 s0, -1
                                        ; implicit-def: $vgpr0_vgpr1
	s_branch .LBB150_500
.LBB150_479:
	s_mov_b32 s0, -1
                                        ; implicit-def: $vgpr0_vgpr1
	s_branch .LBB150_488
.LBB150_480:
	s_mov_b32 s0, -1
                                        ; implicit-def: $vgpr0_vgpr1
	s_branch .LBB150_485
.LBB150_481:
	s_mov_b32 s0, -1
                                        ; implicit-def: $vgpr0_vgpr1
.LBB150_482:
	s_delay_alu instid0(SALU_CYCLE_1)
	s_and_not1_b32 vcc_lo, exec_lo, s0
	s_cbranch_vccnz .LBB150_484
; %bb.483:
	global_load_b32 v0, v[2:3], off
	s_waitcnt vmcnt(0)
	v_cvt_f64_f32_e32 v[0:1], v0
.LBB150_484:
	s_mov_b32 s0, 0
.LBB150_485:
	s_delay_alu instid0(SALU_CYCLE_1)
	s_and_not1_b32 vcc_lo, exec_lo, s0
	s_cbranch_vccnz .LBB150_487
; %bb.486:
	global_load_b32 v0, v[2:3], off
	s_waitcnt vmcnt(0)
	v_cvt_f32_f16_e32 v0, v0
	s_delay_alu instid0(VALU_DEP_1)
	v_cvt_f64_f32_e32 v[0:1], v0
.LBB150_487:
	s_mov_b32 s0, 0
.LBB150_488:
	s_delay_alu instid0(SALU_CYCLE_1)
	s_and_not1_b32 vcc_lo, exec_lo, s0
	s_cbranch_vccnz .LBB150_499
; %bb.489:
	v_cmp_gt_i16_e32 vcc_lo, 6, v4
	s_cbranch_vccnz .LBB150_492
; %bb.490:
	v_cmp_lt_i16_e32 vcc_lo, 6, v4
	s_cbranch_vccz .LBB150_493
; %bb.491:
	global_load_b64 v[0:1], v[2:3], off
	s_mov_b32 s0, 0
	s_branch .LBB150_494
.LBB150_492:
	s_mov_b32 s0, -1
                                        ; implicit-def: $vgpr0_vgpr1
	s_branch .LBB150_497
.LBB150_493:
	s_mov_b32 s0, -1
                                        ; implicit-def: $vgpr0_vgpr1
.LBB150_494:
	s_delay_alu instid0(SALU_CYCLE_1)
	s_and_not1_b32 vcc_lo, exec_lo, s0
	s_cbranch_vccnz .LBB150_496
; %bb.495:
	global_load_b32 v0, v[2:3], off
	s_waitcnt vmcnt(0)
	v_cvt_f64_f32_e32 v[0:1], v0
.LBB150_496:
	s_mov_b32 s0, 0
.LBB150_497:
	s_delay_alu instid0(SALU_CYCLE_1)
	s_and_not1_b32 vcc_lo, exec_lo, s0
	s_cbranch_vccnz .LBB150_499
; %bb.498:
	global_load_u16 v0, v[2:3], off
	s_waitcnt vmcnt(0)
	v_cvt_f32_f16_e32 v0, v0
	s_delay_alu instid0(VALU_DEP_1)
	v_cvt_f64_f32_e32 v[0:1], v0
.LBB150_499:
	s_mov_b32 s0, 0
.LBB150_500:
	s_delay_alu instid0(SALU_CYCLE_1)
	s_and_not1_b32 vcc_lo, exec_lo, s0
	s_cbranch_vccnz .LBB150_520
; %bb.501:
	v_cmp_gt_i16_e32 vcc_lo, 2, v4
	s_cbranch_vccnz .LBB150_505
; %bb.502:
	v_cmp_gt_i16_e32 vcc_lo, 3, v4
	s_cbranch_vccnz .LBB150_506
; %bb.503:
	v_cmp_lt_i16_e32 vcc_lo, 3, v4
	s_cbranch_vccz .LBB150_507
; %bb.504:
	global_load_b64 v[0:1], v[2:3], off
	s_mov_b32 s0, 0
	s_waitcnt vmcnt(0)
	v_cvt_f64_i32_e32 v[5:6], v1
	v_cvt_f64_u32_e32 v[0:1], v0
	s_delay_alu instid0(VALU_DEP_2) | instskip(NEXT) | instid1(VALU_DEP_1)
	v_ldexp_f64 v[5:6], v[5:6], 32
	v_add_f64 v[0:1], v[5:6], v[0:1]
	s_branch .LBB150_508
.LBB150_505:
	s_mov_b32 s0, -1
                                        ; implicit-def: $vgpr0_vgpr1
	s_branch .LBB150_514
.LBB150_506:
	s_mov_b32 s0, -1
                                        ; implicit-def: $vgpr0_vgpr1
	s_branch .LBB150_511
.LBB150_507:
	s_mov_b32 s0, -1
                                        ; implicit-def: $vgpr0_vgpr1
.LBB150_508:
	s_delay_alu instid0(SALU_CYCLE_1)
	s_and_not1_b32 vcc_lo, exec_lo, s0
	s_cbranch_vccnz .LBB150_510
; %bb.509:
	global_load_b32 v0, v[2:3], off
	s_waitcnt vmcnt(0)
	v_cvt_f64_i32_e32 v[0:1], v0
.LBB150_510:
	s_mov_b32 s0, 0
.LBB150_511:
	s_delay_alu instid0(SALU_CYCLE_1)
	s_and_not1_b32 vcc_lo, exec_lo, s0
	s_cbranch_vccnz .LBB150_513
; %bb.512:
	global_load_i16 v0, v[2:3], off
	s_waitcnt vmcnt(0)
	v_cvt_f64_i32_e32 v[0:1], v0
.LBB150_513:
	s_mov_b32 s0, 0
.LBB150_514:
	s_delay_alu instid0(SALU_CYCLE_1)
	s_and_not1_b32 vcc_lo, exec_lo, s0
	s_cbranch_vccnz .LBB150_520
; %bb.515:
	v_cmp_lt_i16_e32 vcc_lo, 0, v4
	s_mov_b32 s0, 0
	s_cbranch_vccz .LBB150_517
; %bb.516:
	global_load_i8 v0, v[2:3], off
	s_waitcnt vmcnt(0)
	v_cvt_f64_i32_e32 v[0:1], v0
	s_branch .LBB150_518
.LBB150_517:
	s_mov_b32 s0, -1
                                        ; implicit-def: $vgpr0_vgpr1
.LBB150_518:
	s_delay_alu instid0(SALU_CYCLE_1)
	s_and_not1_b32 vcc_lo, exec_lo, s0
	s_cbranch_vccnz .LBB150_520
; %bb.519:
	global_load_u8 v0, v[2:3], off
	s_waitcnt vmcnt(0)
	v_cvt_f64_u32_e32 v[0:1], v0
.LBB150_520:
	s_branch .LBB150_388
.LBB150_521:
	s_mov_b32 s27, 0
	s_mov_b32 s0, s18
	;; [unrolled: 1-line block ×3, first 2 shown]
	s_branch .LBB150_761
.LBB150_522:
	s_or_saveexec_b32 s24, s24
                                        ; implicit-def: $sgpr25
	s_delay_alu instid0(SALU_CYCLE_1)
	s_xor_b32 exec_lo, exec_lo, s24
	s_cbranch_execz .LBB150_192
.LBB150_523:
	v_add_f32_e64 v3, 0x42800000, |v2|
	s_and_not1_b32 s20, s20, exec_lo
	s_mov_b32 s25, 0
	s_delay_alu instid0(VALU_DEP_1) | instskip(NEXT) | instid1(VALU_DEP_1)
	v_and_b32_e32 v3, 0xff, v3
	v_cmp_ne_u32_e32 vcc_lo, 0, v3
	s_and_b32 s26, vcc_lo, exec_lo
	s_delay_alu instid0(SALU_CYCLE_1)
	s_or_b32 s20, s20, s26
	s_or_b32 exec_lo, exec_lo, s24
	v_mov_b32_e32 v7, s25
	s_and_saveexec_b32 s24, s20
	s_cbranch_execnz .LBB150_193
	s_branch .LBB150_194
.LBB150_524:
	s_mov_b32 s1, -1
	s_mov_b32 s0, 0
.LBB150_525:
                                        ; implicit-def: $vgpr4
.LBB150_526:
	s_and_b32 vcc_lo, exec_lo, s24
	s_cbranch_vccz .LBB150_530
; %bb.527:
	v_cmp_eq_u16_e32 vcc_lo, 44, v6
	s_cbranch_vccz .LBB150_529
; %bb.528:
	global_load_u8 v4, v[2:3], off
	s_mov_b32 s1, 0
	s_mov_b32 s0, -1
	s_waitcnt vmcnt(0)
	v_lshlrev_b32_e32 v5, 23, v4
	v_cmp_ne_u32_e32 vcc_lo, 0, v4
	s_delay_alu instid0(VALU_DEP_2) | instskip(NEXT) | instid1(VALU_DEP_1)
	v_trunc_f32_e32 v5, v5
	v_mul_f32_e64 v7, 0x2f800000, |v5|
	s_delay_alu instid0(VALU_DEP_1) | instskip(NEXT) | instid1(VALU_DEP_1)
	v_floor_f32_e32 v7, v7
	v_fma_f32 v7, 0xcf800000, v7, |v5|
	v_ashrrev_i32_e32 v5, 31, v5
	s_delay_alu instid0(VALU_DEP_2) | instskip(NEXT) | instid1(VALU_DEP_1)
	v_cvt_u32_f32_e32 v7, v7
	v_xor_b32_e32 v7, v7, v5
	s_delay_alu instid0(VALU_DEP_1) | instskip(NEXT) | instid1(VALU_DEP_1)
	v_sub_nc_u32_e32 v5, v7, v5
	v_cndmask_b32_e32 v4, 0, v5, vcc_lo
	s_branch .LBB150_530
.LBB150_529:
	s_mov_b32 s1, -1
                                        ; implicit-def: $vgpr4
.LBB150_530:
	s_mov_b32 s24, 0
.LBB150_531:
	s_delay_alu instid0(SALU_CYCLE_1)
	s_and_b32 vcc_lo, exec_lo, s24
	s_cbranch_vccz .LBB150_535
; %bb.532:
	v_cmp_eq_u16_e32 vcc_lo, 29, v6
	s_cbranch_vccz .LBB150_534
; %bb.533:
	global_load_b64 v[4:5], v[2:3], off
	s_mov_b32 s0, -1
	s_mov_b32 s1, 0
	s_branch .LBB150_535
.LBB150_534:
	s_mov_b32 s1, -1
                                        ; implicit-def: $vgpr4
.LBB150_535:
	s_mov_b32 s24, 0
.LBB150_536:
	s_delay_alu instid0(SALU_CYCLE_1)
	s_and_b32 vcc_lo, exec_lo, s24
	s_cbranch_vccz .LBB150_552
; %bb.537:
	v_cmp_gt_i16_e32 vcc_lo, 27, v6
	s_cbranch_vccnz .LBB150_540
; %bb.538:
	v_cmp_lt_i16_e32 vcc_lo, 27, v6
	s_cbranch_vccz .LBB150_541
; %bb.539:
	global_load_b32 v4, v[2:3], off
	s_mov_b32 s0, 0
	s_branch .LBB150_542
.LBB150_540:
	s_mov_b32 s0, -1
                                        ; implicit-def: $vgpr4
	s_branch .LBB150_545
.LBB150_541:
	s_mov_b32 s0, -1
                                        ; implicit-def: $vgpr4
.LBB150_542:
	s_delay_alu instid0(SALU_CYCLE_1)
	s_and_not1_b32 vcc_lo, exec_lo, s0
	s_cbranch_vccnz .LBB150_544
; %bb.543:
	global_load_u16 v4, v[2:3], off
.LBB150_544:
	s_mov_b32 s0, 0
.LBB150_545:
	s_delay_alu instid0(SALU_CYCLE_1)
	s_and_not1_b32 vcc_lo, exec_lo, s0
	s_cbranch_vccnz .LBB150_551
; %bb.546:
	global_load_u8 v5, v[2:3], off
	s_mov_b32 s24, 0
	s_mov_b32 s0, exec_lo
                                        ; implicit-def: $sgpr25
	s_waitcnt vmcnt(0)
	v_cmpx_lt_i16_e32 0x7f, v5
	s_xor_b32 s0, exec_lo, s0
	s_cbranch_execz .LBB150_563
; %bb.547:
	v_cmp_ne_u16_e32 vcc_lo, 0x80, v5
	s_mov_b32 s25, 0
	s_and_b32 s24, vcc_lo, exec_lo
	s_or_saveexec_b32 s0, s0
	v_mov_b32_e32 v4, s25
	s_xor_b32 exec_lo, exec_lo, s0
	s_cbranch_execnz .LBB150_564
.LBB150_548:
	s_or_b32 exec_lo, exec_lo, s0
	s_and_saveexec_b32 s0, s24
	s_cbranch_execz .LBB150_550
.LBB150_549:
	v_and_b32_e32 v4, 0xffff, v5
	v_lshlrev_b32_e32 v5, 24, v5
	s_delay_alu instid0(VALU_DEP_2) | instskip(NEXT) | instid1(VALU_DEP_2)
	v_and_b32_e32 v7, 7, v4
	v_and_b32_e32 v5, 0x80000000, v5
	s_delay_alu instid0(VALU_DEP_2) | instskip(NEXT) | instid1(VALU_DEP_1)
	v_clz_i32_u32_e32 v8, v7
	v_min_u32_e32 v8, 32, v8
	s_delay_alu instid0(VALU_DEP_1) | instskip(SKIP_1) | instid1(VALU_DEP_2)
	v_subrev_nc_u32_e32 v9, 28, v8
	v_sub_nc_u32_e32 v8, 29, v8
	v_lshlrev_b32_e32 v9, v9, v4
	v_bfe_u32 v4, v4, 3, 4
	s_delay_alu instid0(VALU_DEP_1) | instskip(NEXT) | instid1(VALU_DEP_3)
	v_cmp_eq_u32_e32 vcc_lo, 0, v4
	v_dual_cndmask_b32 v4, v4, v8 :: v_dual_and_b32 v9, 7, v9
	s_delay_alu instid0(VALU_DEP_1) | instskip(NEXT) | instid1(VALU_DEP_2)
	v_cndmask_b32_e32 v7, v7, v9, vcc_lo
	v_lshl_add_u32 v4, v4, 23, 0x3b800000
	s_delay_alu instid0(VALU_DEP_2) | instskip(NEXT) | instid1(VALU_DEP_1)
	v_lshlrev_b32_e32 v7, 20, v7
	v_or3_b32 v4, v5, v4, v7
	s_delay_alu instid0(VALU_DEP_1) | instskip(NEXT) | instid1(VALU_DEP_1)
	v_trunc_f32_e32 v4, v4
	v_mul_f32_e64 v5, 0x2f800000, |v4|
	s_delay_alu instid0(VALU_DEP_1) | instskip(NEXT) | instid1(VALU_DEP_1)
	v_floor_f32_e32 v5, v5
	v_fma_f32 v5, 0xcf800000, v5, |v4|
	v_ashrrev_i32_e32 v4, 31, v4
	s_delay_alu instid0(VALU_DEP_2) | instskip(NEXT) | instid1(VALU_DEP_1)
	v_cvt_u32_f32_e32 v5, v5
	v_xor_b32_e32 v5, v5, v4
	s_delay_alu instid0(VALU_DEP_1)
	v_sub_nc_u32_e32 v4, v5, v4
.LBB150_550:
	s_or_b32 exec_lo, exec_lo, s0
.LBB150_551:
	s_mov_b32 s0, -1
.LBB150_552:
	s_mov_b32 s24, 0
.LBB150_553:
	s_delay_alu instid0(SALU_CYCLE_1)
	s_and_b32 vcc_lo, exec_lo, s24
	s_cbranch_vccz .LBB150_586
; %bb.554:
	v_cmp_lt_i16_e32 vcc_lo, 22, v6
	s_cbranch_vccz .LBB150_562
; %bb.555:
	v_cmp_gt_i16_e32 vcc_lo, 24, v6
	s_cbranch_vccnz .LBB150_565
; %bb.556:
	v_cmp_lt_i16_e32 vcc_lo, 24, v6
	s_cbranch_vccz .LBB150_566
; %bb.557:
	global_load_u8 v5, v[2:3], off
	s_mov_b32 s24, 0
	s_mov_b32 s0, exec_lo
                                        ; implicit-def: $sgpr25
	s_waitcnt vmcnt(0)
	v_cmpx_lt_i16_e32 0x7f, v5
	s_xor_b32 s0, exec_lo, s0
	s_cbranch_execz .LBB150_578
; %bb.558:
	v_cmp_ne_u16_e32 vcc_lo, 0x80, v5
	s_mov_b32 s25, 0
	s_and_b32 s24, vcc_lo, exec_lo
	s_or_saveexec_b32 s0, s0
	v_mov_b32_e32 v4, s25
	s_xor_b32 exec_lo, exec_lo, s0
	s_cbranch_execnz .LBB150_579
.LBB150_559:
	s_or_b32 exec_lo, exec_lo, s0
	s_and_saveexec_b32 s0, s24
	s_cbranch_execz .LBB150_561
.LBB150_560:
	v_and_b32_e32 v4, 0xffff, v5
	v_lshlrev_b32_e32 v5, 24, v5
	s_delay_alu instid0(VALU_DEP_2) | instskip(NEXT) | instid1(VALU_DEP_2)
	v_and_b32_e32 v7, 3, v4
	v_and_b32_e32 v5, 0x80000000, v5
	s_delay_alu instid0(VALU_DEP_2) | instskip(NEXT) | instid1(VALU_DEP_1)
	v_clz_i32_u32_e32 v8, v7
	v_min_u32_e32 v8, 32, v8
	s_delay_alu instid0(VALU_DEP_1) | instskip(SKIP_1) | instid1(VALU_DEP_2)
	v_subrev_nc_u32_e32 v9, 29, v8
	v_sub_nc_u32_e32 v8, 30, v8
	v_lshlrev_b32_e32 v9, v9, v4
	v_bfe_u32 v4, v4, 2, 5
	s_delay_alu instid0(VALU_DEP_1) | instskip(NEXT) | instid1(VALU_DEP_3)
	v_cmp_eq_u32_e32 vcc_lo, 0, v4
	v_dual_cndmask_b32 v4, v4, v8 :: v_dual_and_b32 v9, 3, v9
	s_delay_alu instid0(VALU_DEP_1) | instskip(NEXT) | instid1(VALU_DEP_2)
	v_cndmask_b32_e32 v7, v7, v9, vcc_lo
	v_lshl_add_u32 v4, v4, 23, 0x37800000
	s_delay_alu instid0(VALU_DEP_2) | instskip(NEXT) | instid1(VALU_DEP_1)
	v_lshlrev_b32_e32 v7, 21, v7
	v_or3_b32 v4, v5, v4, v7
	s_delay_alu instid0(VALU_DEP_1) | instskip(NEXT) | instid1(VALU_DEP_1)
	v_trunc_f32_e32 v4, v4
	v_mul_f32_e64 v5, 0x2f800000, |v4|
	s_delay_alu instid0(VALU_DEP_1) | instskip(NEXT) | instid1(VALU_DEP_1)
	v_floor_f32_e32 v5, v5
	v_fma_f32 v5, 0xcf800000, v5, |v4|
	v_ashrrev_i32_e32 v4, 31, v4
	s_delay_alu instid0(VALU_DEP_2) | instskip(NEXT) | instid1(VALU_DEP_1)
	v_cvt_u32_f32_e32 v5, v5
	v_xor_b32_e32 v5, v5, v4
	s_delay_alu instid0(VALU_DEP_1)
	v_sub_nc_u32_e32 v4, v5, v4
.LBB150_561:
	s_or_b32 exec_lo, exec_lo, s0
	s_mov_b32 s0, 0
	s_branch .LBB150_567
.LBB150_562:
	s_mov_b32 s24, -1
                                        ; implicit-def: $vgpr4
	s_branch .LBB150_573
.LBB150_563:
	s_or_saveexec_b32 s0, s0
	v_mov_b32_e32 v4, s25
	s_xor_b32 exec_lo, exec_lo, s0
	s_cbranch_execz .LBB150_548
.LBB150_564:
	v_cmp_ne_u16_e32 vcc_lo, 0, v5
	v_mov_b32_e32 v4, 0
	s_and_not1_b32 s24, s24, exec_lo
	s_and_b32 s25, vcc_lo, exec_lo
	s_delay_alu instid0(SALU_CYCLE_1)
	s_or_b32 s24, s24, s25
	s_or_b32 exec_lo, exec_lo, s0
	s_and_saveexec_b32 s0, s24
	s_cbranch_execnz .LBB150_549
	s_branch .LBB150_550
.LBB150_565:
	s_mov_b32 s0, -1
                                        ; implicit-def: $vgpr4
	s_branch .LBB150_570
.LBB150_566:
	s_mov_b32 s0, -1
                                        ; implicit-def: $vgpr4
.LBB150_567:
	s_delay_alu instid0(SALU_CYCLE_1)
	s_and_b32 vcc_lo, exec_lo, s0
	s_cbranch_vccz .LBB150_569
; %bb.568:
	global_load_u8 v4, v[2:3], off
	s_waitcnt vmcnt(0)
	v_lshlrev_b32_e32 v4, 24, v4
	s_delay_alu instid0(VALU_DEP_1) | instskip(NEXT) | instid1(VALU_DEP_1)
	v_and_b32_e32 v5, 0x7f000000, v4
	v_clz_i32_u32_e32 v7, v5
	v_add_nc_u32_e32 v9, 0x1000000, v5
	v_cmp_ne_u32_e32 vcc_lo, 0, v5
	s_delay_alu instid0(VALU_DEP_3) | instskip(NEXT) | instid1(VALU_DEP_1)
	v_min_u32_e32 v7, 32, v7
	v_sub_nc_u32_e64 v7, v7, 4 clamp
	s_delay_alu instid0(VALU_DEP_1) | instskip(SKIP_1) | instid1(VALU_DEP_2)
	v_lshlrev_b32_e32 v8, v7, v5
	v_lshlrev_b32_e32 v7, 23, v7
	v_lshrrev_b32_e32 v8, 4, v8
	s_delay_alu instid0(VALU_DEP_1) | instskip(SKIP_1) | instid1(VALU_DEP_2)
	v_sub_nc_u32_e32 v7, v8, v7
	v_ashrrev_i32_e32 v8, 8, v9
	v_add_nc_u32_e32 v7, 0x3c000000, v7
	s_delay_alu instid0(VALU_DEP_1) | instskip(NEXT) | instid1(VALU_DEP_1)
	v_and_or_b32 v7, 0x7f800000, v8, v7
	v_cndmask_b32_e32 v5, 0, v7, vcc_lo
	s_delay_alu instid0(VALU_DEP_1) | instskip(NEXT) | instid1(VALU_DEP_1)
	v_and_or_b32 v4, 0x80000000, v4, v5
	v_trunc_f32_e32 v4, v4
	s_delay_alu instid0(VALU_DEP_1) | instskip(NEXT) | instid1(VALU_DEP_1)
	v_mul_f32_e64 v5, 0x2f800000, |v4|
	v_floor_f32_e32 v5, v5
	s_delay_alu instid0(VALU_DEP_1) | instskip(SKIP_1) | instid1(VALU_DEP_2)
	v_fma_f32 v5, 0xcf800000, v5, |v4|
	v_ashrrev_i32_e32 v4, 31, v4
	v_cvt_u32_f32_e32 v5, v5
	s_delay_alu instid0(VALU_DEP_1) | instskip(NEXT) | instid1(VALU_DEP_1)
	v_xor_b32_e32 v5, v5, v4
	v_sub_nc_u32_e32 v4, v5, v4
.LBB150_569:
	s_mov_b32 s0, 0
.LBB150_570:
	s_delay_alu instid0(SALU_CYCLE_1)
	s_and_not1_b32 vcc_lo, exec_lo, s0
	s_cbranch_vccnz .LBB150_572
; %bb.571:
	global_load_u8 v4, v[2:3], off
	s_waitcnt vmcnt(0)
	v_lshlrev_b32_e32 v5, 25, v4
	v_lshlrev_b16 v4, 8, v4
	s_delay_alu instid0(VALU_DEP_2) | instskip(NEXT) | instid1(VALU_DEP_2)
	v_lshrrev_b32_e32 v7, 4, v5
	v_and_or_b32 v8, 0x7f00, v4, 0.5
	v_cmp_gt_u32_e32 vcc_lo, 0x8000000, v5
	v_bfe_i32 v4, v4, 0, 16
	s_delay_alu instid0(VALU_DEP_4) | instskip(NEXT) | instid1(VALU_DEP_1)
	v_or_b32_e32 v7, 0x70000000, v7
	v_dual_add_f32 v8, -0.5, v8 :: v_dual_mul_f32 v7, 0x7800000, v7
	s_delay_alu instid0(VALU_DEP_1) | instskip(NEXT) | instid1(VALU_DEP_1)
	v_cndmask_b32_e32 v5, v7, v8, vcc_lo
	v_and_or_b32 v4, 0x80000000, v4, v5
	s_delay_alu instid0(VALU_DEP_1) | instskip(NEXT) | instid1(VALU_DEP_1)
	v_trunc_f32_e32 v4, v4
	v_mul_f32_e64 v5, 0x2f800000, |v4|
	s_delay_alu instid0(VALU_DEP_1) | instskip(NEXT) | instid1(VALU_DEP_1)
	v_floor_f32_e32 v5, v5
	v_fma_f32 v5, 0xcf800000, v5, |v4|
	v_ashrrev_i32_e32 v4, 31, v4
	s_delay_alu instid0(VALU_DEP_2) | instskip(NEXT) | instid1(VALU_DEP_1)
	v_cvt_u32_f32_e32 v5, v5
	v_xor_b32_e32 v5, v5, v4
	s_delay_alu instid0(VALU_DEP_1)
	v_sub_nc_u32_e32 v4, v5, v4
.LBB150_572:
	s_mov_b32 s24, 0
	s_mov_b32 s0, -1
.LBB150_573:
	s_and_not1_b32 vcc_lo, exec_lo, s24
	s_cbranch_vccnz .LBB150_586
; %bb.574:
	v_cmp_lt_i16_e32 vcc_lo, 14, v6
	s_cbranch_vccz .LBB150_577
; %bb.575:
	v_cmp_eq_u16_e32 vcc_lo, 15, v6
	s_cbranch_vccz .LBB150_580
; %bb.576:
	global_load_u16 v4, v[2:3], off
	s_mov_b32 s0, -1
	s_mov_b32 s1, 0
	s_waitcnt vmcnt(0)
	v_lshlrev_b32_e32 v4, 16, v4
	s_delay_alu instid0(VALU_DEP_1) | instskip(NEXT) | instid1(VALU_DEP_1)
	v_trunc_f32_e32 v4, v4
	v_mul_f32_e64 v5, 0x2f800000, |v4|
	s_delay_alu instid0(VALU_DEP_1) | instskip(NEXT) | instid1(VALU_DEP_1)
	v_floor_f32_e32 v5, v5
	v_fma_f32 v5, 0xcf800000, v5, |v4|
	v_ashrrev_i32_e32 v4, 31, v4
	s_delay_alu instid0(VALU_DEP_2) | instskip(NEXT) | instid1(VALU_DEP_1)
	v_cvt_u32_f32_e32 v5, v5
	v_xor_b32_e32 v5, v5, v4
	s_delay_alu instid0(VALU_DEP_1)
	v_sub_nc_u32_e32 v4, v5, v4
	s_branch .LBB150_581
.LBB150_577:
	s_mov_b32 s24, -1
                                        ; implicit-def: $vgpr4
	s_branch .LBB150_582
.LBB150_578:
	s_or_saveexec_b32 s0, s0
	v_mov_b32_e32 v4, s25
	s_xor_b32 exec_lo, exec_lo, s0
	s_cbranch_execz .LBB150_559
.LBB150_579:
	v_cmp_ne_u16_e32 vcc_lo, 0, v5
	v_mov_b32_e32 v4, 0
	s_and_not1_b32 s24, s24, exec_lo
	s_and_b32 s25, vcc_lo, exec_lo
	s_delay_alu instid0(SALU_CYCLE_1)
	s_or_b32 s24, s24, s25
	s_or_b32 exec_lo, exec_lo, s0
	s_and_saveexec_b32 s0, s24
	s_cbranch_execnz .LBB150_560
	s_branch .LBB150_561
.LBB150_580:
	s_mov_b32 s1, -1
                                        ; implicit-def: $vgpr4
.LBB150_581:
	s_mov_b32 s24, 0
.LBB150_582:
	s_delay_alu instid0(SALU_CYCLE_1)
	s_and_b32 vcc_lo, exec_lo, s24
	s_cbranch_vccz .LBB150_586
; %bb.583:
	v_cmp_eq_u16_e32 vcc_lo, 11, v6
	s_cbranch_vccz .LBB150_585
; %bb.584:
	global_load_u8 v4, v[2:3], off
	s_mov_b32 s1, 0
	s_mov_b32 s0, -1
	s_waitcnt vmcnt(0)
	v_cmp_ne_u16_e32 vcc_lo, 0, v4
	v_cndmask_b32_e64 v4, 0, 1, vcc_lo
	s_branch .LBB150_586
.LBB150_585:
	s_mov_b32 s1, -1
                                        ; implicit-def: $vgpr4
.LBB150_586:
	s_mov_b32 s24, 0
.LBB150_587:
	s_delay_alu instid0(SALU_CYCLE_1)
	s_and_b32 vcc_lo, exec_lo, s24
	s_cbranch_vccz .LBB150_636
; %bb.588:
	v_cmp_gt_i16_e32 vcc_lo, 5, v6
	s_cbranch_vccnz .LBB150_593
; %bb.589:
	v_cmp_gt_i16_e32 vcc_lo, 8, v6
	s_cbranch_vccnz .LBB150_594
	;; [unrolled: 3-line block ×3, first 2 shown]
; %bb.591:
	v_cmp_lt_i16_e32 vcc_lo, 9, v6
	s_cbranch_vccz .LBB150_596
; %bb.592:
	global_load_b64 v[4:5], v[2:3], off
	s_mov_b32 s0, 0
	s_waitcnt vmcnt(0)
	v_trunc_f64_e32 v[4:5], v[4:5]
	s_delay_alu instid0(VALU_DEP_1) | instskip(NEXT) | instid1(VALU_DEP_1)
	v_ldexp_f64 v[7:8], v[4:5], 0xffffffe0
	v_floor_f64_e32 v[7:8], v[7:8]
	s_delay_alu instid0(VALU_DEP_1) | instskip(NEXT) | instid1(VALU_DEP_1)
	v_fma_f64 v[4:5], 0xc1f00000, v[7:8], v[4:5]
	v_cvt_u32_f64_e32 v4, v[4:5]
	s_branch .LBB150_597
.LBB150_593:
	s_mov_b32 s0, -1
                                        ; implicit-def: $vgpr4
	s_branch .LBB150_615
.LBB150_594:
	s_mov_b32 s0, -1
                                        ; implicit-def: $vgpr4
	s_branch .LBB150_603
.LBB150_595:
	s_mov_b32 s0, -1
                                        ; implicit-def: $vgpr4
	s_branch .LBB150_600
.LBB150_596:
	s_mov_b32 s0, -1
                                        ; implicit-def: $vgpr4
.LBB150_597:
	s_delay_alu instid0(SALU_CYCLE_1)
	s_and_not1_b32 vcc_lo, exec_lo, s0
	s_cbranch_vccnz .LBB150_599
; %bb.598:
	global_load_b32 v4, v[2:3], off
	s_waitcnt vmcnt(0)
	v_trunc_f32_e32 v4, v4
	s_delay_alu instid0(VALU_DEP_1) | instskip(NEXT) | instid1(VALU_DEP_1)
	v_mul_f32_e64 v5, 0x2f800000, |v4|
	v_floor_f32_e32 v5, v5
	s_delay_alu instid0(VALU_DEP_1) | instskip(SKIP_1) | instid1(VALU_DEP_2)
	v_fma_f32 v5, 0xcf800000, v5, |v4|
	v_ashrrev_i32_e32 v4, 31, v4
	v_cvt_u32_f32_e32 v5, v5
	s_delay_alu instid0(VALU_DEP_1) | instskip(NEXT) | instid1(VALU_DEP_1)
	v_xor_b32_e32 v5, v5, v4
	v_sub_nc_u32_e32 v4, v5, v4
.LBB150_599:
	s_mov_b32 s0, 0
.LBB150_600:
	s_delay_alu instid0(SALU_CYCLE_1)
	s_and_not1_b32 vcc_lo, exec_lo, s0
	s_cbranch_vccnz .LBB150_602
; %bb.601:
	global_load_b32 v4, v[2:3], off
	s_waitcnt vmcnt(0)
	v_cvt_f32_f16_e32 v4, v4
	s_delay_alu instid0(VALU_DEP_1)
	v_cvt_i32_f32_e32 v4, v4
.LBB150_602:
	s_mov_b32 s0, 0
.LBB150_603:
	s_delay_alu instid0(SALU_CYCLE_1)
	s_and_not1_b32 vcc_lo, exec_lo, s0
	s_cbranch_vccnz .LBB150_614
; %bb.604:
	v_cmp_gt_i16_e32 vcc_lo, 6, v6
	s_cbranch_vccnz .LBB150_607
; %bb.605:
	v_cmp_lt_i16_e32 vcc_lo, 6, v6
	s_cbranch_vccz .LBB150_608
; %bb.606:
	global_load_b64 v[4:5], v[2:3], off
	s_mov_b32 s0, 0
	s_waitcnt vmcnt(0)
	v_trunc_f64_e32 v[4:5], v[4:5]
	s_delay_alu instid0(VALU_DEP_1) | instskip(NEXT) | instid1(VALU_DEP_1)
	v_ldexp_f64 v[7:8], v[4:5], 0xffffffe0
	v_floor_f64_e32 v[7:8], v[7:8]
	s_delay_alu instid0(VALU_DEP_1) | instskip(NEXT) | instid1(VALU_DEP_1)
	v_fma_f64 v[4:5], 0xc1f00000, v[7:8], v[4:5]
	v_cvt_u32_f64_e32 v4, v[4:5]
	s_branch .LBB150_609
.LBB150_607:
	s_mov_b32 s0, -1
                                        ; implicit-def: $vgpr4
	s_branch .LBB150_612
.LBB150_608:
	s_mov_b32 s0, -1
                                        ; implicit-def: $vgpr4
.LBB150_609:
	s_delay_alu instid0(SALU_CYCLE_1)
	s_and_not1_b32 vcc_lo, exec_lo, s0
	s_cbranch_vccnz .LBB150_611
; %bb.610:
	global_load_b32 v4, v[2:3], off
	s_waitcnt vmcnt(0)
	v_trunc_f32_e32 v4, v4
	s_delay_alu instid0(VALU_DEP_1) | instskip(NEXT) | instid1(VALU_DEP_1)
	v_mul_f32_e64 v5, 0x2f800000, |v4|
	v_floor_f32_e32 v5, v5
	s_delay_alu instid0(VALU_DEP_1) | instskip(SKIP_1) | instid1(VALU_DEP_2)
	v_fma_f32 v5, 0xcf800000, v5, |v4|
	v_ashrrev_i32_e32 v4, 31, v4
	v_cvt_u32_f32_e32 v5, v5
	s_delay_alu instid0(VALU_DEP_1) | instskip(NEXT) | instid1(VALU_DEP_1)
	v_xor_b32_e32 v5, v5, v4
	v_sub_nc_u32_e32 v4, v5, v4
.LBB150_611:
	s_mov_b32 s0, 0
.LBB150_612:
	s_delay_alu instid0(SALU_CYCLE_1)
	s_and_not1_b32 vcc_lo, exec_lo, s0
	s_cbranch_vccnz .LBB150_614
; %bb.613:
	global_load_u16 v4, v[2:3], off
	s_waitcnt vmcnt(0)
	v_cvt_f32_f16_e32 v4, v4
	s_delay_alu instid0(VALU_DEP_1)
	v_cvt_i32_f32_e32 v4, v4
.LBB150_614:
	s_mov_b32 s0, 0
.LBB150_615:
	s_delay_alu instid0(SALU_CYCLE_1)
	s_and_not1_b32 vcc_lo, exec_lo, s0
	s_cbranch_vccnz .LBB150_635
; %bb.616:
	v_cmp_gt_i16_e32 vcc_lo, 2, v6
	s_cbranch_vccnz .LBB150_620
; %bb.617:
	v_cmp_gt_i16_e32 vcc_lo, 3, v6
	s_cbranch_vccnz .LBB150_621
; %bb.618:
	v_cmp_lt_i16_e32 vcc_lo, 3, v6
	s_cbranch_vccz .LBB150_622
; %bb.619:
	global_load_b64 v[4:5], v[2:3], off
	s_mov_b32 s0, 0
	s_branch .LBB150_623
.LBB150_620:
	s_mov_b32 s0, -1
                                        ; implicit-def: $vgpr4
	s_branch .LBB150_629
.LBB150_621:
	s_mov_b32 s0, -1
                                        ; implicit-def: $vgpr4
	s_branch .LBB150_626
.LBB150_622:
	s_mov_b32 s0, -1
                                        ; implicit-def: $vgpr4
.LBB150_623:
	s_delay_alu instid0(SALU_CYCLE_1)
	s_and_not1_b32 vcc_lo, exec_lo, s0
	s_cbranch_vccnz .LBB150_625
; %bb.624:
	global_load_b32 v4, v[2:3], off
.LBB150_625:
	s_mov_b32 s0, 0
.LBB150_626:
	s_delay_alu instid0(SALU_CYCLE_1)
	s_and_not1_b32 vcc_lo, exec_lo, s0
	s_cbranch_vccnz .LBB150_628
; %bb.627:
	global_load_u16 v4, v[2:3], off
.LBB150_628:
	s_mov_b32 s0, 0
.LBB150_629:
	s_delay_alu instid0(SALU_CYCLE_1)
	s_and_not1_b32 vcc_lo, exec_lo, s0
	s_cbranch_vccnz .LBB150_635
; %bb.630:
	v_cmp_lt_i16_e32 vcc_lo, 0, v6
	s_mov_b32 s0, 0
	s_cbranch_vccz .LBB150_632
; %bb.631:
	global_load_u8 v4, v[2:3], off
	s_branch .LBB150_633
.LBB150_632:
	s_mov_b32 s0, -1
                                        ; implicit-def: $vgpr4
.LBB150_633:
	s_delay_alu instid0(SALU_CYCLE_1)
	s_and_not1_b32 vcc_lo, exec_lo, s0
	s_cbranch_vccnz .LBB150_635
; %bb.634:
	global_load_u8 v4, v[2:3], off
.LBB150_635:
	s_mov_b32 s0, -1
.LBB150_636:
	s_delay_alu instid0(SALU_CYCLE_1)
	s_and_not1_b32 vcc_lo, exec_lo, s0
	s_cbranch_vccnz .LBB150_644
; %bb.637:
	s_waitcnt vmcnt(0)
	s_delay_alu instid0(VALU_DEP_1) | instskip(SKIP_1) | instid1(VALU_DEP_2)
	v_and_b32_e32 v2, 0xff, v4
	v_and_b32_e64 v6, 0xff, s14
	v_and_b32_e32 v2, 0xffff, v2
	s_delay_alu instid0(VALU_DEP_2) | instskip(NEXT) | instid1(VALU_DEP_2)
	v_cmp_gt_i16_e32 vcc_lo, 11, v6
	v_cvt_f64_u32_e32 v[2:3], v2
	s_and_b32 vcc_lo, exec_lo, vcc_lo
	s_delay_alu instid0(VALU_DEP_1) | instskip(SKIP_1) | instid1(VALU_DEP_1)
	v_mul_f64 v[0:1], v[0:1], v[2:3]
	v_mul_lo_u32 v2, v16, s8
	v_ashrrev_i32_e32 v3, 31, v2
	v_add_co_u32 v4, s0, s4, v2
	s_delay_alu instid0(VALU_DEP_1)
	v_add_co_ci_u32_e64 v5, s0, s5, v3, s0
	v_mul_f64 v[0:1], s[2:3], v[0:1]
	s_cbranch_vccnz .LBB150_645
; %bb.638:
	v_cmp_lt_i16_e32 vcc_lo, 25, v6
	s_cbranch_vccz .LBB150_646
; %bb.639:
	v_cmp_lt_i16_e32 vcc_lo, 28, v6
	s_cbranch_vccz .LBB150_647
	;; [unrolled: 3-line block ×4, first 2 shown]
; %bb.642:
	v_cmp_eq_u16_e32 vcc_lo, 46, v6
	s_mov_b32 s25, 0
	s_mov_b32 s0, -1
	s_mov_b32 s24, 0
	s_cbranch_vccz .LBB150_650
; %bb.643:
	v_cvt_f32_f64_e32 v2, v[0:1]
	s_mov_b32 s24, -1
	s_mov_b32 s0, 0
	s_delay_alu instid0(VALU_DEP_1) | instskip(SKIP_1) | instid1(VALU_DEP_2)
	v_bfe_u32 v3, v2, 16, 1
	v_cmp_o_f32_e32 vcc_lo, v2, v2
	v_add3_u32 v3, v2, v3, 0x7fff
	s_delay_alu instid0(VALU_DEP_1) | instskip(NEXT) | instid1(VALU_DEP_1)
	v_lshrrev_b32_e32 v3, 16, v3
	v_cndmask_b32_e32 v2, 0x7fc0, v3, vcc_lo
	global_store_b32 v[4:5], v2, off
	s_branch .LBB150_650
.LBB150_644:
	s_mov_b32 s27, 0
	s_mov_b32 s0, s18
	s_branch .LBB150_761
.LBB150_645:
	s_mov_b32 s25, -1
	s_mov_b32 s24, 0
	s_mov_b32 s0, s18
	s_branch .LBB150_719
.LBB150_646:
	s_mov_b32 s25, -1
	s_mov_b32 s24, 0
	s_mov_b32 s0, s18
	s_branch .LBB150_677
.LBB150_647:
	s_mov_b32 s25, -1
	s_mov_b32 s24, 0
	s_mov_b32 s0, s18
	s_branch .LBB150_660
.LBB150_648:
	s_mov_b32 s25, -1
	s_mov_b32 s24, 0
	s_mov_b32 s0, s18
	s_branch .LBB150_656
.LBB150_649:
	s_mov_b32 s25, -1
	s_mov_b32 s24, 0
	s_mov_b32 s0, s18
.LBB150_650:
	s_and_b32 vcc_lo, exec_lo, s25
	s_cbranch_vccz .LBB150_655
; %bb.651:
	v_cmp_eq_u16_e32 vcc_lo, 44, v6
	s_mov_b32 s0, -1
	s_cbranch_vccz .LBB150_655
; %bb.652:
	v_cvt_f32_f64_e32 v2, v[0:1]
	v_mov_b32_e32 v3, 0xff
	s_mov_b32 s24, exec_lo
	s_delay_alu instid0(VALU_DEP_2) | instskip(NEXT) | instid1(VALU_DEP_1)
	v_bfe_u32 v7, v2, 23, 8
	v_cmpx_ne_u32_e32 0xff, v7
; %bb.653:
	v_and_b32_e32 v3, 0x400000, v2
	v_and_or_b32 v7, 0x3fffff, v2, v7
	v_lshrrev_b32_e32 v2, 23, v2
	s_delay_alu instid0(VALU_DEP_3) | instskip(NEXT) | instid1(VALU_DEP_3)
	v_cmp_ne_u32_e32 vcc_lo, 0, v3
	v_cmp_ne_u32_e64 s0, 0, v7
	s_delay_alu instid0(VALU_DEP_1) | instskip(NEXT) | instid1(SALU_CYCLE_1)
	s_and_b32 s0, vcc_lo, s0
	v_cndmask_b32_e64 v3, 0, 1, s0
	s_delay_alu instid0(VALU_DEP_1)
	v_add_nc_u32_e32 v3, v2, v3
; %bb.654:
	s_or_b32 exec_lo, exec_lo, s24
	s_mov_b32 s24, -1
	s_mov_b32 s0, 0
	global_store_b8 v[4:5], v3, off
.LBB150_655:
	s_mov_b32 s25, 0
.LBB150_656:
	s_delay_alu instid0(SALU_CYCLE_1)
	s_and_b32 vcc_lo, exec_lo, s25
	s_cbranch_vccz .LBB150_659
; %bb.657:
	v_cmp_eq_u16_e32 vcc_lo, 29, v6
	s_mov_b32 s0, -1
	s_cbranch_vccz .LBB150_659
; %bb.658:
	v_trunc_f64_e32 v[2:3], v[0:1]
	s_mov_b32 s24, -1
	s_mov_b32 s0, 0
	s_mov_b32 s25, 0
	s_delay_alu instid0(VALU_DEP_1) | instskip(NEXT) | instid1(VALU_DEP_1)
	v_ldexp_f64 v[7:8], v[2:3], 0xffffffe0
	v_floor_f64_e32 v[7:8], v[7:8]
	s_delay_alu instid0(VALU_DEP_1) | instskip(SKIP_1) | instid1(VALU_DEP_2)
	v_fma_f64 v[2:3], 0xc1f00000, v[7:8], v[2:3]
	v_cvt_u32_f64_e32 v8, v[7:8]
	v_cvt_u32_f64_e32 v7, v[2:3]
	global_store_b64 v[4:5], v[7:8], off
	s_branch .LBB150_660
.LBB150_659:
	s_mov_b32 s25, 0
.LBB150_660:
	s_delay_alu instid0(SALU_CYCLE_1)
	s_and_b32 vcc_lo, exec_lo, s25
	s_cbranch_vccz .LBB150_676
; %bb.661:
	v_cmp_gt_i16_e32 vcc_lo, 27, v6
	s_mov_b32 s24, -1
	s_cbranch_vccnz .LBB150_667
; %bb.662:
	v_cmp_lt_i16_e32 vcc_lo, 27, v6
	s_cbranch_vccz .LBB150_664
; %bb.663:
	v_cvt_u32_f64_e32 v2, v[0:1]
	s_mov_b32 s24, 0
	global_store_b32 v[4:5], v2, off
.LBB150_664:
	s_and_not1_b32 vcc_lo, exec_lo, s24
	s_cbranch_vccnz .LBB150_666
; %bb.665:
	v_cvt_u32_f64_e32 v2, v[0:1]
	global_store_b16 v[4:5], v2, off
.LBB150_666:
	s_mov_b32 s24, 0
.LBB150_667:
	s_delay_alu instid0(SALU_CYCLE_1)
	s_and_not1_b32 vcc_lo, exec_lo, s24
	s_cbranch_vccnz .LBB150_675
; %bb.668:
	s_delay_alu instid0(VALU_DEP_4) | instskip(SKIP_2) | instid1(VALU_DEP_2)
	v_cvt_f32_f64_e32 v2, v[0:1]
	v_mov_b32_e32 v7, 0x80
	s_mov_b32 s24, exec_lo
	v_and_b32_e32 v3, 0x7fffffff, v2
	s_delay_alu instid0(VALU_DEP_1)
	v_cmpx_gt_u32_e32 0x43800000, v3
	s_cbranch_execz .LBB150_674
; %bb.669:
	v_cmp_lt_u32_e32 vcc_lo, 0x3bffffff, v3
	s_mov_b32 s25, 0
                                        ; implicit-def: $vgpr3
	s_and_saveexec_b32 s27, vcc_lo
	s_delay_alu instid0(SALU_CYCLE_1)
	s_xor_b32 s27, exec_lo, s27
	s_cbranch_execz .LBB150_777
; %bb.670:
	v_bfe_u32 v3, v2, 20, 1
	s_mov_b32 s25, exec_lo
	s_delay_alu instid0(VALU_DEP_1) | instskip(NEXT) | instid1(VALU_DEP_1)
	v_add3_u32 v3, v2, v3, 0x487ffff
	v_lshrrev_b32_e32 v3, 20, v3
	s_or_saveexec_b32 s27, s27
                                        ; implicit-def: $sgpr28
	s_delay_alu instid0(SALU_CYCLE_1)
	s_xor_b32 exec_lo, exec_lo, s27
	s_cbranch_execnz .LBB150_778
.LBB150_671:
	s_or_b32 exec_lo, exec_lo, s27
	v_mov_b32_e32 v7, s28
	s_and_saveexec_b32 s27, s25
.LBB150_672:
	v_lshrrev_b32_e32 v2, 24, v2
	s_delay_alu instid0(VALU_DEP_1)
	v_and_or_b32 v7, 0x80, v2, v3
.LBB150_673:
	s_or_b32 exec_lo, exec_lo, s27
.LBB150_674:
	s_delay_alu instid0(SALU_CYCLE_1)
	s_or_b32 exec_lo, exec_lo, s24
	global_store_b8 v[4:5], v7, off
.LBB150_675:
	s_mov_b32 s24, -1
.LBB150_676:
	s_mov_b32 s25, 0
.LBB150_677:
	s_delay_alu instid0(SALU_CYCLE_1)
	s_and_b32 vcc_lo, exec_lo, s25
	s_cbranch_vccz .LBB150_718
; %bb.678:
	v_cmp_lt_i16_e32 vcc_lo, 22, v6
	s_mov_b32 s25, -1
	s_cbranch_vccz .LBB150_710
; %bb.679:
	v_cmp_gt_i16_e32 vcc_lo, 24, v6
	s_mov_b32 s24, -1
	s_cbranch_vccnz .LBB150_699
; %bb.680:
	v_cmp_lt_i16_e32 vcc_lo, 24, v6
	s_cbranch_vccz .LBB150_688
; %bb.681:
	v_cvt_f32_f64_e32 v2, v[0:1]
	v_mov_b32_e32 v7, 0x80
	s_mov_b32 s24, exec_lo
	s_delay_alu instid0(VALU_DEP_2) | instskip(NEXT) | instid1(VALU_DEP_1)
	v_and_b32_e32 v3, 0x7fffffff, v2
	v_cmpx_gt_u32_e32 0x47800000, v3
	s_cbranch_execz .LBB150_687
; %bb.682:
	v_cmp_lt_u32_e32 vcc_lo, 0x37ffffff, v3
	s_mov_b32 s25, 0
                                        ; implicit-def: $vgpr3
	s_and_saveexec_b32 s27, vcc_lo
	s_delay_alu instid0(SALU_CYCLE_1)
	s_xor_b32 s27, exec_lo, s27
	s_cbranch_execz .LBB150_909
; %bb.683:
	v_bfe_u32 v3, v2, 21, 1
	s_mov_b32 s25, exec_lo
	s_delay_alu instid0(VALU_DEP_1) | instskip(NEXT) | instid1(VALU_DEP_1)
	v_add3_u32 v3, v2, v3, 0x88fffff
	v_lshrrev_b32_e32 v3, 21, v3
	s_or_saveexec_b32 s27, s27
                                        ; implicit-def: $sgpr28
	s_delay_alu instid0(SALU_CYCLE_1)
	s_xor_b32 exec_lo, exec_lo, s27
	s_cbranch_execnz .LBB150_910
.LBB150_684:
	s_or_b32 exec_lo, exec_lo, s27
	v_mov_b32_e32 v7, s28
	s_and_saveexec_b32 s27, s25
.LBB150_685:
	v_lshrrev_b32_e32 v2, 24, v2
	s_delay_alu instid0(VALU_DEP_1)
	v_and_or_b32 v7, 0x80, v2, v3
.LBB150_686:
	s_or_b32 exec_lo, exec_lo, s27
.LBB150_687:
	s_delay_alu instid0(SALU_CYCLE_1)
	s_or_b32 exec_lo, exec_lo, s24
	s_mov_b32 s24, 0
	global_store_b8 v[4:5], v7, off
.LBB150_688:
	s_and_b32 vcc_lo, exec_lo, s24
	s_cbranch_vccz .LBB150_698
; %bb.689:
	v_cvt_f32_f64_e32 v2, v[0:1]
	s_mov_b32 s24, exec_lo
                                        ; implicit-def: $vgpr3
	s_delay_alu instid0(VALU_DEP_1) | instskip(NEXT) | instid1(VALU_DEP_1)
	v_and_b32_e32 v7, 0x7fffffff, v2
	v_cmpx_gt_u32_e32 0x43f00000, v7
	s_xor_b32 s24, exec_lo, s24
	s_cbranch_execz .LBB150_695
; %bb.690:
	s_mov_b32 s25, exec_lo
                                        ; implicit-def: $vgpr3
	v_cmpx_lt_u32_e32 0x3c7fffff, v7
	s_xor_b32 s25, exec_lo, s25
; %bb.691:
	v_bfe_u32 v3, v2, 20, 1
	s_delay_alu instid0(VALU_DEP_1) | instskip(NEXT) | instid1(VALU_DEP_1)
	v_add3_u32 v3, v2, v3, 0x407ffff
	v_and_b32_e32 v7, 0xff00000, v3
	v_lshrrev_b32_e32 v3, 20, v3
	s_delay_alu instid0(VALU_DEP_2) | instskip(NEXT) | instid1(VALU_DEP_2)
	v_cmp_ne_u32_e32 vcc_lo, 0x7f00000, v7
	v_cndmask_b32_e32 v3, 0x7e, v3, vcc_lo
; %bb.692:
	s_and_not1_saveexec_b32 s25, s25
; %bb.693:
	v_add_f32_e64 v3, 0x46800000, |v2|
; %bb.694:
	s_or_b32 exec_lo, exec_lo, s25
                                        ; implicit-def: $vgpr7
.LBB150_695:
	s_and_not1_saveexec_b32 s24, s24
; %bb.696:
	v_mov_b32_e32 v3, 0x7f
	v_cmp_lt_u32_e32 vcc_lo, 0x7f800000, v7
	s_delay_alu instid0(VALU_DEP_2)
	v_cndmask_b32_e32 v3, 0x7e, v3, vcc_lo
; %bb.697:
	s_or_b32 exec_lo, exec_lo, s24
	v_lshrrev_b32_e32 v2, 24, v2
	s_delay_alu instid0(VALU_DEP_1)
	v_and_or_b32 v2, 0x80, v2, v3
	global_store_b8 v[4:5], v2, off
.LBB150_698:
	s_mov_b32 s24, 0
.LBB150_699:
	s_delay_alu instid0(SALU_CYCLE_1)
	s_and_not1_b32 vcc_lo, exec_lo, s24
	s_cbranch_vccnz .LBB150_709
; %bb.700:
	s_delay_alu instid0(VALU_DEP_4) | instskip(SKIP_1) | instid1(VALU_DEP_1)
	v_cvt_f32_f64_e32 v2, v[0:1]
	s_mov_b32 s24, exec_lo
                                        ; implicit-def: $vgpr3
	v_and_b32_e32 v7, 0x7fffffff, v2
	s_delay_alu instid0(VALU_DEP_1)
	v_cmpx_gt_u32_e32 0x47800000, v7
	s_xor_b32 s24, exec_lo, s24
	s_cbranch_execz .LBB150_706
; %bb.701:
	s_mov_b32 s25, exec_lo
                                        ; implicit-def: $vgpr3
	v_cmpx_lt_u32_e32 0x387fffff, v7
	s_xor_b32 s25, exec_lo, s25
; %bb.702:
	v_bfe_u32 v3, v2, 21, 1
	s_delay_alu instid0(VALU_DEP_1) | instskip(NEXT) | instid1(VALU_DEP_1)
	v_add3_u32 v3, v2, v3, 0x80fffff
	v_lshrrev_b32_e32 v3, 21, v3
; %bb.703:
	s_and_not1_saveexec_b32 s25, s25
; %bb.704:
	v_add_f32_e64 v3, 0x43000000, |v2|
; %bb.705:
	s_or_b32 exec_lo, exec_lo, s25
                                        ; implicit-def: $vgpr7
.LBB150_706:
	s_and_not1_saveexec_b32 s24, s24
; %bb.707:
	v_mov_b32_e32 v3, 0x7f
	v_cmp_lt_u32_e32 vcc_lo, 0x7f800000, v7
	s_delay_alu instid0(VALU_DEP_2)
	v_cndmask_b32_e32 v3, 0x7c, v3, vcc_lo
; %bb.708:
	s_or_b32 exec_lo, exec_lo, s24
	v_lshrrev_b32_e32 v2, 24, v2
	s_delay_alu instid0(VALU_DEP_1)
	v_and_or_b32 v2, 0x80, v2, v3
	global_store_b8 v[4:5], v2, off
.LBB150_709:
	s_mov_b32 s25, 0
	s_mov_b32 s24, -1
.LBB150_710:
	s_and_not1_b32 vcc_lo, exec_lo, s25
	s_cbranch_vccnz .LBB150_718
; %bb.711:
	v_cmp_lt_i16_e32 vcc_lo, 14, v6
	s_mov_b32 s25, -1
	s_cbranch_vccz .LBB150_715
; %bb.712:
	v_cmp_eq_u16_e32 vcc_lo, 15, v6
	s_mov_b32 s0, -1
	s_cbranch_vccz .LBB150_714
; %bb.713:
	v_cvt_f32_f64_e32 v2, v[0:1]
	s_mov_b32 s24, -1
	s_mov_b32 s0, 0
	s_delay_alu instid0(VALU_DEP_1) | instskip(SKIP_1) | instid1(VALU_DEP_2)
	v_bfe_u32 v3, v2, 16, 1
	v_cmp_o_f32_e32 vcc_lo, v2, v2
	v_add3_u32 v3, v2, v3, 0x7fff
	s_delay_alu instid0(VALU_DEP_1) | instskip(NEXT) | instid1(VALU_DEP_1)
	v_lshrrev_b32_e32 v3, 16, v3
	v_cndmask_b32_e32 v2, 0x7fc0, v3, vcc_lo
	global_store_b16 v[4:5], v2, off
.LBB150_714:
	s_mov_b32 s25, 0
.LBB150_715:
	s_delay_alu instid0(SALU_CYCLE_1)
	s_and_b32 vcc_lo, exec_lo, s25
	s_cbranch_vccz .LBB150_718
; %bb.716:
	v_cmp_eq_u16_e32 vcc_lo, 11, v6
	s_mov_b32 s0, -1
	s_cbranch_vccz .LBB150_718
; %bb.717:
	v_cmp_neq_f64_e32 vcc_lo, 0, v[0:1]
	s_mov_b32 s24, -1
	s_mov_b32 s0, 0
	v_cndmask_b32_e64 v2, 0, 1, vcc_lo
	global_store_b8 v[4:5], v2, off
.LBB150_718:
	s_mov_b32 s25, 0
.LBB150_719:
	s_delay_alu instid0(SALU_CYCLE_1)
	s_and_b32 vcc_lo, exec_lo, s25
	s_cbranch_vccz .LBB150_758
; %bb.720:
	v_cmp_gt_i16_e32 vcc_lo, 5, v6
	s_mov_b32 s24, -1
	s_cbranch_vccnz .LBB150_741
; %bb.721:
	v_cmp_gt_i16_e32 vcc_lo, 8, v6
	s_cbranch_vccnz .LBB150_731
; %bb.722:
	v_cmp_gt_i16_e32 vcc_lo, 9, v6
	s_cbranch_vccnz .LBB150_728
; %bb.723:
	v_cmp_lt_i16_e32 vcc_lo, 9, v6
	s_cbranch_vccz .LBB150_725
; %bb.724:
	v_mov_b32_e32 v2, 0
	s_mov_b32 s24, 0
	s_delay_alu instid0(VALU_DEP_1)
	v_mov_b32_e32 v3, v2
	global_store_b128 v[4:5], v[0:3], off
.LBB150_725:
	s_and_not1_b32 vcc_lo, exec_lo, s24
	s_cbranch_vccnz .LBB150_727
; %bb.726:
	v_cvt_f32_f64_e32 v2, v[0:1]
	v_mov_b32_e32 v3, 0
	global_store_b64 v[4:5], v[2:3], off
.LBB150_727:
	s_mov_b32 s24, 0
.LBB150_728:
	s_delay_alu instid0(SALU_CYCLE_1)
	s_and_not1_b32 vcc_lo, exec_lo, s24
	s_cbranch_vccnz .LBB150_730
; %bb.729:
	s_delay_alu instid0(VALU_DEP_4) | instskip(NEXT) | instid1(VALU_DEP_1)
	v_cvt_f32_f64_e32 v2, v[0:1]
	v_cvt_f16_f32_e32 v2, v2
	s_delay_alu instid0(VALU_DEP_1)
	v_and_b32_e32 v2, 0xffff, v2
	global_store_b32 v[4:5], v2, off
.LBB150_730:
	s_mov_b32 s24, 0
.LBB150_731:
	s_delay_alu instid0(SALU_CYCLE_1)
	s_and_not1_b32 vcc_lo, exec_lo, s24
	s_cbranch_vccnz .LBB150_740
; %bb.732:
	v_cmp_gt_i16_e32 vcc_lo, 6, v6
	s_mov_b32 s24, -1
	s_cbranch_vccnz .LBB150_738
; %bb.733:
	v_cmp_lt_i16_e32 vcc_lo, 6, v6
	s_cbranch_vccz .LBB150_735
; %bb.734:
	s_mov_b32 s24, 0
	global_store_b64 v[4:5], v[0:1], off
.LBB150_735:
	s_and_not1_b32 vcc_lo, exec_lo, s24
	s_cbranch_vccnz .LBB150_737
; %bb.736:
	v_cvt_f32_f64_e32 v2, v[0:1]
	global_store_b32 v[4:5], v2, off
.LBB150_737:
	s_mov_b32 s24, 0
.LBB150_738:
	s_delay_alu instid0(SALU_CYCLE_1)
	s_and_not1_b32 vcc_lo, exec_lo, s24
	s_cbranch_vccnz .LBB150_740
; %bb.739:
	s_delay_alu instid0(VALU_DEP_4) | instskip(NEXT) | instid1(VALU_DEP_1)
	v_cvt_f32_f64_e32 v2, v[0:1]
	v_cvt_f16_f32_e32 v2, v2
	global_store_b16 v[4:5], v2, off
.LBB150_740:
	s_mov_b32 s24, 0
.LBB150_741:
	s_delay_alu instid0(SALU_CYCLE_1)
	s_and_not1_b32 vcc_lo, exec_lo, s24
	s_cbranch_vccnz .LBB150_757
; %bb.742:
	v_cmp_gt_i16_e32 vcc_lo, 2, v6
	s_mov_b32 s24, -1
	s_cbranch_vccnz .LBB150_752
; %bb.743:
	v_cmp_gt_i16_e32 vcc_lo, 3, v6
	s_cbranch_vccnz .LBB150_749
; %bb.744:
	v_cmp_lt_i16_e32 vcc_lo, 3, v6
	s_cbranch_vccz .LBB150_746
; %bb.745:
	v_trunc_f64_e32 v[2:3], v[0:1]
	s_mov_b32 s24, 0
	s_delay_alu instid0(VALU_DEP_1) | instskip(NEXT) | instid1(VALU_DEP_1)
	v_ldexp_f64 v[7:8], v[2:3], 0xffffffe0
	v_floor_f64_e32 v[7:8], v[7:8]
	s_delay_alu instid0(VALU_DEP_1) | instskip(SKIP_1) | instid1(VALU_DEP_2)
	v_fma_f64 v[2:3], 0xc1f00000, v[7:8], v[2:3]
	v_cvt_i32_f64_e32 v8, v[7:8]
	v_cvt_u32_f64_e32 v7, v[2:3]
	global_store_b64 v[4:5], v[7:8], off
.LBB150_746:
	s_and_not1_b32 vcc_lo, exec_lo, s24
	s_cbranch_vccnz .LBB150_748
; %bb.747:
	v_cvt_i32_f64_e32 v2, v[0:1]
	global_store_b32 v[4:5], v2, off
.LBB150_748:
	s_mov_b32 s24, 0
.LBB150_749:
	s_delay_alu instid0(SALU_CYCLE_1)
	s_and_not1_b32 vcc_lo, exec_lo, s24
	s_cbranch_vccnz .LBB150_751
; %bb.750:
	s_delay_alu instid0(VALU_DEP_4)
	v_cvt_i32_f64_e32 v2, v[0:1]
	global_store_b16 v[4:5], v2, off
.LBB150_751:
	s_mov_b32 s24, 0
.LBB150_752:
	s_delay_alu instid0(SALU_CYCLE_1)
	s_and_not1_b32 vcc_lo, exec_lo, s24
	s_cbranch_vccnz .LBB150_757
; %bb.753:
	v_cmp_lt_i16_e32 vcc_lo, 0, v6
	s_mov_b32 s24, -1
	s_cbranch_vccz .LBB150_755
; %bb.754:
	s_delay_alu instid0(VALU_DEP_4)
	v_cvt_i32_f64_e32 v2, v[0:1]
	s_mov_b32 s24, 0
	global_store_b8 v[4:5], v2, off
.LBB150_755:
	s_and_not1_b32 vcc_lo, exec_lo, s24
	s_cbranch_vccnz .LBB150_757
; %bb.756:
	s_delay_alu instid0(VALU_DEP_4) | instskip(NEXT) | instid1(VALU_DEP_1)
	v_trunc_f64_e32 v[0:1], v[0:1]
	v_ldexp_f64 v[2:3], v[0:1], 0xffffffe0
	s_delay_alu instid0(VALU_DEP_1) | instskip(NEXT) | instid1(VALU_DEP_1)
	v_floor_f64_e32 v[2:3], v[2:3]
	v_fma_f64 v[0:1], 0xc1f00000, v[2:3], v[0:1]
	s_delay_alu instid0(VALU_DEP_1)
	v_cvt_u32_f64_e32 v0, v[0:1]
	global_store_b8 v[4:5], v0, off
.LBB150_757:
	s_mov_b32 s24, -1
.LBB150_758:
	s_delay_alu instid0(SALU_CYCLE_1)
	s_and_not1_b32 vcc_lo, exec_lo, s24
	s_cbranch_vccnz .LBB150_760
; %bb.759:
	v_add_nc_u32_e32 v16, 0x80, v16
	s_mov_b32 s27, -1
	s_branch .LBB150_762
.LBB150_760:
	s_mov_b32 s27, 0
.LBB150_761:
                                        ; implicit-def: $vgpr16
.LBB150_762:
	s_and_not1_b32 s24, s18, exec_lo
	s_and_b32 s0, s0, exec_lo
	s_and_b32 s1, s1, exec_lo
	s_or_b32 s24, s24, s0
	s_and_not1_b32 s0, s20, exec_lo
	s_and_not1_b32 s28, s21, exec_lo
	s_and_b32 s23, s23, exec_lo
	s_or_b32 s25, s0, s1
	s_or_b32 s23, s28, s23
	s_or_not1_b32 s28, s27, exec_lo
.LBB150_763:
	s_or_b32 exec_lo, exec_lo, s26
	s_mov_b32 s1, 0
	s_mov_b32 s27, 0
	;; [unrolled: 1-line block ×3, first 2 shown]
                                        ; implicit-def: $vgpr4
                                        ; implicit-def: $vgpr0_vgpr1
                                        ; implicit-def: $vgpr2_vgpr3
	s_and_saveexec_b32 s26, s28
	s_cbranch_execz .LBB150_1234
; %bb.764:
	s_mov_b32 s33, -1
	s_mov_b32 s28, s23
	s_mov_b32 s30, s25
	;; [unrolled: 1-line block ×3, first 2 shown]
	s_mov_b32 s27, exec_lo
	v_cmpx_gt_i32_e64 s19, v16
	s_cbranch_execz .LBB150_1150
; %bb.765:
	s_waitcnt vmcnt(0)
	v_mul_lo_u32 v0, v16, s9
	v_and_b32_e64 v4, 0xff, s16
	s_delay_alu instid0(VALU_DEP_1) | instskip(NEXT) | instid1(VALU_DEP_3)
	v_cmp_gt_i16_e32 vcc_lo, 11, v4
	v_ashrrev_i32_e32 v1, 31, v0
	v_add_co_u32 v2, s0, s6, v0
	s_delay_alu instid0(VALU_DEP_1)
	v_add_co_ci_u32_e64 v3, s0, s7, v1, s0
	s_cbranch_vccnz .LBB150_772
; %bb.766:
	v_cmp_lt_i16_e32 vcc_lo, 25, v4
	s_cbranch_vccz .LBB150_773
; %bb.767:
	v_cmp_lt_i16_e32 vcc_lo, 28, v4
	s_cbranch_vccz .LBB150_774
	;; [unrolled: 3-line block ×4, first 2 shown]
; %bb.770:
	v_cmp_eq_u16_e32 vcc_lo, 46, v4
	s_cbranch_vccz .LBB150_779
; %bb.771:
	global_load_b32 v0, v[2:3], off
	s_mov_b32 s0, -1
	s_mov_b32 s28, 0
	s_waitcnt vmcnt(0)
	v_lshlrev_b32_e32 v0, 16, v0
	s_delay_alu instid0(VALU_DEP_1)
	v_cvt_f64_f32_e32 v[0:1], v0
	s_branch .LBB150_781
.LBB150_772:
	s_mov_b32 s1, -1
	s_mov_b32 s0, 0
	s_mov_b32 s28, s23
                                        ; implicit-def: $vgpr0_vgpr1
	s_branch .LBB150_846
.LBB150_773:
	s_mov_b32 s1, -1
	s_mov_b32 s0, 0
	s_mov_b32 s28, s23
                                        ; implicit-def: $vgpr0_vgpr1
	s_branch .LBB150_812
.LBB150_774:
	s_mov_b32 s1, -1
	s_mov_b32 s0, 0
	s_mov_b32 s28, s23
                                        ; implicit-def: $vgpr0_vgpr1
	s_branch .LBB150_791
.LBB150_775:
	s_mov_b32 s1, -1
	s_mov_b32 s0, 0
	s_mov_b32 s28, s23
                                        ; implicit-def: $vgpr0_vgpr1
	s_branch .LBB150_786
.LBB150_776:
	s_mov_b32 s1, -1
	s_mov_b32 s0, 0
	s_mov_b32 s28, s23
	s_branch .LBB150_780
.LBB150_777:
	s_or_saveexec_b32 s27, s27
                                        ; implicit-def: $sgpr28
	s_delay_alu instid0(SALU_CYCLE_1)
	s_xor_b32 exec_lo, exec_lo, s27
	s_cbranch_execz .LBB150_671
.LBB150_778:
	v_add_f32_e64 v3, 0x46000000, |v2|
	s_and_not1_b32 s25, s25, exec_lo
	s_mov_b32 s28, 0
	s_delay_alu instid0(VALU_DEP_1) | instskip(NEXT) | instid1(VALU_DEP_1)
	v_and_b32_e32 v3, 0xff, v3
	v_cmp_ne_u32_e32 vcc_lo, 0, v3
	s_and_b32 s29, vcc_lo, exec_lo
	s_delay_alu instid0(SALU_CYCLE_1)
	s_or_b32 s25, s25, s29
	s_or_b32 exec_lo, exec_lo, s27
	v_mov_b32_e32 v7, s28
	s_and_saveexec_b32 s27, s25
	s_cbranch_execnz .LBB150_672
	s_branch .LBB150_673
.LBB150_779:
	s_mov_b32 s28, -1
	s_mov_b32 s0, 0
.LBB150_780:
                                        ; implicit-def: $vgpr0_vgpr1
.LBB150_781:
	s_and_b32 vcc_lo, exec_lo, s1
	s_cbranch_vccz .LBB150_785
; %bb.782:
	v_cmp_eq_u16_e32 vcc_lo, 44, v4
	s_cbranch_vccz .LBB150_784
; %bb.783:
	global_load_u8 v5, v[2:3], off
	s_mov_b32 s28, 0
	s_mov_b32 s0, -1
	s_waitcnt vmcnt(0)
	v_lshlrev_b32_e32 v0, 23, v5
	v_cmp_ne_u32_e32 vcc_lo, 0xff, v5
	s_delay_alu instid0(VALU_DEP_2) | instskip(NEXT) | instid1(VALU_DEP_1)
	v_cvt_f64_f32_e32 v[0:1], v0
	v_cndmask_b32_e32 v0, 0x20000000, v0, vcc_lo
	s_delay_alu instid0(VALU_DEP_2) | instskip(SKIP_1) | instid1(VALU_DEP_2)
	v_cndmask_b32_e32 v1, 0x7ff80000, v1, vcc_lo
	v_cmp_ne_u32_e32 vcc_lo, 0, v5
	v_cndmask_b32_e32 v1, 0x38000000, v1, vcc_lo
	s_delay_alu instid0(VALU_DEP_4)
	v_cndmask_b32_e32 v0, 0, v0, vcc_lo
	s_branch .LBB150_785
.LBB150_784:
	s_mov_b32 s28, -1
                                        ; implicit-def: $vgpr0_vgpr1
.LBB150_785:
	s_mov_b32 s1, 0
.LBB150_786:
	s_delay_alu instid0(SALU_CYCLE_1)
	s_and_b32 vcc_lo, exec_lo, s1
	s_cbranch_vccz .LBB150_790
; %bb.787:
	v_cmp_eq_u16_e32 vcc_lo, 29, v4
	s_cbranch_vccz .LBB150_789
; %bb.788:
	global_load_b64 v[0:1], v[2:3], off
	s_mov_b32 s0, -1
	s_mov_b32 s28, 0
	s_mov_b32 s1, 0
	s_waitcnt vmcnt(0)
	v_cvt_f64_u32_e32 v[5:6], v1
	v_cvt_f64_u32_e32 v[0:1], v0
	s_delay_alu instid0(VALU_DEP_2) | instskip(NEXT) | instid1(VALU_DEP_1)
	v_ldexp_f64 v[5:6], v[5:6], 32
	v_add_f64 v[0:1], v[5:6], v[0:1]
	s_branch .LBB150_791
.LBB150_789:
	s_mov_b32 s28, -1
                                        ; implicit-def: $vgpr0_vgpr1
.LBB150_790:
	s_mov_b32 s1, 0
.LBB150_791:
	s_delay_alu instid0(SALU_CYCLE_1)
	s_and_b32 vcc_lo, exec_lo, s1
	s_cbranch_vccz .LBB150_811
; %bb.792:
	v_cmp_gt_i16_e32 vcc_lo, 27, v4
	s_cbranch_vccnz .LBB150_795
; %bb.793:
	v_cmp_lt_i16_e32 vcc_lo, 27, v4
	s_cbranch_vccz .LBB150_796
; %bb.794:
	global_load_b32 v0, v[2:3], off
	s_mov_b32 s0, 0
	s_waitcnt vmcnt(0)
	v_cvt_f64_u32_e32 v[0:1], v0
	s_branch .LBB150_797
.LBB150_795:
	s_mov_b32 s0, -1
                                        ; implicit-def: $vgpr0_vgpr1
	s_branch .LBB150_800
.LBB150_796:
	s_mov_b32 s0, -1
                                        ; implicit-def: $vgpr0_vgpr1
.LBB150_797:
	s_delay_alu instid0(SALU_CYCLE_1)
	s_and_not1_b32 vcc_lo, exec_lo, s0
	s_cbranch_vccnz .LBB150_799
; %bb.798:
	global_load_u16 v0, v[2:3], off
	s_waitcnt vmcnt(0)
	v_cvt_f64_u32_e32 v[0:1], v0
.LBB150_799:
	s_mov_b32 s0, 0
.LBB150_800:
	s_delay_alu instid0(SALU_CYCLE_1)
	s_and_not1_b32 vcc_lo, exec_lo, s0
	s_cbranch_vccnz .LBB150_810
; %bb.801:
	global_load_u8 v5, v[2:3], off
	s_mov_b32 s29, 0
	s_mov_b32 s30, exec_lo
                                        ; implicit-def: $sgpr0_sgpr1
	s_waitcnt vmcnt(0)
	v_cmpx_lt_i16_e32 0x7f, v5
	s_xor_b32 s30, exec_lo, s30
	s_cbranch_execz .LBB150_805
; %bb.802:
	s_mov_b32 s31, -1
	s_mov_b32 s29, exec_lo
                                        ; implicit-def: $sgpr0_sgpr1
	v_cmpx_eq_u16_e32 0x80, v5
; %bb.803:
	s_mov_b32 s1, 0x7ff80000
	s_brev_b32 s0, 4
	s_xor_b32 s31, exec_lo, -1
; %bb.804:
	s_or_b32 exec_lo, exec_lo, s29
	s_delay_alu instid0(SALU_CYCLE_1)
	s_and_b32 s29, s31, exec_lo
.LBB150_805:
	s_or_saveexec_b32 s30, s30
	v_dual_mov_b32 v0, s0 :: v_dual_mov_b32 v1, s1
	s_xor_b32 exec_lo, exec_lo, s30
; %bb.806:
	v_cmp_ne_u16_e32 vcc_lo, 0, v5
	v_mov_b32_e32 v0, 0
	v_mov_b32_e32 v1, 0
	s_and_not1_b32 s0, s29, exec_lo
	s_and_b32 s1, vcc_lo, exec_lo
	s_delay_alu instid0(SALU_CYCLE_1)
	s_or_b32 s29, s0, s1
; %bb.807:
	s_or_b32 exec_lo, exec_lo, s30
	s_and_saveexec_b32 s0, s29
	s_cbranch_execz .LBB150_809
; %bb.808:
	v_and_b32_e32 v0, 0xffff, v5
	v_lshlrev_b32_e32 v5, 24, v5
	s_delay_alu instid0(VALU_DEP_2) | instskip(NEXT) | instid1(VALU_DEP_2)
	v_and_b32_e32 v1, 7, v0
	v_and_b32_e32 v5, 0x80000000, v5
	s_delay_alu instid0(VALU_DEP_2) | instskip(NEXT) | instid1(VALU_DEP_1)
	v_clz_i32_u32_e32 v6, v1
	v_min_u32_e32 v6, 32, v6
	s_delay_alu instid0(VALU_DEP_1) | instskip(SKIP_1) | instid1(VALU_DEP_2)
	v_subrev_nc_u32_e32 v7, 28, v6
	v_sub_nc_u32_e32 v6, 29, v6
	v_lshlrev_b32_e32 v7, v7, v0
	v_bfe_u32 v0, v0, 3, 4
	s_delay_alu instid0(VALU_DEP_2) | instskip(NEXT) | instid1(VALU_DEP_2)
	v_and_b32_e32 v7, 7, v7
	v_cmp_eq_u32_e32 vcc_lo, 0, v0
	s_delay_alu instid0(VALU_DEP_2) | instskip(NEXT) | instid1(VALU_DEP_1)
	v_dual_cndmask_b32 v0, v0, v6 :: v_dual_cndmask_b32 v1, v1, v7
	v_lshl_add_u32 v0, v0, 23, 0x3b800000
	s_delay_alu instid0(VALU_DEP_2) | instskip(NEXT) | instid1(VALU_DEP_1)
	v_lshlrev_b32_e32 v1, 20, v1
	v_or3_b32 v0, v5, v0, v1
	s_delay_alu instid0(VALU_DEP_1)
	v_cvt_f64_f32_e32 v[0:1], v0
.LBB150_809:
	s_or_b32 exec_lo, exec_lo, s0
.LBB150_810:
	s_mov_b32 s0, -1
.LBB150_811:
	s_mov_b32 s1, 0
.LBB150_812:
	s_delay_alu instid0(SALU_CYCLE_1)
	s_and_b32 vcc_lo, exec_lo, s1
	s_cbranch_vccz .LBB150_845
; %bb.813:
	v_cmp_lt_i16_e32 vcc_lo, 22, v4
	s_cbranch_vccz .LBB150_825
; %bb.814:
	v_cmp_gt_i16_e32 vcc_lo, 24, v4
	s_cbranch_vccnz .LBB150_826
; %bb.815:
	v_cmp_lt_i16_e32 vcc_lo, 24, v4
	s_cbranch_vccz .LBB150_827
; %bb.816:
	global_load_u8 v5, v[2:3], off
	s_mov_b32 s29, 0
	s_mov_b32 s30, exec_lo
                                        ; implicit-def: $sgpr0_sgpr1
	s_waitcnt vmcnt(0)
	v_cmpx_lt_i16_e32 0x7f, v5
	s_xor_b32 s30, exec_lo, s30
	s_cbranch_execz .LBB150_820
; %bb.817:
	s_mov_b32 s31, -1
	s_mov_b32 s29, exec_lo
                                        ; implicit-def: $sgpr0_sgpr1
	v_cmpx_eq_u16_e32 0x80, v5
; %bb.818:
	s_mov_b32 s1, 0x7ff80000
	s_brev_b32 s0, 4
	s_xor_b32 s31, exec_lo, -1
; %bb.819:
	s_or_b32 exec_lo, exec_lo, s29
	s_delay_alu instid0(SALU_CYCLE_1)
	s_and_b32 s29, s31, exec_lo
.LBB150_820:
	s_or_saveexec_b32 s30, s30
	v_dual_mov_b32 v0, s0 :: v_dual_mov_b32 v1, s1
	s_xor_b32 exec_lo, exec_lo, s30
; %bb.821:
	v_cmp_ne_u16_e32 vcc_lo, 0, v5
	v_mov_b32_e32 v0, 0
	v_mov_b32_e32 v1, 0
	s_and_not1_b32 s0, s29, exec_lo
	s_and_b32 s1, vcc_lo, exec_lo
	s_delay_alu instid0(SALU_CYCLE_1)
	s_or_b32 s29, s0, s1
; %bb.822:
	s_or_b32 exec_lo, exec_lo, s30
	s_and_saveexec_b32 s0, s29
	s_cbranch_execz .LBB150_824
; %bb.823:
	v_and_b32_e32 v0, 0xffff, v5
	v_lshlrev_b32_e32 v5, 24, v5
	s_delay_alu instid0(VALU_DEP_2) | instskip(NEXT) | instid1(VALU_DEP_2)
	v_and_b32_e32 v1, 3, v0
	v_and_b32_e32 v5, 0x80000000, v5
	s_delay_alu instid0(VALU_DEP_2) | instskip(NEXT) | instid1(VALU_DEP_1)
	v_clz_i32_u32_e32 v6, v1
	v_min_u32_e32 v6, 32, v6
	s_delay_alu instid0(VALU_DEP_1) | instskip(SKIP_1) | instid1(VALU_DEP_2)
	v_subrev_nc_u32_e32 v7, 29, v6
	v_sub_nc_u32_e32 v6, 30, v6
	v_lshlrev_b32_e32 v7, v7, v0
	v_bfe_u32 v0, v0, 2, 5
	s_delay_alu instid0(VALU_DEP_2) | instskip(NEXT) | instid1(VALU_DEP_2)
	v_and_b32_e32 v7, 3, v7
	v_cmp_eq_u32_e32 vcc_lo, 0, v0
	s_delay_alu instid0(VALU_DEP_2) | instskip(NEXT) | instid1(VALU_DEP_1)
	v_dual_cndmask_b32 v0, v0, v6 :: v_dual_cndmask_b32 v1, v1, v7
	v_lshl_add_u32 v0, v0, 23, 0x37800000
	s_delay_alu instid0(VALU_DEP_2) | instskip(NEXT) | instid1(VALU_DEP_1)
	v_lshlrev_b32_e32 v1, 21, v1
	v_or3_b32 v0, v5, v0, v1
	s_delay_alu instid0(VALU_DEP_1)
	v_cvt_f64_f32_e32 v[0:1], v0
.LBB150_824:
	s_or_b32 exec_lo, exec_lo, s0
	s_mov_b32 s0, 0
	s_branch .LBB150_828
.LBB150_825:
	s_mov_b32 s1, -1
                                        ; implicit-def: $vgpr0_vgpr1
	s_branch .LBB150_834
.LBB150_826:
	s_mov_b32 s0, -1
                                        ; implicit-def: $vgpr0_vgpr1
	s_branch .LBB150_831
.LBB150_827:
	s_mov_b32 s0, -1
                                        ; implicit-def: $vgpr0_vgpr1
.LBB150_828:
	s_delay_alu instid0(SALU_CYCLE_1)
	s_and_b32 vcc_lo, exec_lo, s0
	s_cbranch_vccz .LBB150_830
; %bb.829:
	global_load_u8 v0, v[2:3], off
	s_waitcnt vmcnt(0)
	v_lshlrev_b32_e32 v0, 24, v0
	s_delay_alu instid0(VALU_DEP_1) | instskip(NEXT) | instid1(VALU_DEP_1)
	v_and_b32_e32 v1, 0x7f000000, v0
	v_clz_i32_u32_e32 v5, v1
	v_add_nc_u32_e32 v7, 0x1000000, v1
	v_cmp_ne_u32_e32 vcc_lo, 0, v1
	s_delay_alu instid0(VALU_DEP_3) | instskip(NEXT) | instid1(VALU_DEP_1)
	v_min_u32_e32 v5, 32, v5
	v_sub_nc_u32_e64 v5, v5, 4 clamp
	s_delay_alu instid0(VALU_DEP_1) | instskip(SKIP_1) | instid1(VALU_DEP_2)
	v_lshlrev_b32_e32 v6, v5, v1
	v_lshlrev_b32_e32 v5, 23, v5
	v_lshrrev_b32_e32 v6, 4, v6
	s_delay_alu instid0(VALU_DEP_1) | instskip(SKIP_1) | instid1(VALU_DEP_2)
	v_sub_nc_u32_e32 v5, v6, v5
	v_ashrrev_i32_e32 v6, 8, v7
	v_add_nc_u32_e32 v5, 0x3c000000, v5
	s_delay_alu instid0(VALU_DEP_1) | instskip(NEXT) | instid1(VALU_DEP_1)
	v_and_or_b32 v5, 0x7f800000, v6, v5
	v_cndmask_b32_e32 v1, 0, v5, vcc_lo
	s_delay_alu instid0(VALU_DEP_1) | instskip(NEXT) | instid1(VALU_DEP_1)
	v_and_or_b32 v0, 0x80000000, v0, v1
	v_cvt_f64_f32_e32 v[0:1], v0
.LBB150_830:
	s_mov_b32 s0, 0
.LBB150_831:
	s_delay_alu instid0(SALU_CYCLE_1)
	s_and_not1_b32 vcc_lo, exec_lo, s0
	s_cbranch_vccnz .LBB150_833
; %bb.832:
	global_load_u8 v0, v[2:3], off
	s_waitcnt vmcnt(0)
	v_lshlrev_b32_e32 v1, 25, v0
	v_lshlrev_b16 v0, 8, v0
	s_delay_alu instid0(VALU_DEP_1) | instskip(SKIP_1) | instid1(VALU_DEP_2)
	v_and_or_b32 v6, 0x7f00, v0, 0.5
	v_bfe_i32 v0, v0, 0, 16
	v_add_f32_e32 v6, -0.5, v6
	v_lshrrev_b32_e32 v5, 4, v1
	v_cmp_gt_u32_e32 vcc_lo, 0x8000000, v1
	s_delay_alu instid0(VALU_DEP_2) | instskip(NEXT) | instid1(VALU_DEP_1)
	v_or_b32_e32 v5, 0x70000000, v5
	v_mul_f32_e32 v5, 0x7800000, v5
	s_delay_alu instid0(VALU_DEP_1) | instskip(NEXT) | instid1(VALU_DEP_1)
	v_cndmask_b32_e32 v1, v5, v6, vcc_lo
	v_and_or_b32 v0, 0x80000000, v0, v1
	s_delay_alu instid0(VALU_DEP_1)
	v_cvt_f64_f32_e32 v[0:1], v0
.LBB150_833:
	s_mov_b32 s1, 0
	s_mov_b32 s0, -1
.LBB150_834:
	s_and_not1_b32 vcc_lo, exec_lo, s1
	s_cbranch_vccnz .LBB150_845
; %bb.835:
	v_cmp_lt_i16_e32 vcc_lo, 14, v4
	s_cbranch_vccz .LBB150_838
; %bb.836:
	v_cmp_eq_u16_e32 vcc_lo, 15, v4
	s_cbranch_vccz .LBB150_839
; %bb.837:
	global_load_u16 v0, v[2:3], off
	s_mov_b32 s0, -1
	s_mov_b32 s28, 0
	s_waitcnt vmcnt(0)
	v_lshlrev_b32_e32 v0, 16, v0
	s_delay_alu instid0(VALU_DEP_1)
	v_cvt_f64_f32_e32 v[0:1], v0
	s_branch .LBB150_840
.LBB150_838:
	s_mov_b32 s1, -1
                                        ; implicit-def: $vgpr0_vgpr1
	s_branch .LBB150_841
.LBB150_839:
	s_mov_b32 s28, -1
                                        ; implicit-def: $vgpr0_vgpr1
.LBB150_840:
	s_mov_b32 s1, 0
.LBB150_841:
	s_delay_alu instid0(SALU_CYCLE_1)
	s_and_b32 vcc_lo, exec_lo, s1
	s_cbranch_vccz .LBB150_845
; %bb.842:
	v_cmp_eq_u16_e32 vcc_lo, 11, v4
	s_cbranch_vccz .LBB150_844
; %bb.843:
	global_load_u8 v0, v[2:3], off
	s_mov_b32 s28, 0
	s_mov_b32 s0, -1
	s_waitcnt vmcnt(0)
	v_cmp_ne_u16_e32 vcc_lo, 0, v0
	v_mov_b32_e32 v0, 0
	v_cndmask_b32_e64 v1, 0, 0x3ff00000, vcc_lo
	s_branch .LBB150_845
.LBB150_844:
	s_mov_b32 s28, -1
                                        ; implicit-def: $vgpr0_vgpr1
.LBB150_845:
	s_mov_b32 s1, 0
.LBB150_846:
	s_delay_alu instid0(SALU_CYCLE_1)
	s_and_b32 vcc_lo, exec_lo, s1
	s_cbranch_vccz .LBB150_895
; %bb.847:
	v_cmp_gt_i16_e32 vcc_lo, 5, v4
	s_cbranch_vccnz .LBB150_852
; %bb.848:
	v_cmp_gt_i16_e32 vcc_lo, 8, v4
	s_cbranch_vccnz .LBB150_853
	;; [unrolled: 3-line block ×3, first 2 shown]
; %bb.850:
	v_cmp_lt_i16_e32 vcc_lo, 9, v4
	s_cbranch_vccz .LBB150_855
; %bb.851:
	global_load_b64 v[0:1], v[2:3], off
	s_mov_b32 s0, 0
	s_branch .LBB150_856
.LBB150_852:
	s_mov_b32 s0, -1
                                        ; implicit-def: $vgpr0_vgpr1
	s_branch .LBB150_874
.LBB150_853:
	s_mov_b32 s0, -1
                                        ; implicit-def: $vgpr0_vgpr1
	s_branch .LBB150_862
.LBB150_854:
	s_mov_b32 s0, -1
                                        ; implicit-def: $vgpr0_vgpr1
	s_branch .LBB150_859
.LBB150_855:
	s_mov_b32 s0, -1
                                        ; implicit-def: $vgpr0_vgpr1
.LBB150_856:
	s_delay_alu instid0(SALU_CYCLE_1)
	s_and_not1_b32 vcc_lo, exec_lo, s0
	s_cbranch_vccnz .LBB150_858
; %bb.857:
	global_load_b32 v0, v[2:3], off
	s_waitcnt vmcnt(0)
	v_cvt_f64_f32_e32 v[0:1], v0
.LBB150_858:
	s_mov_b32 s0, 0
.LBB150_859:
	s_delay_alu instid0(SALU_CYCLE_1)
	s_and_not1_b32 vcc_lo, exec_lo, s0
	s_cbranch_vccnz .LBB150_861
; %bb.860:
	global_load_b32 v0, v[2:3], off
	s_waitcnt vmcnt(0)
	v_cvt_f32_f16_e32 v0, v0
	s_delay_alu instid0(VALU_DEP_1)
	v_cvt_f64_f32_e32 v[0:1], v0
.LBB150_861:
	s_mov_b32 s0, 0
.LBB150_862:
	s_delay_alu instid0(SALU_CYCLE_1)
	s_and_not1_b32 vcc_lo, exec_lo, s0
	s_cbranch_vccnz .LBB150_873
; %bb.863:
	v_cmp_gt_i16_e32 vcc_lo, 6, v4
	s_cbranch_vccnz .LBB150_866
; %bb.864:
	v_cmp_lt_i16_e32 vcc_lo, 6, v4
	s_cbranch_vccz .LBB150_867
; %bb.865:
	global_load_b64 v[0:1], v[2:3], off
	s_mov_b32 s0, 0
	s_branch .LBB150_868
.LBB150_866:
	s_mov_b32 s0, -1
                                        ; implicit-def: $vgpr0_vgpr1
	s_branch .LBB150_871
.LBB150_867:
	s_mov_b32 s0, -1
                                        ; implicit-def: $vgpr0_vgpr1
.LBB150_868:
	s_delay_alu instid0(SALU_CYCLE_1)
	s_and_not1_b32 vcc_lo, exec_lo, s0
	s_cbranch_vccnz .LBB150_870
; %bb.869:
	global_load_b32 v0, v[2:3], off
	s_waitcnt vmcnt(0)
	v_cvt_f64_f32_e32 v[0:1], v0
.LBB150_870:
	s_mov_b32 s0, 0
.LBB150_871:
	s_delay_alu instid0(SALU_CYCLE_1)
	s_and_not1_b32 vcc_lo, exec_lo, s0
	s_cbranch_vccnz .LBB150_873
; %bb.872:
	global_load_u16 v0, v[2:3], off
	s_waitcnt vmcnt(0)
	v_cvt_f32_f16_e32 v0, v0
	s_delay_alu instid0(VALU_DEP_1)
	v_cvt_f64_f32_e32 v[0:1], v0
.LBB150_873:
	s_mov_b32 s0, 0
.LBB150_874:
	s_delay_alu instid0(SALU_CYCLE_1)
	s_and_not1_b32 vcc_lo, exec_lo, s0
	s_cbranch_vccnz .LBB150_894
; %bb.875:
	v_cmp_gt_i16_e32 vcc_lo, 2, v4
	s_cbranch_vccnz .LBB150_879
; %bb.876:
	v_cmp_gt_i16_e32 vcc_lo, 3, v4
	s_cbranch_vccnz .LBB150_880
; %bb.877:
	v_cmp_lt_i16_e32 vcc_lo, 3, v4
	s_cbranch_vccz .LBB150_881
; %bb.878:
	global_load_b64 v[0:1], v[2:3], off
	s_mov_b32 s0, 0
	s_waitcnt vmcnt(0)
	v_cvt_f64_i32_e32 v[5:6], v1
	v_cvt_f64_u32_e32 v[0:1], v0
	s_delay_alu instid0(VALU_DEP_2) | instskip(NEXT) | instid1(VALU_DEP_1)
	v_ldexp_f64 v[5:6], v[5:6], 32
	v_add_f64 v[0:1], v[5:6], v[0:1]
	s_branch .LBB150_882
.LBB150_879:
	s_mov_b32 s0, -1
                                        ; implicit-def: $vgpr0_vgpr1
	s_branch .LBB150_888
.LBB150_880:
	s_mov_b32 s0, -1
                                        ; implicit-def: $vgpr0_vgpr1
	s_branch .LBB150_885
.LBB150_881:
	s_mov_b32 s0, -1
                                        ; implicit-def: $vgpr0_vgpr1
.LBB150_882:
	s_delay_alu instid0(SALU_CYCLE_1)
	s_and_not1_b32 vcc_lo, exec_lo, s0
	s_cbranch_vccnz .LBB150_884
; %bb.883:
	global_load_b32 v0, v[2:3], off
	s_waitcnt vmcnt(0)
	v_cvt_f64_i32_e32 v[0:1], v0
.LBB150_884:
	s_mov_b32 s0, 0
.LBB150_885:
	s_delay_alu instid0(SALU_CYCLE_1)
	s_and_not1_b32 vcc_lo, exec_lo, s0
	s_cbranch_vccnz .LBB150_887
; %bb.886:
	global_load_i16 v0, v[2:3], off
	s_waitcnt vmcnt(0)
	v_cvt_f64_i32_e32 v[0:1], v0
.LBB150_887:
	s_mov_b32 s0, 0
.LBB150_888:
	s_delay_alu instid0(SALU_CYCLE_1)
	s_and_not1_b32 vcc_lo, exec_lo, s0
	s_cbranch_vccnz .LBB150_894
; %bb.889:
	v_cmp_lt_i16_e32 vcc_lo, 0, v4
	s_mov_b32 s0, 0
	s_cbranch_vccz .LBB150_891
; %bb.890:
	global_load_i8 v0, v[2:3], off
	s_waitcnt vmcnt(0)
	v_cvt_f64_i32_e32 v[0:1], v0
	s_branch .LBB150_892
.LBB150_891:
	s_mov_b32 s0, -1
                                        ; implicit-def: $vgpr0_vgpr1
.LBB150_892:
	s_delay_alu instid0(SALU_CYCLE_1)
	s_and_not1_b32 vcc_lo, exec_lo, s0
	s_cbranch_vccnz .LBB150_894
; %bb.893:
	global_load_u8 v0, v[2:3], off
	s_waitcnt vmcnt(0)
	v_cvt_f64_u32_e32 v[0:1], v0
.LBB150_894:
	s_mov_b32 s0, -1
.LBB150_895:
	s_delay_alu instid0(SALU_CYCLE_1)
	s_and_not1_b32 vcc_lo, exec_lo, s0
	s_cbranch_vccnz .LBB150_903
; %bb.896:
	v_mul_lo_u32 v2, v16, s10
	v_and_b32_e64 v6, 0xff, s11
	s_delay_alu instid0(VALU_DEP_1) | instskip(NEXT) | instid1(VALU_DEP_3)
	v_cmp_gt_i16_e32 vcc_lo, 11, v6
	v_ashrrev_i32_e32 v3, 31, v2
	v_add_co_u32 v2, s0, s12, v2
	s_delay_alu instid0(VALU_DEP_1)
	v_add_co_ci_u32_e64 v3, s0, s13, v3, s0
	s_cbranch_vccnz .LBB150_904
; %bb.897:
	v_cmp_lt_i16_e32 vcc_lo, 25, v6
	s_cbranch_vccz .LBB150_905
; %bb.898:
	v_cmp_lt_i16_e32 vcc_lo, 28, v6
	s_cbranch_vccz .LBB150_906
	;; [unrolled: 3-line block ×4, first 2 shown]
; %bb.901:
	v_cmp_eq_u16_e32 vcc_lo, 46, v6
	s_mov_b32 s29, 0
	s_cbranch_vccz .LBB150_911
; %bb.902:
	global_load_b32 v4, v[2:3], off
	s_mov_b32 s0, -1
	s_mov_b32 s1, 0
	s_waitcnt vmcnt(0)
	v_lshlrev_b32_e32 v4, 16, v4
	s_delay_alu instid0(VALU_DEP_1) | instskip(NEXT) | instid1(VALU_DEP_1)
	v_trunc_f32_e32 v4, v4
	v_mul_f32_e64 v5, 0x2f800000, |v4|
	s_delay_alu instid0(VALU_DEP_1) | instskip(NEXT) | instid1(VALU_DEP_1)
	v_floor_f32_e32 v5, v5
	v_fma_f32 v5, 0xcf800000, v5, |v4|
	v_ashrrev_i32_e32 v4, 31, v4
	s_delay_alu instid0(VALU_DEP_2) | instskip(NEXT) | instid1(VALU_DEP_1)
	v_cvt_u32_f32_e32 v5, v5
	v_xor_b32_e32 v5, v5, v4
	s_delay_alu instid0(VALU_DEP_1)
	v_sub_nc_u32_e32 v4, v5, v4
	s_branch .LBB150_913
.LBB150_903:
	s_mov_b32 s31, 0
	s_mov_b32 s0, s24
	;; [unrolled: 1-line block ×3, first 2 shown]
	s_branch .LBB150_1148
.LBB150_904:
	s_mov_b32 s29, -1
	s_mov_b32 s0, 0
	s_mov_b32 s1, s25
                                        ; implicit-def: $vgpr4
	s_branch .LBB150_974
.LBB150_905:
	s_mov_b32 s29, -1
	s_mov_b32 s0, 0
	s_mov_b32 s1, s25
                                        ; implicit-def: $vgpr4
	s_branch .LBB150_940
.LBB150_906:
	s_mov_b32 s29, -1
	s_mov_b32 s0, 0
	s_mov_b32 s1, s25
                                        ; implicit-def: $vgpr4
	s_branch .LBB150_923
.LBB150_907:
	s_mov_b32 s29, -1
	s_mov_b32 s0, 0
	s_mov_b32 s1, s25
                                        ; implicit-def: $vgpr4
	s_branch .LBB150_918
.LBB150_908:
	s_mov_b32 s29, -1
	s_mov_b32 s0, 0
	s_mov_b32 s1, s25
	s_branch .LBB150_912
.LBB150_909:
	s_or_saveexec_b32 s27, s27
                                        ; implicit-def: $sgpr28
	s_delay_alu instid0(SALU_CYCLE_1)
	s_xor_b32 exec_lo, exec_lo, s27
	s_cbranch_execz .LBB150_684
.LBB150_910:
	v_add_f32_e64 v3, 0x42800000, |v2|
	s_and_not1_b32 s25, s25, exec_lo
	s_mov_b32 s28, 0
	s_delay_alu instid0(VALU_DEP_1) | instskip(NEXT) | instid1(VALU_DEP_1)
	v_and_b32_e32 v3, 0xff, v3
	v_cmp_ne_u32_e32 vcc_lo, 0, v3
	s_and_b32 s29, vcc_lo, exec_lo
	s_delay_alu instid0(SALU_CYCLE_1)
	s_or_b32 s25, s25, s29
	s_or_b32 exec_lo, exec_lo, s27
	v_mov_b32_e32 v7, s28
	s_and_saveexec_b32 s27, s25
	s_cbranch_execnz .LBB150_685
	s_branch .LBB150_686
.LBB150_911:
	s_mov_b32 s1, -1
	s_mov_b32 s0, 0
.LBB150_912:
                                        ; implicit-def: $vgpr4
.LBB150_913:
	s_and_b32 vcc_lo, exec_lo, s29
	s_cbranch_vccz .LBB150_917
; %bb.914:
	v_cmp_eq_u16_e32 vcc_lo, 44, v6
	s_cbranch_vccz .LBB150_916
; %bb.915:
	global_load_u8 v4, v[2:3], off
	s_mov_b32 s1, 0
	s_mov_b32 s0, -1
	s_waitcnt vmcnt(0)
	v_lshlrev_b32_e32 v5, 23, v4
	v_cmp_ne_u32_e32 vcc_lo, 0, v4
	s_delay_alu instid0(VALU_DEP_2) | instskip(NEXT) | instid1(VALU_DEP_1)
	v_trunc_f32_e32 v5, v5
	v_mul_f32_e64 v7, 0x2f800000, |v5|
	s_delay_alu instid0(VALU_DEP_1) | instskip(NEXT) | instid1(VALU_DEP_1)
	v_floor_f32_e32 v7, v7
	v_fma_f32 v7, 0xcf800000, v7, |v5|
	v_ashrrev_i32_e32 v5, 31, v5
	s_delay_alu instid0(VALU_DEP_2) | instskip(NEXT) | instid1(VALU_DEP_1)
	v_cvt_u32_f32_e32 v7, v7
	v_xor_b32_e32 v7, v7, v5
	s_delay_alu instid0(VALU_DEP_1) | instskip(NEXT) | instid1(VALU_DEP_1)
	v_sub_nc_u32_e32 v5, v7, v5
	v_cndmask_b32_e32 v4, 0, v5, vcc_lo
	s_branch .LBB150_917
.LBB150_916:
	s_mov_b32 s1, -1
                                        ; implicit-def: $vgpr4
.LBB150_917:
	s_mov_b32 s29, 0
.LBB150_918:
	s_delay_alu instid0(SALU_CYCLE_1)
	s_and_b32 vcc_lo, exec_lo, s29
	s_cbranch_vccz .LBB150_922
; %bb.919:
	v_cmp_eq_u16_e32 vcc_lo, 29, v6
	s_cbranch_vccz .LBB150_921
; %bb.920:
	global_load_b64 v[4:5], v[2:3], off
	s_mov_b32 s0, -1
	s_mov_b32 s1, 0
	s_branch .LBB150_922
.LBB150_921:
	s_mov_b32 s1, -1
                                        ; implicit-def: $vgpr4
.LBB150_922:
	s_mov_b32 s29, 0
.LBB150_923:
	s_delay_alu instid0(SALU_CYCLE_1)
	s_and_b32 vcc_lo, exec_lo, s29
	s_cbranch_vccz .LBB150_939
; %bb.924:
	v_cmp_gt_i16_e32 vcc_lo, 27, v6
	s_cbranch_vccnz .LBB150_927
; %bb.925:
	v_cmp_lt_i16_e32 vcc_lo, 27, v6
	s_cbranch_vccz .LBB150_928
; %bb.926:
	global_load_b32 v4, v[2:3], off
	s_mov_b32 s0, 0
	s_branch .LBB150_929
.LBB150_927:
	s_mov_b32 s0, -1
                                        ; implicit-def: $vgpr4
	s_branch .LBB150_932
.LBB150_928:
	s_mov_b32 s0, -1
                                        ; implicit-def: $vgpr4
.LBB150_929:
	s_delay_alu instid0(SALU_CYCLE_1)
	s_and_not1_b32 vcc_lo, exec_lo, s0
	s_cbranch_vccnz .LBB150_931
; %bb.930:
	global_load_u16 v4, v[2:3], off
.LBB150_931:
	s_mov_b32 s0, 0
.LBB150_932:
	s_delay_alu instid0(SALU_CYCLE_1)
	s_and_not1_b32 vcc_lo, exec_lo, s0
	s_cbranch_vccnz .LBB150_938
; %bb.933:
	global_load_u8 v5, v[2:3], off
	s_mov_b32 s29, 0
	s_mov_b32 s0, exec_lo
                                        ; implicit-def: $sgpr30
	s_waitcnt vmcnt(0)
	v_cmpx_lt_i16_e32 0x7f, v5
	s_xor_b32 s0, exec_lo, s0
	s_cbranch_execz .LBB150_950
; %bb.934:
	v_cmp_ne_u16_e32 vcc_lo, 0x80, v5
	s_mov_b32 s30, 0
	s_and_b32 s29, vcc_lo, exec_lo
	s_or_saveexec_b32 s0, s0
	v_mov_b32_e32 v4, s30
	s_xor_b32 exec_lo, exec_lo, s0
	s_cbranch_execnz .LBB150_951
.LBB150_935:
	s_or_b32 exec_lo, exec_lo, s0
	s_and_saveexec_b32 s0, s29
	s_cbranch_execz .LBB150_937
.LBB150_936:
	v_and_b32_e32 v4, 0xffff, v5
	v_lshlrev_b32_e32 v5, 24, v5
	s_delay_alu instid0(VALU_DEP_2) | instskip(NEXT) | instid1(VALU_DEP_2)
	v_and_b32_e32 v7, 7, v4
	v_and_b32_e32 v5, 0x80000000, v5
	s_delay_alu instid0(VALU_DEP_2) | instskip(NEXT) | instid1(VALU_DEP_1)
	v_clz_i32_u32_e32 v8, v7
	v_min_u32_e32 v8, 32, v8
	s_delay_alu instid0(VALU_DEP_1) | instskip(SKIP_1) | instid1(VALU_DEP_2)
	v_subrev_nc_u32_e32 v9, 28, v8
	v_sub_nc_u32_e32 v8, 29, v8
	v_lshlrev_b32_e32 v9, v9, v4
	v_bfe_u32 v4, v4, 3, 4
	s_delay_alu instid0(VALU_DEP_1) | instskip(NEXT) | instid1(VALU_DEP_3)
	v_cmp_eq_u32_e32 vcc_lo, 0, v4
	v_dual_cndmask_b32 v4, v4, v8 :: v_dual_and_b32 v9, 7, v9
	s_delay_alu instid0(VALU_DEP_1) | instskip(NEXT) | instid1(VALU_DEP_2)
	v_cndmask_b32_e32 v7, v7, v9, vcc_lo
	v_lshl_add_u32 v4, v4, 23, 0x3b800000
	s_delay_alu instid0(VALU_DEP_2) | instskip(NEXT) | instid1(VALU_DEP_1)
	v_lshlrev_b32_e32 v7, 20, v7
	v_or3_b32 v4, v5, v4, v7
	s_delay_alu instid0(VALU_DEP_1) | instskip(NEXT) | instid1(VALU_DEP_1)
	v_trunc_f32_e32 v4, v4
	v_mul_f32_e64 v5, 0x2f800000, |v4|
	s_delay_alu instid0(VALU_DEP_1) | instskip(NEXT) | instid1(VALU_DEP_1)
	v_floor_f32_e32 v5, v5
	v_fma_f32 v5, 0xcf800000, v5, |v4|
	v_ashrrev_i32_e32 v4, 31, v4
	s_delay_alu instid0(VALU_DEP_2) | instskip(NEXT) | instid1(VALU_DEP_1)
	v_cvt_u32_f32_e32 v5, v5
	v_xor_b32_e32 v5, v5, v4
	s_delay_alu instid0(VALU_DEP_1)
	v_sub_nc_u32_e32 v4, v5, v4
.LBB150_937:
	s_or_b32 exec_lo, exec_lo, s0
.LBB150_938:
	s_mov_b32 s0, -1
.LBB150_939:
	s_mov_b32 s29, 0
.LBB150_940:
	s_delay_alu instid0(SALU_CYCLE_1)
	s_and_b32 vcc_lo, exec_lo, s29
	s_cbranch_vccz .LBB150_973
; %bb.941:
	v_cmp_lt_i16_e32 vcc_lo, 22, v6
	s_cbranch_vccz .LBB150_949
; %bb.942:
	v_cmp_gt_i16_e32 vcc_lo, 24, v6
	s_cbranch_vccnz .LBB150_952
; %bb.943:
	v_cmp_lt_i16_e32 vcc_lo, 24, v6
	s_cbranch_vccz .LBB150_953
; %bb.944:
	global_load_u8 v5, v[2:3], off
	s_mov_b32 s29, 0
	s_mov_b32 s0, exec_lo
                                        ; implicit-def: $sgpr30
	s_waitcnt vmcnt(0)
	v_cmpx_lt_i16_e32 0x7f, v5
	s_xor_b32 s0, exec_lo, s0
	s_cbranch_execz .LBB150_965
; %bb.945:
	v_cmp_ne_u16_e32 vcc_lo, 0x80, v5
	s_mov_b32 s30, 0
	s_and_b32 s29, vcc_lo, exec_lo
	s_or_saveexec_b32 s0, s0
	v_mov_b32_e32 v4, s30
	s_xor_b32 exec_lo, exec_lo, s0
	s_cbranch_execnz .LBB150_966
.LBB150_946:
	s_or_b32 exec_lo, exec_lo, s0
	s_and_saveexec_b32 s0, s29
	s_cbranch_execz .LBB150_948
.LBB150_947:
	v_and_b32_e32 v4, 0xffff, v5
	v_lshlrev_b32_e32 v5, 24, v5
	s_delay_alu instid0(VALU_DEP_2) | instskip(NEXT) | instid1(VALU_DEP_2)
	v_and_b32_e32 v7, 3, v4
	v_and_b32_e32 v5, 0x80000000, v5
	s_delay_alu instid0(VALU_DEP_2) | instskip(NEXT) | instid1(VALU_DEP_1)
	v_clz_i32_u32_e32 v8, v7
	v_min_u32_e32 v8, 32, v8
	s_delay_alu instid0(VALU_DEP_1) | instskip(SKIP_1) | instid1(VALU_DEP_2)
	v_subrev_nc_u32_e32 v9, 29, v8
	v_sub_nc_u32_e32 v8, 30, v8
	v_lshlrev_b32_e32 v9, v9, v4
	v_bfe_u32 v4, v4, 2, 5
	s_delay_alu instid0(VALU_DEP_1) | instskip(NEXT) | instid1(VALU_DEP_3)
	v_cmp_eq_u32_e32 vcc_lo, 0, v4
	v_dual_cndmask_b32 v4, v4, v8 :: v_dual_and_b32 v9, 3, v9
	s_delay_alu instid0(VALU_DEP_1) | instskip(NEXT) | instid1(VALU_DEP_2)
	v_cndmask_b32_e32 v7, v7, v9, vcc_lo
	v_lshl_add_u32 v4, v4, 23, 0x37800000
	s_delay_alu instid0(VALU_DEP_2) | instskip(NEXT) | instid1(VALU_DEP_1)
	v_lshlrev_b32_e32 v7, 21, v7
	v_or3_b32 v4, v5, v4, v7
	s_delay_alu instid0(VALU_DEP_1) | instskip(NEXT) | instid1(VALU_DEP_1)
	v_trunc_f32_e32 v4, v4
	v_mul_f32_e64 v5, 0x2f800000, |v4|
	s_delay_alu instid0(VALU_DEP_1) | instskip(NEXT) | instid1(VALU_DEP_1)
	v_floor_f32_e32 v5, v5
	v_fma_f32 v5, 0xcf800000, v5, |v4|
	v_ashrrev_i32_e32 v4, 31, v4
	s_delay_alu instid0(VALU_DEP_2) | instskip(NEXT) | instid1(VALU_DEP_1)
	v_cvt_u32_f32_e32 v5, v5
	v_xor_b32_e32 v5, v5, v4
	s_delay_alu instid0(VALU_DEP_1)
	v_sub_nc_u32_e32 v4, v5, v4
.LBB150_948:
	s_or_b32 exec_lo, exec_lo, s0
	s_mov_b32 s0, 0
	s_branch .LBB150_954
.LBB150_949:
	s_mov_b32 s29, -1
                                        ; implicit-def: $vgpr4
	s_branch .LBB150_960
.LBB150_950:
	s_or_saveexec_b32 s0, s0
	v_mov_b32_e32 v4, s30
	s_xor_b32 exec_lo, exec_lo, s0
	s_cbranch_execz .LBB150_935
.LBB150_951:
	v_cmp_ne_u16_e32 vcc_lo, 0, v5
	v_mov_b32_e32 v4, 0
	s_and_not1_b32 s29, s29, exec_lo
	s_and_b32 s30, vcc_lo, exec_lo
	s_delay_alu instid0(SALU_CYCLE_1)
	s_or_b32 s29, s29, s30
	s_or_b32 exec_lo, exec_lo, s0
	s_and_saveexec_b32 s0, s29
	s_cbranch_execnz .LBB150_936
	s_branch .LBB150_937
.LBB150_952:
	s_mov_b32 s0, -1
                                        ; implicit-def: $vgpr4
	s_branch .LBB150_957
.LBB150_953:
	s_mov_b32 s0, -1
                                        ; implicit-def: $vgpr4
.LBB150_954:
	s_delay_alu instid0(SALU_CYCLE_1)
	s_and_b32 vcc_lo, exec_lo, s0
	s_cbranch_vccz .LBB150_956
; %bb.955:
	global_load_u8 v4, v[2:3], off
	s_waitcnt vmcnt(0)
	v_lshlrev_b32_e32 v4, 24, v4
	s_delay_alu instid0(VALU_DEP_1) | instskip(NEXT) | instid1(VALU_DEP_1)
	v_and_b32_e32 v5, 0x7f000000, v4
	v_clz_i32_u32_e32 v7, v5
	v_add_nc_u32_e32 v9, 0x1000000, v5
	v_cmp_ne_u32_e32 vcc_lo, 0, v5
	s_delay_alu instid0(VALU_DEP_3) | instskip(NEXT) | instid1(VALU_DEP_1)
	v_min_u32_e32 v7, 32, v7
	v_sub_nc_u32_e64 v7, v7, 4 clamp
	s_delay_alu instid0(VALU_DEP_1) | instskip(SKIP_1) | instid1(VALU_DEP_2)
	v_lshlrev_b32_e32 v8, v7, v5
	v_lshlrev_b32_e32 v7, 23, v7
	v_lshrrev_b32_e32 v8, 4, v8
	s_delay_alu instid0(VALU_DEP_1) | instskip(SKIP_1) | instid1(VALU_DEP_2)
	v_sub_nc_u32_e32 v7, v8, v7
	v_ashrrev_i32_e32 v8, 8, v9
	v_add_nc_u32_e32 v7, 0x3c000000, v7
	s_delay_alu instid0(VALU_DEP_1) | instskip(NEXT) | instid1(VALU_DEP_1)
	v_and_or_b32 v7, 0x7f800000, v8, v7
	v_cndmask_b32_e32 v5, 0, v7, vcc_lo
	s_delay_alu instid0(VALU_DEP_1) | instskip(NEXT) | instid1(VALU_DEP_1)
	v_and_or_b32 v4, 0x80000000, v4, v5
	v_trunc_f32_e32 v4, v4
	s_delay_alu instid0(VALU_DEP_1) | instskip(NEXT) | instid1(VALU_DEP_1)
	v_mul_f32_e64 v5, 0x2f800000, |v4|
	v_floor_f32_e32 v5, v5
	s_delay_alu instid0(VALU_DEP_1) | instskip(SKIP_1) | instid1(VALU_DEP_2)
	v_fma_f32 v5, 0xcf800000, v5, |v4|
	v_ashrrev_i32_e32 v4, 31, v4
	v_cvt_u32_f32_e32 v5, v5
	s_delay_alu instid0(VALU_DEP_1) | instskip(NEXT) | instid1(VALU_DEP_1)
	v_xor_b32_e32 v5, v5, v4
	v_sub_nc_u32_e32 v4, v5, v4
.LBB150_956:
	s_mov_b32 s0, 0
.LBB150_957:
	s_delay_alu instid0(SALU_CYCLE_1)
	s_and_not1_b32 vcc_lo, exec_lo, s0
	s_cbranch_vccnz .LBB150_959
; %bb.958:
	global_load_u8 v4, v[2:3], off
	s_waitcnt vmcnt(0)
	v_lshlrev_b32_e32 v5, 25, v4
	v_lshlrev_b16 v4, 8, v4
	s_delay_alu instid0(VALU_DEP_2) | instskip(NEXT) | instid1(VALU_DEP_2)
	v_lshrrev_b32_e32 v7, 4, v5
	v_and_or_b32 v8, 0x7f00, v4, 0.5
	v_cmp_gt_u32_e32 vcc_lo, 0x8000000, v5
	v_bfe_i32 v4, v4, 0, 16
	s_delay_alu instid0(VALU_DEP_4) | instskip(NEXT) | instid1(VALU_DEP_1)
	v_or_b32_e32 v7, 0x70000000, v7
	v_dual_add_f32 v8, -0.5, v8 :: v_dual_mul_f32 v7, 0x7800000, v7
	s_delay_alu instid0(VALU_DEP_1) | instskip(NEXT) | instid1(VALU_DEP_1)
	v_cndmask_b32_e32 v5, v7, v8, vcc_lo
	v_and_or_b32 v4, 0x80000000, v4, v5
	s_delay_alu instid0(VALU_DEP_1) | instskip(NEXT) | instid1(VALU_DEP_1)
	v_trunc_f32_e32 v4, v4
	v_mul_f32_e64 v5, 0x2f800000, |v4|
	s_delay_alu instid0(VALU_DEP_1) | instskip(NEXT) | instid1(VALU_DEP_1)
	v_floor_f32_e32 v5, v5
	v_fma_f32 v5, 0xcf800000, v5, |v4|
	v_ashrrev_i32_e32 v4, 31, v4
	s_delay_alu instid0(VALU_DEP_2) | instskip(NEXT) | instid1(VALU_DEP_1)
	v_cvt_u32_f32_e32 v5, v5
	v_xor_b32_e32 v5, v5, v4
	s_delay_alu instid0(VALU_DEP_1)
	v_sub_nc_u32_e32 v4, v5, v4
.LBB150_959:
	s_mov_b32 s29, 0
	s_mov_b32 s0, -1
.LBB150_960:
	s_and_not1_b32 vcc_lo, exec_lo, s29
	s_cbranch_vccnz .LBB150_973
; %bb.961:
	v_cmp_lt_i16_e32 vcc_lo, 14, v6
	s_cbranch_vccz .LBB150_964
; %bb.962:
	v_cmp_eq_u16_e32 vcc_lo, 15, v6
	s_cbranch_vccz .LBB150_967
; %bb.963:
	global_load_u16 v4, v[2:3], off
	s_mov_b32 s0, -1
	s_mov_b32 s1, 0
	s_waitcnt vmcnt(0)
	v_lshlrev_b32_e32 v4, 16, v4
	s_delay_alu instid0(VALU_DEP_1) | instskip(NEXT) | instid1(VALU_DEP_1)
	v_trunc_f32_e32 v4, v4
	v_mul_f32_e64 v5, 0x2f800000, |v4|
	s_delay_alu instid0(VALU_DEP_1) | instskip(NEXT) | instid1(VALU_DEP_1)
	v_floor_f32_e32 v5, v5
	v_fma_f32 v5, 0xcf800000, v5, |v4|
	v_ashrrev_i32_e32 v4, 31, v4
	s_delay_alu instid0(VALU_DEP_2) | instskip(NEXT) | instid1(VALU_DEP_1)
	v_cvt_u32_f32_e32 v5, v5
	v_xor_b32_e32 v5, v5, v4
	s_delay_alu instid0(VALU_DEP_1)
	v_sub_nc_u32_e32 v4, v5, v4
	s_branch .LBB150_968
.LBB150_964:
	s_mov_b32 s29, -1
                                        ; implicit-def: $vgpr4
	s_branch .LBB150_969
.LBB150_965:
	s_or_saveexec_b32 s0, s0
	v_mov_b32_e32 v4, s30
	s_xor_b32 exec_lo, exec_lo, s0
	s_cbranch_execz .LBB150_946
.LBB150_966:
	v_cmp_ne_u16_e32 vcc_lo, 0, v5
	v_mov_b32_e32 v4, 0
	s_and_not1_b32 s29, s29, exec_lo
	s_and_b32 s30, vcc_lo, exec_lo
	s_delay_alu instid0(SALU_CYCLE_1)
	s_or_b32 s29, s29, s30
	s_or_b32 exec_lo, exec_lo, s0
	s_and_saveexec_b32 s0, s29
	s_cbranch_execnz .LBB150_947
	s_branch .LBB150_948
.LBB150_967:
	s_mov_b32 s1, -1
                                        ; implicit-def: $vgpr4
.LBB150_968:
	s_mov_b32 s29, 0
.LBB150_969:
	s_delay_alu instid0(SALU_CYCLE_1)
	s_and_b32 vcc_lo, exec_lo, s29
	s_cbranch_vccz .LBB150_973
; %bb.970:
	v_cmp_eq_u16_e32 vcc_lo, 11, v6
	s_cbranch_vccz .LBB150_972
; %bb.971:
	global_load_u8 v4, v[2:3], off
	s_mov_b32 s1, 0
	s_mov_b32 s0, -1
	s_waitcnt vmcnt(0)
	v_cmp_ne_u16_e32 vcc_lo, 0, v4
	v_cndmask_b32_e64 v4, 0, 1, vcc_lo
	s_branch .LBB150_973
.LBB150_972:
	s_mov_b32 s1, -1
                                        ; implicit-def: $vgpr4
.LBB150_973:
	s_mov_b32 s29, 0
.LBB150_974:
	s_delay_alu instid0(SALU_CYCLE_1)
	s_and_b32 vcc_lo, exec_lo, s29
	s_cbranch_vccz .LBB150_1023
; %bb.975:
	v_cmp_gt_i16_e32 vcc_lo, 5, v6
	s_cbranch_vccnz .LBB150_980
; %bb.976:
	v_cmp_gt_i16_e32 vcc_lo, 8, v6
	s_cbranch_vccnz .LBB150_981
	;; [unrolled: 3-line block ×3, first 2 shown]
; %bb.978:
	v_cmp_lt_i16_e32 vcc_lo, 9, v6
	s_cbranch_vccz .LBB150_983
; %bb.979:
	global_load_b64 v[4:5], v[2:3], off
	s_mov_b32 s0, 0
	s_waitcnt vmcnt(0)
	v_trunc_f64_e32 v[4:5], v[4:5]
	s_delay_alu instid0(VALU_DEP_1) | instskip(NEXT) | instid1(VALU_DEP_1)
	v_ldexp_f64 v[7:8], v[4:5], 0xffffffe0
	v_floor_f64_e32 v[7:8], v[7:8]
	s_delay_alu instid0(VALU_DEP_1) | instskip(NEXT) | instid1(VALU_DEP_1)
	v_fma_f64 v[4:5], 0xc1f00000, v[7:8], v[4:5]
	v_cvt_u32_f64_e32 v4, v[4:5]
	s_branch .LBB150_984
.LBB150_980:
	s_mov_b32 s0, -1
                                        ; implicit-def: $vgpr4
	s_branch .LBB150_1002
.LBB150_981:
	s_mov_b32 s0, -1
                                        ; implicit-def: $vgpr4
	s_branch .LBB150_990
.LBB150_982:
	s_mov_b32 s0, -1
                                        ; implicit-def: $vgpr4
	s_branch .LBB150_987
.LBB150_983:
	s_mov_b32 s0, -1
                                        ; implicit-def: $vgpr4
.LBB150_984:
	s_delay_alu instid0(SALU_CYCLE_1)
	s_and_not1_b32 vcc_lo, exec_lo, s0
	s_cbranch_vccnz .LBB150_986
; %bb.985:
	global_load_b32 v4, v[2:3], off
	s_waitcnt vmcnt(0)
	v_trunc_f32_e32 v4, v4
	s_delay_alu instid0(VALU_DEP_1) | instskip(NEXT) | instid1(VALU_DEP_1)
	v_mul_f32_e64 v5, 0x2f800000, |v4|
	v_floor_f32_e32 v5, v5
	s_delay_alu instid0(VALU_DEP_1) | instskip(SKIP_1) | instid1(VALU_DEP_2)
	v_fma_f32 v5, 0xcf800000, v5, |v4|
	v_ashrrev_i32_e32 v4, 31, v4
	v_cvt_u32_f32_e32 v5, v5
	s_delay_alu instid0(VALU_DEP_1) | instskip(NEXT) | instid1(VALU_DEP_1)
	v_xor_b32_e32 v5, v5, v4
	v_sub_nc_u32_e32 v4, v5, v4
.LBB150_986:
	s_mov_b32 s0, 0
.LBB150_987:
	s_delay_alu instid0(SALU_CYCLE_1)
	s_and_not1_b32 vcc_lo, exec_lo, s0
	s_cbranch_vccnz .LBB150_989
; %bb.988:
	global_load_b32 v4, v[2:3], off
	s_waitcnt vmcnt(0)
	v_cvt_f32_f16_e32 v4, v4
	s_delay_alu instid0(VALU_DEP_1)
	v_cvt_i32_f32_e32 v4, v4
.LBB150_989:
	s_mov_b32 s0, 0
.LBB150_990:
	s_delay_alu instid0(SALU_CYCLE_1)
	s_and_not1_b32 vcc_lo, exec_lo, s0
	s_cbranch_vccnz .LBB150_1001
; %bb.991:
	v_cmp_gt_i16_e32 vcc_lo, 6, v6
	s_cbranch_vccnz .LBB150_994
; %bb.992:
	v_cmp_lt_i16_e32 vcc_lo, 6, v6
	s_cbranch_vccz .LBB150_995
; %bb.993:
	global_load_b64 v[4:5], v[2:3], off
	s_mov_b32 s0, 0
	s_waitcnt vmcnt(0)
	v_trunc_f64_e32 v[4:5], v[4:5]
	s_delay_alu instid0(VALU_DEP_1) | instskip(NEXT) | instid1(VALU_DEP_1)
	v_ldexp_f64 v[7:8], v[4:5], 0xffffffe0
	v_floor_f64_e32 v[7:8], v[7:8]
	s_delay_alu instid0(VALU_DEP_1) | instskip(NEXT) | instid1(VALU_DEP_1)
	v_fma_f64 v[4:5], 0xc1f00000, v[7:8], v[4:5]
	v_cvt_u32_f64_e32 v4, v[4:5]
	s_branch .LBB150_996
.LBB150_994:
	s_mov_b32 s0, -1
                                        ; implicit-def: $vgpr4
	s_branch .LBB150_999
.LBB150_995:
	s_mov_b32 s0, -1
                                        ; implicit-def: $vgpr4
.LBB150_996:
	s_delay_alu instid0(SALU_CYCLE_1)
	s_and_not1_b32 vcc_lo, exec_lo, s0
	s_cbranch_vccnz .LBB150_998
; %bb.997:
	global_load_b32 v4, v[2:3], off
	s_waitcnt vmcnt(0)
	v_trunc_f32_e32 v4, v4
	s_delay_alu instid0(VALU_DEP_1) | instskip(NEXT) | instid1(VALU_DEP_1)
	v_mul_f32_e64 v5, 0x2f800000, |v4|
	v_floor_f32_e32 v5, v5
	s_delay_alu instid0(VALU_DEP_1) | instskip(SKIP_1) | instid1(VALU_DEP_2)
	v_fma_f32 v5, 0xcf800000, v5, |v4|
	v_ashrrev_i32_e32 v4, 31, v4
	v_cvt_u32_f32_e32 v5, v5
	s_delay_alu instid0(VALU_DEP_1) | instskip(NEXT) | instid1(VALU_DEP_1)
	v_xor_b32_e32 v5, v5, v4
	v_sub_nc_u32_e32 v4, v5, v4
.LBB150_998:
	s_mov_b32 s0, 0
.LBB150_999:
	s_delay_alu instid0(SALU_CYCLE_1)
	s_and_not1_b32 vcc_lo, exec_lo, s0
	s_cbranch_vccnz .LBB150_1001
; %bb.1000:
	global_load_u16 v4, v[2:3], off
	s_waitcnt vmcnt(0)
	v_cvt_f32_f16_e32 v4, v4
	s_delay_alu instid0(VALU_DEP_1)
	v_cvt_i32_f32_e32 v4, v4
.LBB150_1001:
	s_mov_b32 s0, 0
.LBB150_1002:
	s_delay_alu instid0(SALU_CYCLE_1)
	s_and_not1_b32 vcc_lo, exec_lo, s0
	s_cbranch_vccnz .LBB150_1022
; %bb.1003:
	v_cmp_gt_i16_e32 vcc_lo, 2, v6
	s_cbranch_vccnz .LBB150_1007
; %bb.1004:
	v_cmp_gt_i16_e32 vcc_lo, 3, v6
	s_cbranch_vccnz .LBB150_1008
; %bb.1005:
	v_cmp_lt_i16_e32 vcc_lo, 3, v6
	s_cbranch_vccz .LBB150_1009
; %bb.1006:
	global_load_b64 v[4:5], v[2:3], off
	s_mov_b32 s0, 0
	s_branch .LBB150_1010
.LBB150_1007:
	s_mov_b32 s0, -1
                                        ; implicit-def: $vgpr4
	s_branch .LBB150_1016
.LBB150_1008:
	s_mov_b32 s0, -1
                                        ; implicit-def: $vgpr4
	s_branch .LBB150_1013
.LBB150_1009:
	s_mov_b32 s0, -1
                                        ; implicit-def: $vgpr4
.LBB150_1010:
	s_delay_alu instid0(SALU_CYCLE_1)
	s_and_not1_b32 vcc_lo, exec_lo, s0
	s_cbranch_vccnz .LBB150_1012
; %bb.1011:
	global_load_b32 v4, v[2:3], off
.LBB150_1012:
	s_mov_b32 s0, 0
.LBB150_1013:
	s_delay_alu instid0(SALU_CYCLE_1)
	s_and_not1_b32 vcc_lo, exec_lo, s0
	s_cbranch_vccnz .LBB150_1015
; %bb.1014:
	global_load_u16 v4, v[2:3], off
.LBB150_1015:
	s_mov_b32 s0, 0
.LBB150_1016:
	s_delay_alu instid0(SALU_CYCLE_1)
	s_and_not1_b32 vcc_lo, exec_lo, s0
	s_cbranch_vccnz .LBB150_1022
; %bb.1017:
	v_cmp_lt_i16_e32 vcc_lo, 0, v6
	s_mov_b32 s0, 0
	s_cbranch_vccz .LBB150_1019
; %bb.1018:
	global_load_u8 v4, v[2:3], off
	s_branch .LBB150_1020
.LBB150_1019:
	s_mov_b32 s0, -1
                                        ; implicit-def: $vgpr4
.LBB150_1020:
	s_delay_alu instid0(SALU_CYCLE_1)
	s_and_not1_b32 vcc_lo, exec_lo, s0
	s_cbranch_vccnz .LBB150_1022
; %bb.1021:
	global_load_u8 v4, v[2:3], off
.LBB150_1022:
	s_mov_b32 s0, -1
.LBB150_1023:
	s_delay_alu instid0(SALU_CYCLE_1)
	s_and_not1_b32 vcc_lo, exec_lo, s0
	s_cbranch_vccnz .LBB150_1031
; %bb.1024:
	s_waitcnt vmcnt(0)
	s_delay_alu instid0(VALU_DEP_1) | instskip(SKIP_1) | instid1(VALU_DEP_2)
	v_and_b32_e32 v2, 0xff, v4
	v_and_b32_e64 v6, 0xff, s14
	v_and_b32_e32 v2, 0xffff, v2
	s_delay_alu instid0(VALU_DEP_2) | instskip(NEXT) | instid1(VALU_DEP_2)
	v_cmp_gt_i16_e32 vcc_lo, 11, v6
	v_cvt_f64_u32_e32 v[2:3], v2
	s_and_b32 vcc_lo, exec_lo, vcc_lo
	s_delay_alu instid0(VALU_DEP_1) | instskip(SKIP_1) | instid1(VALU_DEP_1)
	v_mul_f64 v[0:1], v[0:1], v[2:3]
	v_mul_lo_u32 v2, v16, s8
	v_ashrrev_i32_e32 v3, 31, v2
	v_add_co_u32 v4, s0, s4, v2
	s_delay_alu instid0(VALU_DEP_1)
	v_add_co_ci_u32_e64 v5, s0, s5, v3, s0
	v_mul_f64 v[0:1], s[2:3], v[0:1]
	s_cbranch_vccnz .LBB150_1032
; %bb.1025:
	v_cmp_lt_i16_e32 vcc_lo, 25, v6
	s_cbranch_vccz .LBB150_1033
; %bb.1026:
	v_cmp_lt_i16_e32 vcc_lo, 28, v6
	s_cbranch_vccz .LBB150_1034
; %bb.1027:
	v_cmp_lt_i16_e32 vcc_lo, 43, v6
	s_cbranch_vccz .LBB150_1035
; %bb.1028:
	v_cmp_lt_i16_e32 vcc_lo, 45, v6
	s_cbranch_vccz .LBB150_1036
; %bb.1029:
	v_cmp_eq_u16_e32 vcc_lo, 46, v6
	s_mov_b32 s30, 0
	s_mov_b32 s0, -1
	s_mov_b32 s29, 0
	s_cbranch_vccz .LBB150_1037
; %bb.1030:
	v_cvt_f32_f64_e32 v2, v[0:1]
	s_mov_b32 s29, -1
	s_mov_b32 s0, 0
	s_delay_alu instid0(VALU_DEP_1) | instskip(SKIP_1) | instid1(VALU_DEP_2)
	v_bfe_u32 v3, v2, 16, 1
	v_cmp_o_f32_e32 vcc_lo, v2, v2
	v_add3_u32 v3, v2, v3, 0x7fff
	s_delay_alu instid0(VALU_DEP_1) | instskip(NEXT) | instid1(VALU_DEP_1)
	v_lshrrev_b32_e32 v3, 16, v3
	v_cndmask_b32_e32 v2, 0x7fc0, v3, vcc_lo
	global_store_b32 v[4:5], v2, off
	s_branch .LBB150_1037
.LBB150_1031:
	s_mov_b32 s31, 0
	s_mov_b32 s0, s24
	s_branch .LBB150_1148
.LBB150_1032:
	s_mov_b32 s30, -1
	s_mov_b32 s29, 0
	s_mov_b32 s0, s24
	s_branch .LBB150_1106
.LBB150_1033:
	s_mov_b32 s30, -1
	s_mov_b32 s29, 0
	s_mov_b32 s0, s24
	s_branch .LBB150_1064
.LBB150_1034:
	s_mov_b32 s30, -1
	s_mov_b32 s29, 0
	s_mov_b32 s0, s24
	s_branch .LBB150_1047
.LBB150_1035:
	s_mov_b32 s30, -1
	s_mov_b32 s29, 0
	s_mov_b32 s0, s24
	s_branch .LBB150_1043
.LBB150_1036:
	s_mov_b32 s30, -1
	s_mov_b32 s29, 0
	s_mov_b32 s0, s24
.LBB150_1037:
	s_and_b32 vcc_lo, exec_lo, s30
	s_cbranch_vccz .LBB150_1042
; %bb.1038:
	v_cmp_eq_u16_e32 vcc_lo, 44, v6
	s_mov_b32 s0, -1
	s_cbranch_vccz .LBB150_1042
; %bb.1039:
	v_cvt_f32_f64_e32 v2, v[0:1]
	v_mov_b32_e32 v3, 0xff
	s_mov_b32 s29, exec_lo
	s_delay_alu instid0(VALU_DEP_2) | instskip(NEXT) | instid1(VALU_DEP_1)
	v_bfe_u32 v7, v2, 23, 8
	v_cmpx_ne_u32_e32 0xff, v7
; %bb.1040:
	v_and_b32_e32 v3, 0x400000, v2
	v_and_or_b32 v7, 0x3fffff, v2, v7
	v_lshrrev_b32_e32 v2, 23, v2
	s_delay_alu instid0(VALU_DEP_3) | instskip(NEXT) | instid1(VALU_DEP_3)
	v_cmp_ne_u32_e32 vcc_lo, 0, v3
	v_cmp_ne_u32_e64 s0, 0, v7
	s_delay_alu instid0(VALU_DEP_1) | instskip(NEXT) | instid1(SALU_CYCLE_1)
	s_and_b32 s0, vcc_lo, s0
	v_cndmask_b32_e64 v3, 0, 1, s0
	s_delay_alu instid0(VALU_DEP_1)
	v_add_nc_u32_e32 v3, v2, v3
; %bb.1041:
	s_or_b32 exec_lo, exec_lo, s29
	s_mov_b32 s29, -1
	s_mov_b32 s0, 0
	global_store_b8 v[4:5], v3, off
.LBB150_1042:
	s_mov_b32 s30, 0
.LBB150_1043:
	s_delay_alu instid0(SALU_CYCLE_1)
	s_and_b32 vcc_lo, exec_lo, s30
	s_cbranch_vccz .LBB150_1046
; %bb.1044:
	v_cmp_eq_u16_e32 vcc_lo, 29, v6
	s_mov_b32 s0, -1
	s_cbranch_vccz .LBB150_1046
; %bb.1045:
	v_trunc_f64_e32 v[2:3], v[0:1]
	s_mov_b32 s29, -1
	s_mov_b32 s0, 0
	s_mov_b32 s30, 0
	s_delay_alu instid0(VALU_DEP_1) | instskip(NEXT) | instid1(VALU_DEP_1)
	v_ldexp_f64 v[7:8], v[2:3], 0xffffffe0
	v_floor_f64_e32 v[7:8], v[7:8]
	s_delay_alu instid0(VALU_DEP_1) | instskip(SKIP_1) | instid1(VALU_DEP_2)
	v_fma_f64 v[2:3], 0xc1f00000, v[7:8], v[2:3]
	v_cvt_u32_f64_e32 v8, v[7:8]
	v_cvt_u32_f64_e32 v7, v[2:3]
	global_store_b64 v[4:5], v[7:8], off
	s_branch .LBB150_1047
.LBB150_1046:
	s_mov_b32 s30, 0
.LBB150_1047:
	s_delay_alu instid0(SALU_CYCLE_1)
	s_and_b32 vcc_lo, exec_lo, s30
	s_cbranch_vccz .LBB150_1063
; %bb.1048:
	v_cmp_gt_i16_e32 vcc_lo, 27, v6
	s_mov_b32 s29, -1
	s_cbranch_vccnz .LBB150_1054
; %bb.1049:
	s_delay_alu instid0(VALU_DEP_4)
	v_cvt_u32_f64_e32 v2, v[0:1]
	v_cmp_lt_i16_e32 vcc_lo, 27, v6
	s_cbranch_vccz .LBB150_1051
; %bb.1050:
	s_mov_b32 s29, 0
	global_store_b32 v[4:5], v2, off
.LBB150_1051:
	s_and_not1_b32 vcc_lo, exec_lo, s29
	s_cbranch_vccnz .LBB150_1053
; %bb.1052:
	global_store_b16 v[4:5], v2, off
.LBB150_1053:
	s_mov_b32 s29, 0
.LBB150_1054:
	s_delay_alu instid0(SALU_CYCLE_1)
	s_and_not1_b32 vcc_lo, exec_lo, s29
	s_cbranch_vccnz .LBB150_1062
; %bb.1055:
	s_delay_alu instid0(VALU_DEP_4) | instskip(SKIP_2) | instid1(VALU_DEP_2)
	v_cvt_f32_f64_e32 v2, v[0:1]
	v_mov_b32_e32 v7, 0x80
	s_mov_b32 s29, exec_lo
	v_and_b32_e32 v3, 0x7fffffff, v2
	s_delay_alu instid0(VALU_DEP_1)
	v_cmpx_gt_u32_e32 0x43800000, v3
	s_cbranch_execz .LBB150_1061
; %bb.1056:
	v_cmp_lt_u32_e32 vcc_lo, 0x3bffffff, v3
	s_mov_b32 s30, 0
                                        ; implicit-def: $vgpr3
	s_and_saveexec_b32 s31, vcc_lo
	s_delay_alu instid0(SALU_CYCLE_1)
	s_xor_b32 s31, exec_lo, s31
	s_cbranch_execz .LBB150_1164
; %bb.1057:
	v_bfe_u32 v3, v2, 20, 1
	s_mov_b32 s30, exec_lo
	s_delay_alu instid0(VALU_DEP_1) | instskip(NEXT) | instid1(VALU_DEP_1)
	v_add3_u32 v3, v2, v3, 0x487ffff
	v_lshrrev_b32_e32 v3, 20, v3
	s_or_saveexec_b32 s31, s31
                                        ; implicit-def: $sgpr33
	s_delay_alu instid0(SALU_CYCLE_1)
	s_xor_b32 exec_lo, exec_lo, s31
	s_cbranch_execnz .LBB150_1165
.LBB150_1058:
	s_or_b32 exec_lo, exec_lo, s31
	v_mov_b32_e32 v7, s33
	s_and_saveexec_b32 s31, s30
.LBB150_1059:
	v_lshrrev_b32_e32 v2, 24, v2
	s_delay_alu instid0(VALU_DEP_1)
	v_and_or_b32 v7, 0x80, v2, v3
.LBB150_1060:
	s_or_b32 exec_lo, exec_lo, s31
.LBB150_1061:
	s_delay_alu instid0(SALU_CYCLE_1)
	s_or_b32 exec_lo, exec_lo, s29
	global_store_b8 v[4:5], v7, off
.LBB150_1062:
	s_mov_b32 s29, -1
.LBB150_1063:
	s_mov_b32 s30, 0
.LBB150_1064:
	s_delay_alu instid0(SALU_CYCLE_1)
	s_and_b32 vcc_lo, exec_lo, s30
	s_cbranch_vccz .LBB150_1105
; %bb.1065:
	v_cmp_lt_i16_e32 vcc_lo, 22, v6
	s_mov_b32 s30, -1
	s_cbranch_vccz .LBB150_1097
; %bb.1066:
	v_cmp_gt_i16_e32 vcc_lo, 24, v6
	s_mov_b32 s29, -1
	s_cbranch_vccnz .LBB150_1086
; %bb.1067:
	v_cmp_lt_i16_e32 vcc_lo, 24, v6
	s_cbranch_vccz .LBB150_1075
; %bb.1068:
	v_cvt_f32_f64_e32 v2, v[0:1]
	v_mov_b32_e32 v7, 0x80
	s_mov_b32 s29, exec_lo
	s_delay_alu instid0(VALU_DEP_2) | instskip(NEXT) | instid1(VALU_DEP_1)
	v_and_b32_e32 v3, 0x7fffffff, v2
	v_cmpx_gt_u32_e32 0x47800000, v3
	s_cbranch_execz .LBB150_1074
; %bb.1069:
	v_cmp_lt_u32_e32 vcc_lo, 0x37ffffff, v3
	s_mov_b32 s30, 0
                                        ; implicit-def: $vgpr3
	s_and_saveexec_b32 s31, vcc_lo
	s_delay_alu instid0(SALU_CYCLE_1)
	s_xor_b32 s31, exec_lo, s31
	s_cbranch_execz .LBB150_2207
; %bb.1070:
	v_bfe_u32 v3, v2, 21, 1
	s_mov_b32 s30, exec_lo
	s_delay_alu instid0(VALU_DEP_1) | instskip(NEXT) | instid1(VALU_DEP_1)
	v_add3_u32 v3, v2, v3, 0x88fffff
	v_lshrrev_b32_e32 v3, 21, v3
	s_or_saveexec_b32 s31, s31
                                        ; implicit-def: $sgpr33
	s_delay_alu instid0(SALU_CYCLE_1)
	s_xor_b32 exec_lo, exec_lo, s31
	s_cbranch_execnz .LBB150_2208
.LBB150_1071:
	s_or_b32 exec_lo, exec_lo, s31
	v_mov_b32_e32 v7, s33
	s_and_saveexec_b32 s31, s30
.LBB150_1072:
	v_lshrrev_b32_e32 v2, 24, v2
	s_delay_alu instid0(VALU_DEP_1)
	v_and_or_b32 v7, 0x80, v2, v3
.LBB150_1073:
	s_or_b32 exec_lo, exec_lo, s31
.LBB150_1074:
	s_delay_alu instid0(SALU_CYCLE_1)
	s_or_b32 exec_lo, exec_lo, s29
	s_mov_b32 s29, 0
	global_store_b8 v[4:5], v7, off
.LBB150_1075:
	s_and_b32 vcc_lo, exec_lo, s29
	s_cbranch_vccz .LBB150_1085
; %bb.1076:
	v_cvt_f32_f64_e32 v2, v[0:1]
	s_mov_b32 s29, exec_lo
                                        ; implicit-def: $vgpr3
	s_delay_alu instid0(VALU_DEP_1) | instskip(NEXT) | instid1(VALU_DEP_1)
	v_and_b32_e32 v7, 0x7fffffff, v2
	v_cmpx_gt_u32_e32 0x43f00000, v7
	s_xor_b32 s29, exec_lo, s29
	s_cbranch_execz .LBB150_1082
; %bb.1077:
	s_mov_b32 s30, exec_lo
                                        ; implicit-def: $vgpr3
	v_cmpx_lt_u32_e32 0x3c7fffff, v7
	s_xor_b32 s30, exec_lo, s30
; %bb.1078:
	v_bfe_u32 v3, v2, 20, 1
	s_delay_alu instid0(VALU_DEP_1) | instskip(NEXT) | instid1(VALU_DEP_1)
	v_add3_u32 v3, v2, v3, 0x407ffff
	v_and_b32_e32 v7, 0xff00000, v3
	v_lshrrev_b32_e32 v3, 20, v3
	s_delay_alu instid0(VALU_DEP_2) | instskip(NEXT) | instid1(VALU_DEP_2)
	v_cmp_ne_u32_e32 vcc_lo, 0x7f00000, v7
	v_cndmask_b32_e32 v3, 0x7e, v3, vcc_lo
; %bb.1079:
	s_and_not1_saveexec_b32 s30, s30
; %bb.1080:
	v_add_f32_e64 v3, 0x46800000, |v2|
; %bb.1081:
	s_or_b32 exec_lo, exec_lo, s30
                                        ; implicit-def: $vgpr7
.LBB150_1082:
	s_and_not1_saveexec_b32 s29, s29
; %bb.1083:
	v_mov_b32_e32 v3, 0x7f
	v_cmp_lt_u32_e32 vcc_lo, 0x7f800000, v7
	s_delay_alu instid0(VALU_DEP_2)
	v_cndmask_b32_e32 v3, 0x7e, v3, vcc_lo
; %bb.1084:
	s_or_b32 exec_lo, exec_lo, s29
	v_lshrrev_b32_e32 v2, 24, v2
	s_delay_alu instid0(VALU_DEP_1)
	v_and_or_b32 v2, 0x80, v2, v3
	global_store_b8 v[4:5], v2, off
.LBB150_1085:
	s_mov_b32 s29, 0
.LBB150_1086:
	s_delay_alu instid0(SALU_CYCLE_1)
	s_and_not1_b32 vcc_lo, exec_lo, s29
	s_cbranch_vccnz .LBB150_1096
; %bb.1087:
	s_delay_alu instid0(VALU_DEP_4) | instskip(SKIP_1) | instid1(VALU_DEP_1)
	v_cvt_f32_f64_e32 v2, v[0:1]
	s_mov_b32 s29, exec_lo
                                        ; implicit-def: $vgpr3
	v_and_b32_e32 v7, 0x7fffffff, v2
	s_delay_alu instid0(VALU_DEP_1)
	v_cmpx_gt_u32_e32 0x47800000, v7
	s_xor_b32 s29, exec_lo, s29
	s_cbranch_execz .LBB150_1093
; %bb.1088:
	s_mov_b32 s30, exec_lo
                                        ; implicit-def: $vgpr3
	v_cmpx_lt_u32_e32 0x387fffff, v7
	s_xor_b32 s30, exec_lo, s30
; %bb.1089:
	v_bfe_u32 v3, v2, 21, 1
	s_delay_alu instid0(VALU_DEP_1) | instskip(NEXT) | instid1(VALU_DEP_1)
	v_add3_u32 v3, v2, v3, 0x80fffff
	v_lshrrev_b32_e32 v3, 21, v3
; %bb.1090:
	s_and_not1_saveexec_b32 s30, s30
; %bb.1091:
	v_add_f32_e64 v3, 0x43000000, |v2|
; %bb.1092:
	s_or_b32 exec_lo, exec_lo, s30
                                        ; implicit-def: $vgpr7
.LBB150_1093:
	s_and_not1_saveexec_b32 s29, s29
; %bb.1094:
	v_mov_b32_e32 v3, 0x7f
	v_cmp_lt_u32_e32 vcc_lo, 0x7f800000, v7
	s_delay_alu instid0(VALU_DEP_2)
	v_cndmask_b32_e32 v3, 0x7c, v3, vcc_lo
; %bb.1095:
	s_or_b32 exec_lo, exec_lo, s29
	v_lshrrev_b32_e32 v2, 24, v2
	s_delay_alu instid0(VALU_DEP_1)
	v_and_or_b32 v2, 0x80, v2, v3
	global_store_b8 v[4:5], v2, off
.LBB150_1096:
	s_mov_b32 s30, 0
	s_mov_b32 s29, -1
.LBB150_1097:
	s_and_not1_b32 vcc_lo, exec_lo, s30
	s_cbranch_vccnz .LBB150_1105
; %bb.1098:
	v_cmp_lt_i16_e32 vcc_lo, 14, v6
	s_mov_b32 s30, -1
	s_cbranch_vccz .LBB150_1102
; %bb.1099:
	v_cmp_eq_u16_e32 vcc_lo, 15, v6
	s_mov_b32 s0, -1
	s_cbranch_vccz .LBB150_1101
; %bb.1100:
	v_cvt_f32_f64_e32 v2, v[0:1]
	s_mov_b32 s29, -1
	s_mov_b32 s0, 0
	s_delay_alu instid0(VALU_DEP_1) | instskip(SKIP_1) | instid1(VALU_DEP_2)
	v_bfe_u32 v3, v2, 16, 1
	v_cmp_o_f32_e32 vcc_lo, v2, v2
	v_add3_u32 v3, v2, v3, 0x7fff
	s_delay_alu instid0(VALU_DEP_1) | instskip(NEXT) | instid1(VALU_DEP_1)
	v_lshrrev_b32_e32 v3, 16, v3
	v_cndmask_b32_e32 v2, 0x7fc0, v3, vcc_lo
	global_store_b16 v[4:5], v2, off
.LBB150_1101:
	s_mov_b32 s30, 0
.LBB150_1102:
	s_delay_alu instid0(SALU_CYCLE_1)
	s_and_b32 vcc_lo, exec_lo, s30
	s_cbranch_vccz .LBB150_1105
; %bb.1103:
	v_cmp_eq_u16_e32 vcc_lo, 11, v6
	s_mov_b32 s0, -1
	s_cbranch_vccz .LBB150_1105
; %bb.1104:
	v_cmp_neq_f64_e32 vcc_lo, 0, v[0:1]
	s_mov_b32 s29, -1
	s_mov_b32 s0, 0
	v_cndmask_b32_e64 v2, 0, 1, vcc_lo
	global_store_b8 v[4:5], v2, off
.LBB150_1105:
	s_mov_b32 s30, 0
.LBB150_1106:
	s_delay_alu instid0(SALU_CYCLE_1)
	s_and_b32 vcc_lo, exec_lo, s30
	s_cbranch_vccz .LBB150_1145
; %bb.1107:
	v_cmp_gt_i16_e32 vcc_lo, 5, v6
	s_mov_b32 s29, -1
	s_cbranch_vccnz .LBB150_1128
; %bb.1108:
	v_cmp_gt_i16_e32 vcc_lo, 8, v6
	s_cbranch_vccnz .LBB150_1118
; %bb.1109:
	v_cmp_gt_i16_e32 vcc_lo, 9, v6
	s_cbranch_vccnz .LBB150_1115
; %bb.1110:
	v_cmp_lt_i16_e32 vcc_lo, 9, v6
	s_cbranch_vccz .LBB150_1112
; %bb.1111:
	v_mov_b32_e32 v2, 0
	s_mov_b32 s29, 0
	s_delay_alu instid0(VALU_DEP_1)
	v_mov_b32_e32 v3, v2
	global_store_b128 v[4:5], v[0:3], off
.LBB150_1112:
	s_and_not1_b32 vcc_lo, exec_lo, s29
	s_cbranch_vccnz .LBB150_1114
; %bb.1113:
	v_cvt_f32_f64_e32 v2, v[0:1]
	v_mov_b32_e32 v3, 0
	global_store_b64 v[4:5], v[2:3], off
.LBB150_1114:
	s_mov_b32 s29, 0
.LBB150_1115:
	s_delay_alu instid0(SALU_CYCLE_1)
	s_and_not1_b32 vcc_lo, exec_lo, s29
	s_cbranch_vccnz .LBB150_1117
; %bb.1116:
	s_delay_alu instid0(VALU_DEP_4) | instskip(NEXT) | instid1(VALU_DEP_1)
	v_cvt_f32_f64_e32 v2, v[0:1]
	v_cvt_f16_f32_e32 v2, v2
	s_delay_alu instid0(VALU_DEP_1)
	v_and_b32_e32 v2, 0xffff, v2
	global_store_b32 v[4:5], v2, off
.LBB150_1117:
	s_mov_b32 s29, 0
.LBB150_1118:
	s_delay_alu instid0(SALU_CYCLE_1)
	s_and_not1_b32 vcc_lo, exec_lo, s29
	s_cbranch_vccnz .LBB150_1127
; %bb.1119:
	v_cmp_gt_i16_e32 vcc_lo, 6, v6
	s_mov_b32 s29, -1
	s_cbranch_vccnz .LBB150_1125
; %bb.1120:
	v_cmp_lt_i16_e32 vcc_lo, 6, v6
	s_cbranch_vccz .LBB150_1122
; %bb.1121:
	s_mov_b32 s29, 0
	global_store_b64 v[4:5], v[0:1], off
.LBB150_1122:
	s_and_not1_b32 vcc_lo, exec_lo, s29
	s_cbranch_vccnz .LBB150_1124
; %bb.1123:
	v_cvt_f32_f64_e32 v2, v[0:1]
	global_store_b32 v[4:5], v2, off
.LBB150_1124:
	s_mov_b32 s29, 0
.LBB150_1125:
	s_delay_alu instid0(SALU_CYCLE_1)
	s_and_not1_b32 vcc_lo, exec_lo, s29
	s_cbranch_vccnz .LBB150_1127
; %bb.1126:
	s_delay_alu instid0(VALU_DEP_4) | instskip(NEXT) | instid1(VALU_DEP_1)
	v_cvt_f32_f64_e32 v2, v[0:1]
	v_cvt_f16_f32_e32 v2, v2
	global_store_b16 v[4:5], v2, off
.LBB150_1127:
	s_mov_b32 s29, 0
.LBB150_1128:
	s_delay_alu instid0(SALU_CYCLE_1)
	s_and_not1_b32 vcc_lo, exec_lo, s29
	s_cbranch_vccnz .LBB150_1144
; %bb.1129:
	v_cmp_gt_i16_e32 vcc_lo, 2, v6
	s_mov_b32 s29, -1
	s_cbranch_vccnz .LBB150_1139
; %bb.1130:
	v_cmp_gt_i16_e32 vcc_lo, 3, v6
	s_cbranch_vccnz .LBB150_1136
; %bb.1131:
	v_cmp_lt_i16_e32 vcc_lo, 3, v6
	s_cbranch_vccz .LBB150_1133
; %bb.1132:
	v_trunc_f64_e32 v[2:3], v[0:1]
	s_mov_b32 s29, 0
	s_delay_alu instid0(VALU_DEP_1) | instskip(NEXT) | instid1(VALU_DEP_1)
	v_ldexp_f64 v[7:8], v[2:3], 0xffffffe0
	v_floor_f64_e32 v[7:8], v[7:8]
	s_delay_alu instid0(VALU_DEP_1) | instskip(SKIP_1) | instid1(VALU_DEP_2)
	v_fma_f64 v[2:3], 0xc1f00000, v[7:8], v[2:3]
	v_cvt_i32_f64_e32 v8, v[7:8]
	v_cvt_u32_f64_e32 v7, v[2:3]
	global_store_b64 v[4:5], v[7:8], off
.LBB150_1133:
	s_and_not1_b32 vcc_lo, exec_lo, s29
	s_cbranch_vccnz .LBB150_1135
; %bb.1134:
	v_cvt_i32_f64_e32 v2, v[0:1]
	global_store_b32 v[4:5], v2, off
.LBB150_1135:
	s_mov_b32 s29, 0
.LBB150_1136:
	s_delay_alu instid0(SALU_CYCLE_1)
	s_and_not1_b32 vcc_lo, exec_lo, s29
	s_cbranch_vccnz .LBB150_1138
; %bb.1137:
	s_delay_alu instid0(VALU_DEP_4)
	v_cvt_i32_f64_e32 v2, v[0:1]
	global_store_b16 v[4:5], v2, off
.LBB150_1138:
	s_mov_b32 s29, 0
.LBB150_1139:
	s_delay_alu instid0(SALU_CYCLE_1)
	s_and_not1_b32 vcc_lo, exec_lo, s29
	s_cbranch_vccnz .LBB150_1144
; %bb.1140:
	v_cmp_lt_i16_e32 vcc_lo, 0, v6
	s_mov_b32 s29, -1
	s_cbranch_vccz .LBB150_1142
; %bb.1141:
	s_delay_alu instid0(VALU_DEP_4)
	v_cvt_i32_f64_e32 v2, v[0:1]
	s_mov_b32 s29, 0
	global_store_b8 v[4:5], v2, off
.LBB150_1142:
	s_and_not1_b32 vcc_lo, exec_lo, s29
	s_cbranch_vccnz .LBB150_1144
; %bb.1143:
	s_delay_alu instid0(VALU_DEP_4) | instskip(NEXT) | instid1(VALU_DEP_1)
	v_trunc_f64_e32 v[0:1], v[0:1]
	v_ldexp_f64 v[2:3], v[0:1], 0xffffffe0
	s_delay_alu instid0(VALU_DEP_1) | instskip(NEXT) | instid1(VALU_DEP_1)
	v_floor_f64_e32 v[2:3], v[2:3]
	v_fma_f64 v[0:1], 0xc1f00000, v[2:3], v[0:1]
	s_delay_alu instid0(VALU_DEP_1)
	v_cvt_u32_f64_e32 v0, v[0:1]
	global_store_b8 v[4:5], v0, off
.LBB150_1144:
	s_mov_b32 s29, -1
.LBB150_1145:
	s_delay_alu instid0(SALU_CYCLE_1)
	s_and_not1_b32 vcc_lo, exec_lo, s29
	s_cbranch_vccnz .LBB150_1147
; %bb.1146:
	v_add_nc_u32_e32 v16, 0x80, v16
	s_mov_b32 s31, -1
	s_branch .LBB150_1149
.LBB150_1147:
	s_mov_b32 s31, 0
.LBB150_1148:
                                        ; implicit-def: $vgpr16
.LBB150_1149:
	s_and_not1_b32 s29, s24, exec_lo
	s_and_b32 s0, s0, exec_lo
	s_and_b32 s1, s1, exec_lo
	s_or_b32 s29, s29, s0
	s_and_not1_b32 s0, s25, exec_lo
	s_and_not1_b32 s33, s23, exec_lo
	s_and_b32 s28, s28, exec_lo
	s_or_b32 s30, s0, s1
	s_or_b32 s28, s33, s28
	s_or_not1_b32 s33, s31, exec_lo
.LBB150_1150:
	s_or_b32 exec_lo, exec_lo, s27
	s_mov_b32 s1, 0
	s_mov_b32 s31, 0
	;; [unrolled: 1-line block ×3, first 2 shown]
                                        ; implicit-def: $vgpr4
                                        ; implicit-def: $vgpr0_vgpr1
                                        ; implicit-def: $vgpr2_vgpr3
	s_and_saveexec_b32 s27, s33
	s_cbranch_execz .LBB150_1233
; %bb.1151:
	v_cmp_gt_i32_e32 vcc_lo, s19, v16
	s_mov_b32 s33, s28
	s_mov_b32 s34, 0
                                        ; implicit-def: $vgpr4
                                        ; implicit-def: $vgpr0_vgpr1
                                        ; implicit-def: $vgpr2_vgpr3
	s_and_saveexec_b32 s19, vcc_lo
	s_cbranch_execz .LBB150_1232
; %bb.1152:
	s_waitcnt vmcnt(0)
	v_mul_lo_u32 v0, v16, s9
	v_and_b32_e64 v4, 0xff, s16
	s_delay_alu instid0(VALU_DEP_1) | instskip(NEXT) | instid1(VALU_DEP_3)
	v_cmp_gt_i16_e32 vcc_lo, 11, v4
	v_ashrrev_i32_e32 v1, 31, v0
	v_add_co_u32 v0, s0, s6, v0
	s_delay_alu instid0(VALU_DEP_1)
	v_add_co_ci_u32_e64 v1, s0, s7, v1, s0
	s_cbranch_vccnz .LBB150_1159
; %bb.1153:
	v_cmp_lt_i16_e32 vcc_lo, 25, v4
	s_mov_b32 s33, 0
	s_cbranch_vccz .LBB150_1160
; %bb.1154:
	v_cmp_lt_i16_e32 vcc_lo, 28, v4
	s_cbranch_vccz .LBB150_1161
; %bb.1155:
	v_cmp_lt_i16_e32 vcc_lo, 43, v4
	;; [unrolled: 3-line block ×3, first 2 shown]
	s_cbranch_vccz .LBB150_1163
; %bb.1157:
	v_cmp_eq_u16_e32 vcc_lo, 46, v4
	s_cbranch_vccz .LBB150_1166
; %bb.1158:
	global_load_b32 v2, v[0:1], off
	s_mov_b32 s0, -1
	s_waitcnt vmcnt(0)
	v_lshlrev_b32_e32 v2, 16, v2
	s_delay_alu instid0(VALU_DEP_1)
	v_cvt_f64_f32_e32 v[2:3], v2
	s_branch .LBB150_1168
.LBB150_1159:
	s_mov_b32 s1, -1
	s_mov_b32 s0, 0
	s_mov_b32 s33, 0
	s_mov_b32 s31, s28
                                        ; implicit-def: $vgpr2_vgpr3
	s_branch .LBB150_1231
.LBB150_1160:
	s_mov_b32 s1, -1
	s_mov_b32 s0, 0
	s_mov_b32 s31, s28
                                        ; implicit-def: $vgpr2_vgpr3
	s_branch .LBB150_1199
.LBB150_1161:
	s_mov_b32 s1, -1
	s_mov_b32 s0, 0
	s_mov_b32 s31, s28
                                        ; implicit-def: $vgpr2_vgpr3
	s_branch .LBB150_1178
.LBB150_1162:
	s_mov_b32 s1, -1
	s_mov_b32 s0, 0
	s_mov_b32 s31, s28
                                        ; implicit-def: $vgpr2_vgpr3
	s_branch .LBB150_1173
.LBB150_1163:
	s_mov_b32 s1, -1
	s_mov_b32 s0, 0
	s_mov_b32 s31, s28
	s_branch .LBB150_1167
.LBB150_1164:
	s_or_saveexec_b32 s31, s31
                                        ; implicit-def: $sgpr33
	s_delay_alu instid0(SALU_CYCLE_1)
	s_xor_b32 exec_lo, exec_lo, s31
	s_cbranch_execz .LBB150_1058
.LBB150_1165:
	v_add_f32_e64 v3, 0x46000000, |v2|
	s_and_not1_b32 s30, s30, exec_lo
	s_mov_b32 s33, 0
	s_delay_alu instid0(VALU_DEP_1) | instskip(NEXT) | instid1(VALU_DEP_1)
	v_and_b32_e32 v3, 0xff, v3
	v_cmp_ne_u32_e32 vcc_lo, 0, v3
	s_and_b32 s34, vcc_lo, exec_lo
	s_delay_alu instid0(SALU_CYCLE_1)
	s_or_b32 s30, s30, s34
	s_or_b32 exec_lo, exec_lo, s31
	v_mov_b32_e32 v7, s33
	s_and_saveexec_b32 s31, s30
	s_cbranch_execnz .LBB150_1059
	s_branch .LBB150_1060
.LBB150_1166:
	s_mov_b32 s31, -1
	s_mov_b32 s0, 0
.LBB150_1167:
                                        ; implicit-def: $vgpr2_vgpr3
.LBB150_1168:
	s_and_b32 vcc_lo, exec_lo, s1
	s_cbranch_vccz .LBB150_1172
; %bb.1169:
	v_cmp_eq_u16_e32 vcc_lo, 44, v4
	s_cbranch_vccz .LBB150_1171
; %bb.1170:
	global_load_u8 v5, v[0:1], off
	s_mov_b32 s31, 0
	s_mov_b32 s0, -1
	s_waitcnt vmcnt(0)
	v_cmp_ne_u32_e32 vcc_lo, 0xff, v5
	v_lshlrev_b32_e32 v2, 23, v5
	s_delay_alu instid0(VALU_DEP_1) | instskip(NEXT) | instid1(VALU_DEP_1)
	v_cvt_f64_f32_e32 v[2:3], v2
	v_cndmask_b32_e32 v3, 0x7ff80000, v3, vcc_lo
	s_delay_alu instid0(VALU_DEP_2) | instskip(SKIP_1) | instid1(VALU_DEP_3)
	v_cndmask_b32_e32 v2, 0x20000000, v2, vcc_lo
	v_cmp_ne_u32_e32 vcc_lo, 0, v5
	v_cndmask_b32_e32 v3, 0x38000000, v3, vcc_lo
	s_delay_alu instid0(VALU_DEP_3)
	v_cndmask_b32_e32 v2, 0, v2, vcc_lo
	s_branch .LBB150_1172
.LBB150_1171:
	s_mov_b32 s31, -1
                                        ; implicit-def: $vgpr2_vgpr3
.LBB150_1172:
	s_mov_b32 s1, 0
.LBB150_1173:
	s_delay_alu instid0(SALU_CYCLE_1)
	s_and_b32 vcc_lo, exec_lo, s1
	s_cbranch_vccz .LBB150_1177
; %bb.1174:
	v_cmp_eq_u16_e32 vcc_lo, 29, v4
	s_cbranch_vccz .LBB150_1176
; %bb.1175:
	global_load_b64 v[2:3], v[0:1], off
	s_mov_b32 s31, 0
	s_mov_b32 s0, -1
	s_mov_b32 s1, 0
	s_waitcnt vmcnt(0)
	v_cvt_f64_u32_e32 v[5:6], v3
	v_cvt_f64_u32_e32 v[2:3], v2
	s_delay_alu instid0(VALU_DEP_2) | instskip(NEXT) | instid1(VALU_DEP_1)
	v_ldexp_f64 v[5:6], v[5:6], 32
	v_add_f64 v[2:3], v[5:6], v[2:3]
	s_branch .LBB150_1178
.LBB150_1176:
	s_mov_b32 s31, -1
                                        ; implicit-def: $vgpr2_vgpr3
.LBB150_1177:
	s_mov_b32 s1, 0
.LBB150_1178:
	s_delay_alu instid0(SALU_CYCLE_1)
	s_and_b32 vcc_lo, exec_lo, s1
	s_cbranch_vccz .LBB150_1198
; %bb.1179:
	v_cmp_gt_i16_e32 vcc_lo, 27, v4
	s_cbranch_vccnz .LBB150_1182
; %bb.1180:
	v_cmp_lt_i16_e32 vcc_lo, 27, v4
	s_cbranch_vccz .LBB150_1183
; %bb.1181:
	global_load_b32 v2, v[0:1], off
	s_mov_b32 s0, 0
	s_waitcnt vmcnt(0)
	v_cvt_f64_u32_e32 v[2:3], v2
	s_branch .LBB150_1184
.LBB150_1182:
	s_mov_b32 s0, -1
                                        ; implicit-def: $vgpr2_vgpr3
	s_branch .LBB150_1187
.LBB150_1183:
	s_mov_b32 s0, -1
                                        ; implicit-def: $vgpr2_vgpr3
.LBB150_1184:
	s_delay_alu instid0(SALU_CYCLE_1)
	s_and_not1_b32 vcc_lo, exec_lo, s0
	s_cbranch_vccnz .LBB150_1186
; %bb.1185:
	global_load_u16 v2, v[0:1], off
	s_waitcnt vmcnt(0)
	v_cvt_f64_u32_e32 v[2:3], v2
.LBB150_1186:
	s_mov_b32 s0, 0
.LBB150_1187:
	s_delay_alu instid0(SALU_CYCLE_1)
	s_and_not1_b32 vcc_lo, exec_lo, s0
	s_cbranch_vccnz .LBB150_1197
; %bb.1188:
	global_load_u8 v5, v[0:1], off
	s_mov_b32 s35, exec_lo
                                        ; implicit-def: $sgpr0_sgpr1
	s_waitcnt vmcnt(0)
	v_cmpx_lt_i16_e32 0x7f, v5
	s_xor_b32 s35, exec_lo, s35
	s_cbranch_execz .LBB150_1192
; %bb.1189:
	s_mov_b32 s36, -1
	s_mov_b32 s34, exec_lo
                                        ; implicit-def: $sgpr0_sgpr1
	v_cmpx_eq_u16_e32 0x80, v5
; %bb.1190:
	s_mov_b32 s1, 0x7ff80000
	s_brev_b32 s0, 4
	s_xor_b32 s36, exec_lo, -1
; %bb.1191:
	s_or_b32 exec_lo, exec_lo, s34
	s_delay_alu instid0(SALU_CYCLE_1)
	s_and_b32 s34, s36, exec_lo
.LBB150_1192:
	s_or_saveexec_b32 s35, s35
	v_dual_mov_b32 v3, s1 :: v_dual_mov_b32 v2, s0
	s_xor_b32 exec_lo, exec_lo, s35
; %bb.1193:
	v_cmp_ne_u16_e32 vcc_lo, 0, v5
	v_mov_b32_e32 v2, 0
	v_mov_b32_e32 v3, 0
	s_and_not1_b32 s0, s34, exec_lo
	s_and_b32 s1, vcc_lo, exec_lo
	s_delay_alu instid0(SALU_CYCLE_1)
	s_or_b32 s34, s0, s1
; %bb.1194:
	s_or_b32 exec_lo, exec_lo, s35
	s_and_saveexec_b32 s0, s34
	s_cbranch_execz .LBB150_1196
; %bb.1195:
	v_and_b32_e32 v2, 0xffff, v5
	v_lshlrev_b32_e32 v5, 24, v5
	s_delay_alu instid0(VALU_DEP_2) | instskip(NEXT) | instid1(VALU_DEP_2)
	v_and_b32_e32 v3, 7, v2
	v_and_b32_e32 v5, 0x80000000, v5
	s_delay_alu instid0(VALU_DEP_2) | instskip(NEXT) | instid1(VALU_DEP_1)
	v_clz_i32_u32_e32 v6, v3
	v_min_u32_e32 v6, 32, v6
	s_delay_alu instid0(VALU_DEP_1) | instskip(SKIP_1) | instid1(VALU_DEP_2)
	v_subrev_nc_u32_e32 v7, 28, v6
	v_sub_nc_u32_e32 v6, 29, v6
	v_lshlrev_b32_e32 v7, v7, v2
	v_bfe_u32 v2, v2, 3, 4
	s_delay_alu instid0(VALU_DEP_1) | instskip(NEXT) | instid1(VALU_DEP_3)
	v_cmp_eq_u32_e32 vcc_lo, 0, v2
	v_dual_cndmask_b32 v2, v2, v6 :: v_dual_and_b32 v7, 7, v7
	s_delay_alu instid0(VALU_DEP_1) | instskip(NEXT) | instid1(VALU_DEP_2)
	v_cndmask_b32_e32 v3, v3, v7, vcc_lo
	v_lshl_add_u32 v2, v2, 23, 0x3b800000
	s_delay_alu instid0(VALU_DEP_2) | instskip(NEXT) | instid1(VALU_DEP_1)
	v_lshlrev_b32_e32 v3, 20, v3
	v_or3_b32 v2, v5, v2, v3
	s_delay_alu instid0(VALU_DEP_1)
	v_cvt_f64_f32_e32 v[2:3], v2
.LBB150_1196:
	s_or_b32 exec_lo, exec_lo, s0
.LBB150_1197:
	s_mov_b32 s0, -1
.LBB150_1198:
	s_mov_b32 s1, 0
.LBB150_1199:
	s_delay_alu instid0(SALU_CYCLE_1)
	s_and_b32 vcc_lo, exec_lo, s1
	s_cbranch_vccz .LBB150_1230
; %bb.1200:
	v_cmp_lt_i16_e32 vcc_lo, 22, v4
	s_cbranch_vccz .LBB150_1212
; %bb.1201:
	v_cmp_gt_i16_e32 vcc_lo, 24, v4
	s_cbranch_vccnz .LBB150_1213
; %bb.1202:
	v_cmp_lt_i16_e32 vcc_lo, 24, v4
	s_cbranch_vccz .LBB150_1214
; %bb.1203:
	global_load_u8 v5, v[0:1], off
	s_mov_b32 s34, exec_lo
                                        ; implicit-def: $sgpr0_sgpr1
	s_waitcnt vmcnt(0)
	v_cmpx_lt_i16_e32 0x7f, v5
	s_xor_b32 s34, exec_lo, s34
	s_cbranch_execz .LBB150_1207
; %bb.1204:
	s_mov_b32 s35, -1
	s_mov_b32 s33, exec_lo
                                        ; implicit-def: $sgpr0_sgpr1
	v_cmpx_eq_u16_e32 0x80, v5
; %bb.1205:
	s_mov_b32 s1, 0x7ff80000
	s_brev_b32 s0, 4
	s_xor_b32 s35, exec_lo, -1
; %bb.1206:
	s_or_b32 exec_lo, exec_lo, s33
	s_delay_alu instid0(SALU_CYCLE_1)
	s_and_b32 s33, s35, exec_lo
.LBB150_1207:
	s_or_saveexec_b32 s34, s34
	v_dual_mov_b32 v3, s1 :: v_dual_mov_b32 v2, s0
	s_xor_b32 exec_lo, exec_lo, s34
; %bb.1208:
	v_cmp_ne_u16_e32 vcc_lo, 0, v5
	v_mov_b32_e32 v2, 0
	v_mov_b32_e32 v3, 0
	s_and_not1_b32 s0, s33, exec_lo
	s_and_b32 s1, vcc_lo, exec_lo
	s_delay_alu instid0(SALU_CYCLE_1)
	s_or_b32 s33, s0, s1
; %bb.1209:
	s_or_b32 exec_lo, exec_lo, s34
	s_and_saveexec_b32 s0, s33
	s_cbranch_execz .LBB150_1211
; %bb.1210:
	v_and_b32_e32 v2, 0xffff, v5
	v_lshlrev_b32_e32 v5, 24, v5
	s_delay_alu instid0(VALU_DEP_2) | instskip(NEXT) | instid1(VALU_DEP_2)
	v_and_b32_e32 v3, 3, v2
	v_and_b32_e32 v5, 0x80000000, v5
	s_delay_alu instid0(VALU_DEP_2) | instskip(NEXT) | instid1(VALU_DEP_1)
	v_clz_i32_u32_e32 v6, v3
	v_min_u32_e32 v6, 32, v6
	s_delay_alu instid0(VALU_DEP_1) | instskip(SKIP_1) | instid1(VALU_DEP_2)
	v_subrev_nc_u32_e32 v7, 29, v6
	v_sub_nc_u32_e32 v6, 30, v6
	v_lshlrev_b32_e32 v7, v7, v2
	v_bfe_u32 v2, v2, 2, 5
	s_delay_alu instid0(VALU_DEP_1) | instskip(NEXT) | instid1(VALU_DEP_3)
	v_cmp_eq_u32_e32 vcc_lo, 0, v2
	v_dual_cndmask_b32 v2, v2, v6 :: v_dual_and_b32 v7, 3, v7
	s_delay_alu instid0(VALU_DEP_1) | instskip(NEXT) | instid1(VALU_DEP_2)
	v_cndmask_b32_e32 v3, v3, v7, vcc_lo
	v_lshl_add_u32 v2, v2, 23, 0x37800000
	s_delay_alu instid0(VALU_DEP_2) | instskip(NEXT) | instid1(VALU_DEP_1)
	v_lshlrev_b32_e32 v3, 21, v3
	v_or3_b32 v2, v5, v2, v3
	s_delay_alu instid0(VALU_DEP_1)
	v_cvt_f64_f32_e32 v[2:3], v2
.LBB150_1211:
	s_or_b32 exec_lo, exec_lo, s0
	s_mov_b32 s0, 0
	s_branch .LBB150_1215
.LBB150_1212:
	s_mov_b32 s1, -1
                                        ; implicit-def: $vgpr2_vgpr3
	s_branch .LBB150_1221
.LBB150_1213:
	s_mov_b32 s0, -1
                                        ; implicit-def: $vgpr2_vgpr3
	s_branch .LBB150_1218
.LBB150_1214:
	s_mov_b32 s0, -1
                                        ; implicit-def: $vgpr2_vgpr3
.LBB150_1215:
	s_delay_alu instid0(SALU_CYCLE_1)
	s_and_b32 vcc_lo, exec_lo, s0
	s_cbranch_vccz .LBB150_1217
; %bb.1216:
	global_load_u8 v2, v[0:1], off
	s_waitcnt vmcnt(0)
	v_lshlrev_b32_e32 v2, 24, v2
	s_delay_alu instid0(VALU_DEP_1) | instskip(NEXT) | instid1(VALU_DEP_1)
	v_and_b32_e32 v3, 0x7f000000, v2
	v_clz_i32_u32_e32 v5, v3
	v_add_nc_u32_e32 v7, 0x1000000, v3
	v_cmp_ne_u32_e32 vcc_lo, 0, v3
	s_delay_alu instid0(VALU_DEP_3) | instskip(NEXT) | instid1(VALU_DEP_1)
	v_min_u32_e32 v5, 32, v5
	v_sub_nc_u32_e64 v5, v5, 4 clamp
	s_delay_alu instid0(VALU_DEP_1) | instskip(SKIP_1) | instid1(VALU_DEP_2)
	v_lshlrev_b32_e32 v6, v5, v3
	v_lshlrev_b32_e32 v5, 23, v5
	v_lshrrev_b32_e32 v6, 4, v6
	s_delay_alu instid0(VALU_DEP_1) | instskip(SKIP_1) | instid1(VALU_DEP_2)
	v_sub_nc_u32_e32 v5, v6, v5
	v_ashrrev_i32_e32 v6, 8, v7
	v_add_nc_u32_e32 v5, 0x3c000000, v5
	s_delay_alu instid0(VALU_DEP_1) | instskip(NEXT) | instid1(VALU_DEP_1)
	v_and_or_b32 v5, 0x7f800000, v6, v5
	v_cndmask_b32_e32 v3, 0, v5, vcc_lo
	s_delay_alu instid0(VALU_DEP_1) | instskip(NEXT) | instid1(VALU_DEP_1)
	v_and_or_b32 v2, 0x80000000, v2, v3
	v_cvt_f64_f32_e32 v[2:3], v2
.LBB150_1217:
	s_mov_b32 s0, 0
.LBB150_1218:
	s_delay_alu instid0(SALU_CYCLE_1)
	s_and_not1_b32 vcc_lo, exec_lo, s0
	s_cbranch_vccnz .LBB150_1220
; %bb.1219:
	global_load_u8 v2, v[0:1], off
	s_waitcnt vmcnt(0)
	v_lshlrev_b32_e32 v3, 25, v2
	v_lshlrev_b16 v2, 8, v2
	s_delay_alu instid0(VALU_DEP_2) | instskip(NEXT) | instid1(VALU_DEP_2)
	v_lshrrev_b32_e32 v5, 4, v3
	v_and_or_b32 v6, 0x7f00, v2, 0.5
	v_cmp_gt_u32_e32 vcc_lo, 0x8000000, v3
	v_bfe_i32 v2, v2, 0, 16
	s_delay_alu instid0(VALU_DEP_4) | instskip(NEXT) | instid1(VALU_DEP_1)
	v_or_b32_e32 v5, 0x70000000, v5
	v_dual_add_f32 v6, -0.5, v6 :: v_dual_mul_f32 v5, 0x7800000, v5
	s_delay_alu instid0(VALU_DEP_1) | instskip(NEXT) | instid1(VALU_DEP_1)
	v_cndmask_b32_e32 v3, v5, v6, vcc_lo
	v_and_or_b32 v2, 0x80000000, v2, v3
	s_delay_alu instid0(VALU_DEP_1)
	v_cvt_f64_f32_e32 v[2:3], v2
.LBB150_1220:
	s_mov_b32 s1, 0
	s_mov_b32 s0, -1
.LBB150_1221:
	s_and_not1_b32 vcc_lo, exec_lo, s1
	s_mov_b32 s33, 0
	s_cbranch_vccnz .LBB150_1230
; %bb.1222:
	v_cmp_lt_i16_e32 vcc_lo, 14, v4
	s_cbranch_vccz .LBB150_1225
; %bb.1223:
	v_cmp_eq_u16_e32 vcc_lo, 15, v4
	s_cbranch_vccz .LBB150_1226
; %bb.1224:
	global_load_u16 v2, v[0:1], off
	s_mov_b32 s31, 0
	s_mov_b32 s0, -1
	s_waitcnt vmcnt(0)
	v_lshlrev_b32_e32 v2, 16, v2
	s_delay_alu instid0(VALU_DEP_1)
	v_cvt_f64_f32_e32 v[2:3], v2
	s_branch .LBB150_1227
.LBB150_1225:
	s_mov_b32 s1, -1
                                        ; implicit-def: $vgpr2_vgpr3
	s_branch .LBB150_1228
.LBB150_1226:
	s_mov_b32 s31, -1
                                        ; implicit-def: $vgpr2_vgpr3
.LBB150_1227:
	s_mov_b32 s1, 0
.LBB150_1228:
	s_delay_alu instid0(SALU_CYCLE_1)
	s_and_b32 vcc_lo, exec_lo, s1
	s_cbranch_vccz .LBB150_1230
; %bb.1229:
	v_cmp_ne_u16_e32 vcc_lo, 11, v4
	s_and_not1_b32 s1, s31, exec_lo
	s_mov_b32 s33, -1
                                        ; implicit-def: $vgpr2_vgpr3
	s_and_b32 s31, vcc_lo, exec_lo
	s_delay_alu instid0(SALU_CYCLE_1)
	s_or_b32 s31, s1, s31
.LBB150_1230:
	s_mov_b32 s1, 0
.LBB150_1231:
	s_and_not1_b32 s35, s28, exec_lo
	s_and_b32 s31, s31, exec_lo
	s_and_b32 s0, s0, exec_lo
	;; [unrolled: 1-line block ×4, first 2 shown]
	s_or_b32 s33, s35, s31
.LBB150_1232:
	s_or_b32 exec_lo, exec_lo, s19
	s_delay_alu instid0(SALU_CYCLE_1)
	s_and_not1_b32 s19, s28, exec_lo
	s_and_b32 s28, s33, exec_lo
	s_and_b32 s0, s0, exec_lo
	s_and_b32 s31, s34, exec_lo
	s_and_b32 s1, s1, exec_lo
	s_or_b32 s28, s19, s28
.LBB150_1233:
	s_or_b32 exec_lo, exec_lo, s27
	s_delay_alu instid0(SALU_CYCLE_1)
	s_and_not1_b32 s19, s24, exec_lo
	s_and_b32 s24, s29, exec_lo
	s_and_not1_b32 s25, s25, exec_lo
	s_and_b32 s27, s30, exec_lo
	s_or_b32 s24, s19, s24
	s_and_not1_b32 s19, s23, exec_lo
	s_and_b32 s23, s28, exec_lo
	s_or_b32 s25, s25, s27
	s_and_b32 s0, s0, exec_lo
	s_and_b32 s27, s31, exec_lo
	;; [unrolled: 1-line block ×3, first 2 shown]
	s_or_b32 s23, s19, s23
.LBB150_1234:
	s_or_b32 exec_lo, exec_lo, s26
	s_delay_alu instid0(SALU_CYCLE_1)
	s_and_not1_b32 s18, s18, exec_lo
	s_and_b32 s19, s24, exec_lo
	s_and_not1_b32 s20, s20, exec_lo
	s_and_b32 s24, s25, exec_lo
	s_or_b32 s18, s18, s19
	s_and_not1_b32 s19, s21, exec_lo
	s_and_b32 s21, s23, exec_lo
	s_or_b32 s20, s20, s24
	s_and_b32 s0, s0, exec_lo
	s_and_b32 s24, s27, exec_lo
	;; [unrolled: 1-line block ×3, first 2 shown]
	s_or_b32 s21, s19, s21
.LBB150_1235:
	s_or_b32 exec_lo, exec_lo, s22
	s_mov_b32 s1, 0
	s_and_saveexec_b32 s19, s21
	s_cbranch_execnz .LBB150_1247
; %bb.1236:
	s_or_b32 exec_lo, exec_lo, s19
	s_and_saveexec_b32 s19, s23
	s_delay_alu instid0(SALU_CYCLE_1)
	s_xor_b32 s19, exec_lo, s19
	s_cbranch_execz .LBB150_1238
.LBB150_1237:
	s_waitcnt vmcnt(0)
	global_load_u8 v2, v[0:1], off
	s_or_b32 s0, s0, exec_lo
	s_waitcnt vmcnt(0)
	v_cmp_ne_u16_e32 vcc_lo, 0, v2
	v_mov_b32_e32 v2, 0
	v_cndmask_b32_e64 v3, 0, 0x3ff00000, vcc_lo
.LBB150_1238:
	s_or_b32 exec_lo, exec_lo, s19
	s_and_saveexec_b32 s19, s24
	s_cbranch_execz .LBB150_1286
; %bb.1239:
	s_waitcnt vmcnt(0)
	v_cmp_gt_i16_e32 vcc_lo, 5, v4
	s_cbranch_vccnz .LBB150_1244
; %bb.1240:
	v_cmp_gt_i16_e32 vcc_lo, 8, v4
	s_cbranch_vccnz .LBB150_1245
; %bb.1241:
	;; [unrolled: 3-line block ×3, first 2 shown]
	v_cmp_lt_i16_e32 vcc_lo, 9, v4
	s_cbranch_vccz .LBB150_1249
; %bb.1243:
	global_load_b64 v[2:3], v[0:1], off
	s_mov_b32 s21, 0
	s_branch .LBB150_1250
.LBB150_1244:
                                        ; implicit-def: $vgpr2_vgpr3
	s_branch .LBB150_1267
.LBB150_1245:
                                        ; implicit-def: $vgpr2_vgpr3
	s_branch .LBB150_1256
.LBB150_1246:
	s_mov_b32 s21, -1
                                        ; implicit-def: $vgpr2_vgpr3
	s_branch .LBB150_1253
.LBB150_1247:
	s_cbranch_execnz .LBB150_1298
; %bb.1248:
	s_mov_b32 s1, exec_lo
	s_and_not1_b32 s23, s23, exec_lo
                                        ; implicit-def: $vgpr2_vgpr3
	s_or_b32 exec_lo, exec_lo, s19
	s_and_saveexec_b32 s19, s23
	s_delay_alu instid0(SALU_CYCLE_1)
	s_xor_b32 s19, exec_lo, s19
	s_cbranch_execnz .LBB150_1237
	s_branch .LBB150_1238
.LBB150_1249:
	s_mov_b32 s21, -1
                                        ; implicit-def: $vgpr2_vgpr3
.LBB150_1250:
	s_delay_alu instid0(SALU_CYCLE_1)
	s_and_not1_b32 vcc_lo, exec_lo, s21
	s_cbranch_vccnz .LBB150_1252
; %bb.1251:
	global_load_b32 v2, v[0:1], off
	s_waitcnt vmcnt(0)
	v_cvt_f64_f32_e32 v[2:3], v2
.LBB150_1252:
	s_mov_b32 s21, 0
.LBB150_1253:
	s_delay_alu instid0(SALU_CYCLE_1)
	s_and_not1_b32 vcc_lo, exec_lo, s21
	s_cbranch_vccnz .LBB150_1255
; %bb.1254:
	global_load_b32 v2, v[0:1], off
	s_waitcnt vmcnt(0)
	v_cvt_f32_f16_e32 v2, v2
	s_delay_alu instid0(VALU_DEP_1)
	v_cvt_f64_f32_e32 v[2:3], v2
.LBB150_1255:
	s_cbranch_execnz .LBB150_1266
.LBB150_1256:
	v_cmp_gt_i16_e32 vcc_lo, 6, v4
	s_cbranch_vccnz .LBB150_1259
; %bb.1257:
	v_cmp_lt_i16_e32 vcc_lo, 6, v4
	s_cbranch_vccz .LBB150_1260
; %bb.1258:
	global_load_b64 v[2:3], v[0:1], off
	s_mov_b32 s21, 0
	s_branch .LBB150_1261
.LBB150_1259:
	s_mov_b32 s21, -1
                                        ; implicit-def: $vgpr2_vgpr3
	s_branch .LBB150_1264
.LBB150_1260:
	s_mov_b32 s21, -1
                                        ; implicit-def: $vgpr2_vgpr3
.LBB150_1261:
	s_delay_alu instid0(SALU_CYCLE_1)
	s_and_not1_b32 vcc_lo, exec_lo, s21
	s_cbranch_vccnz .LBB150_1263
; %bb.1262:
	global_load_b32 v2, v[0:1], off
	s_waitcnt vmcnt(0)
	v_cvt_f64_f32_e32 v[2:3], v2
.LBB150_1263:
	s_mov_b32 s21, 0
.LBB150_1264:
	s_delay_alu instid0(SALU_CYCLE_1)
	s_and_not1_b32 vcc_lo, exec_lo, s21
	s_cbranch_vccnz .LBB150_1266
; %bb.1265:
	global_load_u16 v2, v[0:1], off
	s_waitcnt vmcnt(0)
	v_cvt_f32_f16_e32 v2, v2
	s_delay_alu instid0(VALU_DEP_1)
	v_cvt_f64_f32_e32 v[2:3], v2
.LBB150_1266:
	s_cbranch_execnz .LBB150_1285
.LBB150_1267:
	v_cmp_gt_i16_e32 vcc_lo, 2, v4
	s_cbranch_vccnz .LBB150_1271
; %bb.1268:
	v_cmp_gt_i16_e32 vcc_lo, 3, v4
	s_cbranch_vccnz .LBB150_1272
; %bb.1269:
	v_cmp_lt_i16_e32 vcc_lo, 3, v4
	s_cbranch_vccz .LBB150_1273
; %bb.1270:
	global_load_b64 v[2:3], v[0:1], off
	s_mov_b32 s21, 0
	s_waitcnt vmcnt(0)
	v_cvt_f64_i32_e32 v[5:6], v3
	v_cvt_f64_u32_e32 v[2:3], v2
	s_delay_alu instid0(VALU_DEP_2) | instskip(NEXT) | instid1(VALU_DEP_1)
	v_ldexp_f64 v[5:6], v[5:6], 32
	v_add_f64 v[2:3], v[5:6], v[2:3]
	s_branch .LBB150_1274
.LBB150_1271:
                                        ; implicit-def: $vgpr2_vgpr3
	s_branch .LBB150_1280
.LBB150_1272:
	s_mov_b32 s21, -1
                                        ; implicit-def: $vgpr2_vgpr3
	s_branch .LBB150_1277
.LBB150_1273:
	s_mov_b32 s21, -1
                                        ; implicit-def: $vgpr2_vgpr3
.LBB150_1274:
	s_delay_alu instid0(SALU_CYCLE_1)
	s_and_not1_b32 vcc_lo, exec_lo, s21
	s_cbranch_vccnz .LBB150_1276
; %bb.1275:
	global_load_b32 v2, v[0:1], off
	s_waitcnt vmcnt(0)
	v_cvt_f64_i32_e32 v[2:3], v2
.LBB150_1276:
	s_mov_b32 s21, 0
.LBB150_1277:
	s_delay_alu instid0(SALU_CYCLE_1)
	s_and_not1_b32 vcc_lo, exec_lo, s21
	s_cbranch_vccnz .LBB150_1279
; %bb.1278:
	global_load_i16 v2, v[0:1], off
	s_waitcnt vmcnt(0)
	v_cvt_f64_i32_e32 v[2:3], v2
.LBB150_1279:
	s_cbranch_execnz .LBB150_1285
.LBB150_1280:
	v_cmp_lt_i16_e32 vcc_lo, 0, v4
	s_mov_b32 s21, 0
	s_cbranch_vccz .LBB150_1282
; %bb.1281:
	global_load_i8 v2, v[0:1], off
	s_waitcnt vmcnt(0)
	v_cvt_f64_i32_e32 v[2:3], v2
	s_branch .LBB150_1283
.LBB150_1282:
	s_mov_b32 s21, -1
                                        ; implicit-def: $vgpr2_vgpr3
.LBB150_1283:
	s_delay_alu instid0(SALU_CYCLE_1)
	s_and_not1_b32 vcc_lo, exec_lo, s21
	s_cbranch_vccnz .LBB150_1285
; %bb.1284:
	global_load_u8 v0, v[0:1], off
	s_waitcnt vmcnt(0)
	v_cvt_f64_u32_e32 v[2:3], v0
.LBB150_1285:
	s_or_b32 s0, s0, exec_lo
.LBB150_1286:
	s_or_b32 exec_lo, exec_lo, s19
	s_mov_b32 s22, 0
	s_mov_b32 s23, 0
	;; [unrolled: 1-line block ×3, first 2 shown]
                                        ; implicit-def: $vgpr4
                                        ; implicit-def: $vgpr0_vgpr1
                                        ; implicit-def: $vgpr6
	s_and_saveexec_b32 s19, s0
	s_cbranch_execz .LBB150_1362
; %bb.1287:
	s_waitcnt vmcnt(0)
	v_mul_lo_u32 v0, v16, s10
	v_and_b32_e64 v4, 0xff, s11
	s_delay_alu instid0(VALU_DEP_1) | instskip(NEXT) | instid1(VALU_DEP_3)
	v_cmp_gt_i16_e32 vcc_lo, 11, v4
	v_ashrrev_i32_e32 v1, 31, v0
	v_add_co_u32 v0, s0, s12, v0
	s_delay_alu instid0(VALU_DEP_1)
	v_add_co_ci_u32_e64 v1, s0, s13, v1, s0
	s_cbranch_vccnz .LBB150_1294
; %bb.1288:
	v_cmp_lt_i16_e32 vcc_lo, 25, v4
	s_cbranch_vccz .LBB150_1295
; %bb.1289:
	v_cmp_lt_i16_e32 vcc_lo, 28, v4
	s_cbranch_vccz .LBB150_1296
	;; [unrolled: 3-line block ×4, first 2 shown]
; %bb.1292:
	v_cmp_eq_u16_e32 vcc_lo, 46, v4
	s_cbranch_vccz .LBB150_1301
; %bb.1293:
	global_load_b32 v5, v[0:1], off
	s_mov_b32 s0, 0
	s_mov_b32 s21, -1
	s_waitcnt vmcnt(0)
	v_lshlrev_b32_e32 v5, 16, v5
	s_delay_alu instid0(VALU_DEP_1) | instskip(NEXT) | instid1(VALU_DEP_1)
	v_trunc_f32_e32 v5, v5
	v_mul_f32_e64 v6, 0x2f800000, |v5|
	s_delay_alu instid0(VALU_DEP_1) | instskip(NEXT) | instid1(VALU_DEP_1)
	v_floor_f32_e32 v6, v6
	v_fma_f32 v6, 0xcf800000, v6, |v5|
	v_ashrrev_i32_e32 v5, 31, v5
	s_delay_alu instid0(VALU_DEP_2) | instskip(NEXT) | instid1(VALU_DEP_1)
	v_cvt_u32_f32_e32 v6, v6
	v_xor_b32_e32 v6, v6, v5
	s_delay_alu instid0(VALU_DEP_1)
	v_sub_nc_u32_e32 v6, v6, v5
	s_branch .LBB150_1303
.LBB150_1294:
	s_mov_b32 s23, -1
	s_mov_b32 s0, s20
                                        ; implicit-def: $vgpr6
	s_branch .LBB150_1361
.LBB150_1295:
	s_mov_b32 s0, s20
                                        ; implicit-def: $vgpr6
	s_cbranch_execnz .LBB150_1330
	s_branch .LBB150_1360
.LBB150_1296:
	s_mov_b32 s23, -1
	s_mov_b32 s0, s20
                                        ; implicit-def: $vgpr6
	s_branch .LBB150_1313
.LBB150_1297:
	s_mov_b32 s23, -1
	s_mov_b32 s0, s20
                                        ; implicit-def: $vgpr6
	s_branch .LBB150_1308
.LBB150_1298:
	s_trap 2
	s_sendmsg_rtn_b32 s0, sendmsg(MSG_RTN_GET_DOORBELL)
	s_mov_b32 ttmp2, m0
	s_waitcnt lgkmcnt(0)
	s_and_b32 s0, s0, 0x3ff
	s_delay_alu instid0(SALU_CYCLE_1) | instskip(NEXT) | instid1(SALU_CYCLE_1)
	s_bitset1_b32 s0, 10
	s_mov_b32 m0, s0
	s_sendmsg sendmsg(MSG_INTERRUPT)
	s_mov_b32 m0, ttmp2
.LBB150_1299:                           ; =>This Inner Loop Header: Depth=1
	s_sethalt 5
	s_branch .LBB150_1299
.LBB150_1300:
	s_mov_b32 s23, -1
	s_mov_b32 s0, s20
	s_branch .LBB150_1302
.LBB150_1301:
	s_mov_b32 s0, -1
.LBB150_1302:
                                        ; implicit-def: $vgpr6
.LBB150_1303:
	s_and_b32 vcc_lo, exec_lo, s23
	s_cbranch_vccz .LBB150_1307
; %bb.1304:
	v_cmp_eq_u16_e32 vcc_lo, 44, v4
	s_cbranch_vccz .LBB150_1306
; %bb.1305:
	global_load_u8 v5, v[0:1], off
	s_mov_b32 s0, 0
	s_mov_b32 s21, -1
	s_waitcnt vmcnt(0)
	v_lshlrev_b32_e32 v6, 23, v5
	v_cmp_ne_u32_e32 vcc_lo, 0, v5
	s_delay_alu instid0(VALU_DEP_2) | instskip(NEXT) | instid1(VALU_DEP_1)
	v_trunc_f32_e32 v6, v6
	v_mul_f32_e64 v7, 0x2f800000, |v6|
	s_delay_alu instid0(VALU_DEP_1) | instskip(NEXT) | instid1(VALU_DEP_1)
	v_floor_f32_e32 v7, v7
	v_fma_f32 v7, 0xcf800000, v7, |v6|
	v_ashrrev_i32_e32 v6, 31, v6
	s_delay_alu instid0(VALU_DEP_2) | instskip(NEXT) | instid1(VALU_DEP_1)
	v_cvt_u32_f32_e32 v7, v7
	v_xor_b32_e32 v7, v7, v6
	s_delay_alu instid0(VALU_DEP_1) | instskip(NEXT) | instid1(VALU_DEP_1)
	v_sub_nc_u32_e32 v6, v7, v6
	v_cndmask_b32_e32 v6, 0, v6, vcc_lo
	s_branch .LBB150_1307
.LBB150_1306:
	s_mov_b32 s0, -1
                                        ; implicit-def: $vgpr6
.LBB150_1307:
	s_mov_b32 s23, 0
.LBB150_1308:
	s_delay_alu instid0(SALU_CYCLE_1)
	s_and_b32 vcc_lo, exec_lo, s23
	s_cbranch_vccz .LBB150_1312
; %bb.1309:
	v_cmp_eq_u16_e32 vcc_lo, 29, v4
	s_cbranch_vccz .LBB150_1311
; %bb.1310:
	global_load_b64 v[6:7], v[0:1], off
	s_mov_b32 s0, 0
	s_mov_b32 s21, -1
	s_branch .LBB150_1312
.LBB150_1311:
	s_mov_b32 s0, -1
                                        ; implicit-def: $vgpr6
.LBB150_1312:
	s_mov_b32 s23, 0
.LBB150_1313:
	s_delay_alu instid0(SALU_CYCLE_1)
	s_and_b32 vcc_lo, exec_lo, s23
	s_cbranch_vccz .LBB150_1329
; %bb.1314:
	v_cmp_gt_i16_e32 vcc_lo, 27, v4
	s_cbranch_vccnz .LBB150_1317
; %bb.1315:
	v_cmp_lt_i16_e32 vcc_lo, 27, v4
	s_cbranch_vccz .LBB150_1318
; %bb.1316:
	global_load_b32 v6, v[0:1], off
	s_mov_b32 s21, 0
	s_branch .LBB150_1319
.LBB150_1317:
	s_mov_b32 s21, -1
                                        ; implicit-def: $vgpr6
	s_branch .LBB150_1322
.LBB150_1318:
	s_mov_b32 s21, -1
                                        ; implicit-def: $vgpr6
.LBB150_1319:
	s_delay_alu instid0(SALU_CYCLE_1)
	s_and_not1_b32 vcc_lo, exec_lo, s21
	s_cbranch_vccnz .LBB150_1321
; %bb.1320:
	global_load_u16 v6, v[0:1], off
.LBB150_1321:
	s_mov_b32 s21, 0
.LBB150_1322:
	s_delay_alu instid0(SALU_CYCLE_1)
	s_and_not1_b32 vcc_lo, exec_lo, s21
	s_cbranch_vccnz .LBB150_1328
; %bb.1323:
	global_load_u8 v5, v[0:1], off
	s_mov_b32 s23, 0
	s_mov_b32 s21, exec_lo
                                        ; implicit-def: $sgpr24
	s_waitcnt vmcnt(0)
	v_cmpx_lt_i16_e32 0x7f, v5
	s_xor_b32 s21, exec_lo, s21
	s_cbranch_execz .LBB150_1339
; %bb.1324:
	v_cmp_ne_u16_e32 vcc_lo, 0x80, v5
	s_mov_b32 s24, 0
	s_and_b32 s23, vcc_lo, exec_lo
	s_or_saveexec_b32 s21, s21
	v_mov_b32_e32 v6, s24
	s_xor_b32 exec_lo, exec_lo, s21
	s_cbranch_execnz .LBB150_1340
.LBB150_1325:
	s_or_b32 exec_lo, exec_lo, s21
	s_and_saveexec_b32 s21, s23
	s_cbranch_execz .LBB150_1327
.LBB150_1326:
	v_and_b32_e32 v6, 0xffff, v5
	v_lshlrev_b32_e32 v5, 24, v5
	s_delay_alu instid0(VALU_DEP_2) | instskip(NEXT) | instid1(VALU_DEP_2)
	v_and_b32_e32 v7, 7, v6
	v_and_b32_e32 v5, 0x80000000, v5
	s_delay_alu instid0(VALU_DEP_2) | instskip(NEXT) | instid1(VALU_DEP_1)
	v_clz_i32_u32_e32 v8, v7
	v_min_u32_e32 v8, 32, v8
	s_delay_alu instid0(VALU_DEP_1) | instskip(SKIP_1) | instid1(VALU_DEP_2)
	v_subrev_nc_u32_e32 v9, 28, v8
	v_sub_nc_u32_e32 v8, 29, v8
	v_lshlrev_b32_e32 v9, v9, v6
	v_bfe_u32 v6, v6, 3, 4
	s_delay_alu instid0(VALU_DEP_2) | instskip(NEXT) | instid1(VALU_DEP_2)
	v_and_b32_e32 v9, 7, v9
	v_cmp_eq_u32_e32 vcc_lo, 0, v6
	s_delay_alu instid0(VALU_DEP_2) | instskip(NEXT) | instid1(VALU_DEP_1)
	v_dual_cndmask_b32 v6, v6, v8 :: v_dual_cndmask_b32 v7, v7, v9
	v_lshl_add_u32 v6, v6, 23, 0x3b800000
	s_delay_alu instid0(VALU_DEP_2) | instskip(NEXT) | instid1(VALU_DEP_1)
	v_lshlrev_b32_e32 v7, 20, v7
	v_or3_b32 v5, v5, v6, v7
	s_delay_alu instid0(VALU_DEP_1) | instskip(NEXT) | instid1(VALU_DEP_1)
	v_trunc_f32_e32 v5, v5
	v_mul_f32_e64 v6, 0x2f800000, |v5|
	s_delay_alu instid0(VALU_DEP_1) | instskip(NEXT) | instid1(VALU_DEP_1)
	v_floor_f32_e32 v6, v6
	v_fma_f32 v6, 0xcf800000, v6, |v5|
	v_ashrrev_i32_e32 v5, 31, v5
	s_delay_alu instid0(VALU_DEP_2) | instskip(NEXT) | instid1(VALU_DEP_1)
	v_cvt_u32_f32_e32 v6, v6
	v_xor_b32_e32 v6, v6, v5
	s_delay_alu instid0(VALU_DEP_1)
	v_sub_nc_u32_e32 v6, v6, v5
.LBB150_1327:
	s_or_b32 exec_lo, exec_lo, s21
.LBB150_1328:
	s_mov_b32 s21, -1
.LBB150_1329:
	s_branch .LBB150_1360
.LBB150_1330:
	v_cmp_lt_i16_e32 vcc_lo, 22, v4
	s_cbranch_vccz .LBB150_1338
; %bb.1331:
	v_cmp_gt_i16_e32 vcc_lo, 24, v4
	s_cbranch_vccnz .LBB150_1341
; %bb.1332:
	v_cmp_lt_i16_e32 vcc_lo, 24, v4
	s_cbranch_vccz .LBB150_1342
; %bb.1333:
	global_load_u8 v5, v[0:1], off
	s_mov_b32 s21, exec_lo
                                        ; implicit-def: $sgpr23
	s_waitcnt vmcnt(0)
	v_cmpx_lt_i16_e32 0x7f, v5
	s_xor_b32 s21, exec_lo, s21
	s_cbranch_execz .LBB150_1354
; %bb.1334:
	v_cmp_ne_u16_e32 vcc_lo, 0x80, v5
	s_mov_b32 s23, 0
	s_and_b32 s22, vcc_lo, exec_lo
	s_or_saveexec_b32 s21, s21
	v_mov_b32_e32 v6, s23
	s_xor_b32 exec_lo, exec_lo, s21
	s_cbranch_execnz .LBB150_1355
.LBB150_1335:
	s_or_b32 exec_lo, exec_lo, s21
	s_and_saveexec_b32 s21, s22
	s_cbranch_execz .LBB150_1337
.LBB150_1336:
	v_and_b32_e32 v6, 0xffff, v5
	v_lshlrev_b32_e32 v5, 24, v5
	s_delay_alu instid0(VALU_DEP_2) | instskip(NEXT) | instid1(VALU_DEP_2)
	v_and_b32_e32 v7, 3, v6
	v_and_b32_e32 v5, 0x80000000, v5
	s_delay_alu instid0(VALU_DEP_2) | instskip(NEXT) | instid1(VALU_DEP_1)
	v_clz_i32_u32_e32 v8, v7
	v_min_u32_e32 v8, 32, v8
	s_delay_alu instid0(VALU_DEP_1) | instskip(SKIP_1) | instid1(VALU_DEP_2)
	v_subrev_nc_u32_e32 v9, 29, v8
	v_sub_nc_u32_e32 v8, 30, v8
	v_lshlrev_b32_e32 v9, v9, v6
	v_bfe_u32 v6, v6, 2, 5
	s_delay_alu instid0(VALU_DEP_2) | instskip(NEXT) | instid1(VALU_DEP_2)
	v_and_b32_e32 v9, 3, v9
	v_cmp_eq_u32_e32 vcc_lo, 0, v6
	s_delay_alu instid0(VALU_DEP_2) | instskip(NEXT) | instid1(VALU_DEP_1)
	v_dual_cndmask_b32 v6, v6, v8 :: v_dual_cndmask_b32 v7, v7, v9
	v_lshl_add_u32 v6, v6, 23, 0x37800000
	s_delay_alu instid0(VALU_DEP_2) | instskip(NEXT) | instid1(VALU_DEP_1)
	v_lshlrev_b32_e32 v7, 21, v7
	v_or3_b32 v5, v5, v6, v7
	s_delay_alu instid0(VALU_DEP_1) | instskip(NEXT) | instid1(VALU_DEP_1)
	v_trunc_f32_e32 v5, v5
	v_mul_f32_e64 v6, 0x2f800000, |v5|
	s_delay_alu instid0(VALU_DEP_1) | instskip(NEXT) | instid1(VALU_DEP_1)
	v_floor_f32_e32 v6, v6
	v_fma_f32 v6, 0xcf800000, v6, |v5|
	v_ashrrev_i32_e32 v5, 31, v5
	s_delay_alu instid0(VALU_DEP_2) | instskip(NEXT) | instid1(VALU_DEP_1)
	v_cvt_u32_f32_e32 v6, v6
	v_xor_b32_e32 v6, v6, v5
	s_delay_alu instid0(VALU_DEP_1)
	v_sub_nc_u32_e32 v6, v6, v5
.LBB150_1337:
	s_or_b32 exec_lo, exec_lo, s21
	s_mov_b32 s21, 0
	s_branch .LBB150_1343
.LBB150_1338:
	s_mov_b32 s22, -1
                                        ; implicit-def: $vgpr6
	s_branch .LBB150_1349
.LBB150_1339:
	s_or_saveexec_b32 s21, s21
	v_mov_b32_e32 v6, s24
	s_xor_b32 exec_lo, exec_lo, s21
	s_cbranch_execz .LBB150_1325
.LBB150_1340:
	v_cmp_ne_u16_e32 vcc_lo, 0, v5
	v_mov_b32_e32 v6, 0
	s_and_not1_b32 s23, s23, exec_lo
	s_and_b32 s24, vcc_lo, exec_lo
	s_delay_alu instid0(SALU_CYCLE_1)
	s_or_b32 s23, s23, s24
	s_or_b32 exec_lo, exec_lo, s21
	s_and_saveexec_b32 s21, s23
	s_cbranch_execnz .LBB150_1326
	s_branch .LBB150_1327
.LBB150_1341:
	s_mov_b32 s21, -1
                                        ; implicit-def: $vgpr6
	s_branch .LBB150_1346
.LBB150_1342:
	s_mov_b32 s21, -1
                                        ; implicit-def: $vgpr6
.LBB150_1343:
	s_delay_alu instid0(SALU_CYCLE_1)
	s_and_b32 vcc_lo, exec_lo, s21
	s_cbranch_vccz .LBB150_1345
; %bb.1344:
	global_load_u8 v5, v[0:1], off
	s_waitcnt vmcnt(0)
	v_lshlrev_b32_e32 v5, 24, v5
	s_delay_alu instid0(VALU_DEP_1) | instskip(NEXT) | instid1(VALU_DEP_1)
	v_and_b32_e32 v6, 0x7f000000, v5
	v_clz_i32_u32_e32 v7, v6
	v_add_nc_u32_e32 v9, 0x1000000, v6
	v_cmp_ne_u32_e32 vcc_lo, 0, v6
	s_delay_alu instid0(VALU_DEP_3) | instskip(NEXT) | instid1(VALU_DEP_1)
	v_min_u32_e32 v7, 32, v7
	v_sub_nc_u32_e64 v7, v7, 4 clamp
	s_delay_alu instid0(VALU_DEP_1) | instskip(SKIP_1) | instid1(VALU_DEP_2)
	v_lshlrev_b32_e32 v8, v7, v6
	v_lshlrev_b32_e32 v7, 23, v7
	v_lshrrev_b32_e32 v8, 4, v8
	s_delay_alu instid0(VALU_DEP_1) | instskip(SKIP_1) | instid1(VALU_DEP_2)
	v_sub_nc_u32_e32 v7, v8, v7
	v_ashrrev_i32_e32 v8, 8, v9
	v_add_nc_u32_e32 v7, 0x3c000000, v7
	s_delay_alu instid0(VALU_DEP_1) | instskip(NEXT) | instid1(VALU_DEP_1)
	v_and_or_b32 v7, 0x7f800000, v8, v7
	v_cndmask_b32_e32 v6, 0, v7, vcc_lo
	s_delay_alu instid0(VALU_DEP_1) | instskip(NEXT) | instid1(VALU_DEP_1)
	v_and_or_b32 v5, 0x80000000, v5, v6
	v_trunc_f32_e32 v5, v5
	s_delay_alu instid0(VALU_DEP_1) | instskip(NEXT) | instid1(VALU_DEP_1)
	v_mul_f32_e64 v6, 0x2f800000, |v5|
	v_floor_f32_e32 v6, v6
	s_delay_alu instid0(VALU_DEP_1) | instskip(SKIP_1) | instid1(VALU_DEP_2)
	v_fma_f32 v6, 0xcf800000, v6, |v5|
	v_ashrrev_i32_e32 v5, 31, v5
	v_cvt_u32_f32_e32 v6, v6
	s_delay_alu instid0(VALU_DEP_1) | instskip(NEXT) | instid1(VALU_DEP_1)
	v_xor_b32_e32 v6, v6, v5
	v_sub_nc_u32_e32 v6, v6, v5
.LBB150_1345:
	s_mov_b32 s21, 0
.LBB150_1346:
	s_delay_alu instid0(SALU_CYCLE_1)
	s_and_not1_b32 vcc_lo, exec_lo, s21
	s_cbranch_vccnz .LBB150_1348
; %bb.1347:
	global_load_u8 v5, v[0:1], off
	s_waitcnt vmcnt(0)
	v_lshlrev_b32_e32 v6, 25, v5
	v_lshlrev_b16 v5, 8, v5
	s_delay_alu instid0(VALU_DEP_2) | instskip(NEXT) | instid1(VALU_DEP_2)
	v_lshrrev_b32_e32 v7, 4, v6
	v_and_or_b32 v8, 0x7f00, v5, 0.5
	v_bfe_i32 v5, v5, 0, 16
	s_delay_alu instid0(VALU_DEP_3) | instskip(NEXT) | instid1(VALU_DEP_1)
	v_or_b32_e32 v7, 0x70000000, v7
	v_dual_add_f32 v8, -0.5, v8 :: v_dual_mul_f32 v7, 0x7800000, v7
	v_cmp_gt_u32_e32 vcc_lo, 0x8000000, v6
	s_delay_alu instid0(VALU_DEP_2) | instskip(NEXT) | instid1(VALU_DEP_1)
	v_cndmask_b32_e32 v6, v7, v8, vcc_lo
	v_and_or_b32 v5, 0x80000000, v5, v6
	s_delay_alu instid0(VALU_DEP_1) | instskip(NEXT) | instid1(VALU_DEP_1)
	v_trunc_f32_e32 v5, v5
	v_mul_f32_e64 v6, 0x2f800000, |v5|
	s_delay_alu instid0(VALU_DEP_1) | instskip(NEXT) | instid1(VALU_DEP_1)
	v_floor_f32_e32 v6, v6
	v_fma_f32 v6, 0xcf800000, v6, |v5|
	v_ashrrev_i32_e32 v5, 31, v5
	s_delay_alu instid0(VALU_DEP_2) | instskip(NEXT) | instid1(VALU_DEP_1)
	v_cvt_u32_f32_e32 v6, v6
	v_xor_b32_e32 v6, v6, v5
	s_delay_alu instid0(VALU_DEP_1)
	v_sub_nc_u32_e32 v6, v6, v5
.LBB150_1348:
	s_mov_b32 s22, 0
	s_mov_b32 s21, -1
.LBB150_1349:
	s_and_not1_b32 vcc_lo, exec_lo, s22
	s_mov_b32 s22, 0
	s_cbranch_vccnz .LBB150_1360
; %bb.1350:
	v_cmp_lt_i16_e32 vcc_lo, 14, v4
	s_cbranch_vccz .LBB150_1353
; %bb.1351:
	v_cmp_eq_u16_e32 vcc_lo, 15, v4
	s_cbranch_vccz .LBB150_1356
; %bb.1352:
	global_load_u16 v5, v[0:1], off
	s_mov_b32 s0, 0
	s_mov_b32 s21, -1
	s_waitcnt vmcnt(0)
	v_lshlrev_b32_e32 v5, 16, v5
	s_delay_alu instid0(VALU_DEP_1) | instskip(NEXT) | instid1(VALU_DEP_1)
	v_trunc_f32_e32 v5, v5
	v_mul_f32_e64 v6, 0x2f800000, |v5|
	s_delay_alu instid0(VALU_DEP_1) | instskip(NEXT) | instid1(VALU_DEP_1)
	v_floor_f32_e32 v6, v6
	v_fma_f32 v6, 0xcf800000, v6, |v5|
	v_ashrrev_i32_e32 v5, 31, v5
	s_delay_alu instid0(VALU_DEP_2) | instskip(NEXT) | instid1(VALU_DEP_1)
	v_cvt_u32_f32_e32 v6, v6
	v_xor_b32_e32 v6, v6, v5
	s_delay_alu instid0(VALU_DEP_1)
	v_sub_nc_u32_e32 v6, v6, v5
	s_branch .LBB150_1358
.LBB150_1353:
	s_mov_b32 s22, -1
	s_branch .LBB150_1357
.LBB150_1354:
	s_or_saveexec_b32 s21, s21
	v_mov_b32_e32 v6, s23
	s_xor_b32 exec_lo, exec_lo, s21
	s_cbranch_execz .LBB150_1335
.LBB150_1355:
	v_cmp_ne_u16_e32 vcc_lo, 0, v5
	v_mov_b32_e32 v6, 0
	s_and_not1_b32 s22, s22, exec_lo
	s_and_b32 s23, vcc_lo, exec_lo
	s_delay_alu instid0(SALU_CYCLE_1)
	s_or_b32 s22, s22, s23
	s_or_b32 exec_lo, exec_lo, s21
	s_and_saveexec_b32 s21, s22
	s_cbranch_execnz .LBB150_1336
	s_branch .LBB150_1337
.LBB150_1356:
	s_mov_b32 s0, -1
.LBB150_1357:
                                        ; implicit-def: $vgpr6
.LBB150_1358:
	s_and_b32 vcc_lo, exec_lo, s22
	s_mov_b32 s22, 0
	s_cbranch_vccz .LBB150_1360
; %bb.1359:
	v_cmp_ne_u16_e32 vcc_lo, 11, v4
	s_and_not1_b32 s0, s0, exec_lo
	s_mov_b32 s22, -1
                                        ; implicit-def: $vgpr6
	s_and_b32 s23, vcc_lo, exec_lo
	s_delay_alu instid0(SALU_CYCLE_1)
	s_or_b32 s0, s0, s23
.LBB150_1360:
	s_mov_b32 s23, 0
.LBB150_1361:
	s_and_not1_b32 s20, s20, exec_lo
	s_and_b32 s0, s0, exec_lo
	s_and_b32 s21, s21, exec_lo
	;; [unrolled: 1-line block ×4, first 2 shown]
	s_or_b32 s20, s20, s0
.LBB150_1362:
	s_or_b32 exec_lo, exec_lo, s19
	s_and_saveexec_b32 s0, s20
	s_cbranch_execnz .LBB150_1374
; %bb.1363:
	s_or_b32 exec_lo, exec_lo, s0
	s_and_saveexec_b32 s0, s22
	s_delay_alu instid0(SALU_CYCLE_1)
	s_xor_b32 s0, exec_lo, s0
	s_cbranch_execz .LBB150_1365
.LBB150_1364:
	s_waitcnt vmcnt(0)
	global_load_u8 v5, v[0:1], off
	s_or_b32 s21, s21, exec_lo
	s_waitcnt vmcnt(0)
	v_cmp_ne_u16_e32 vcc_lo, 0, v5
	v_cndmask_b32_e64 v6, 0, 1, vcc_lo
.LBB150_1365:
	s_or_b32 exec_lo, exec_lo, s0
	s_and_saveexec_b32 s0, s23
	s_cbranch_execz .LBB150_1413
; %bb.1366:
	s_waitcnt vmcnt(0)
	v_cmp_gt_i16_e32 vcc_lo, 5, v4
	s_cbranch_vccnz .LBB150_1371
; %bb.1367:
	v_cmp_gt_i16_e32 vcc_lo, 8, v4
	s_cbranch_vccnz .LBB150_1372
; %bb.1368:
	;; [unrolled: 3-line block ×3, first 2 shown]
	v_cmp_lt_i16_e32 vcc_lo, 9, v4
	s_cbranch_vccz .LBB150_1376
; %bb.1370:
	global_load_b64 v[5:6], v[0:1], off
	s_mov_b32 s19, 0
	s_waitcnt vmcnt(0)
	v_trunc_f64_e32 v[5:6], v[5:6]
	s_delay_alu instid0(VALU_DEP_1) | instskip(NEXT) | instid1(VALU_DEP_1)
	v_ldexp_f64 v[7:8], v[5:6], 0xffffffe0
	v_floor_f64_e32 v[7:8], v[7:8]
	s_delay_alu instid0(VALU_DEP_1) | instskip(NEXT) | instid1(VALU_DEP_1)
	v_fma_f64 v[5:6], 0xc1f00000, v[7:8], v[5:6]
	v_cvt_u32_f64_e32 v6, v[5:6]
	s_branch .LBB150_1377
.LBB150_1371:
                                        ; implicit-def: $vgpr6
	s_branch .LBB150_1394
.LBB150_1372:
                                        ; implicit-def: $vgpr6
	s_branch .LBB150_1383
.LBB150_1373:
	s_mov_b32 s19, -1
                                        ; implicit-def: $vgpr6
	s_branch .LBB150_1380
.LBB150_1374:
	s_cbranch_execnz .LBB150_1422
; %bb.1375:
	s_or_b32 s1, s1, exec_lo
	s_and_not1_b32 s22, s22, exec_lo
                                        ; implicit-def: $vgpr6
	s_or_b32 exec_lo, exec_lo, s0
	s_and_saveexec_b32 s0, s22
	s_delay_alu instid0(SALU_CYCLE_1)
	s_xor_b32 s0, exec_lo, s0
	s_cbranch_execnz .LBB150_1364
	s_branch .LBB150_1365
.LBB150_1376:
	s_mov_b32 s19, -1
                                        ; implicit-def: $vgpr6
.LBB150_1377:
	s_delay_alu instid0(SALU_CYCLE_1)
	s_and_not1_b32 vcc_lo, exec_lo, s19
	s_cbranch_vccnz .LBB150_1379
; %bb.1378:
	global_load_b32 v5, v[0:1], off
	s_waitcnt vmcnt(0)
	v_trunc_f32_e32 v5, v5
	s_delay_alu instid0(VALU_DEP_1) | instskip(NEXT) | instid1(VALU_DEP_1)
	v_mul_f32_e64 v6, 0x2f800000, |v5|
	v_floor_f32_e32 v6, v6
	s_delay_alu instid0(VALU_DEP_1) | instskip(SKIP_1) | instid1(VALU_DEP_2)
	v_fma_f32 v6, 0xcf800000, v6, |v5|
	v_ashrrev_i32_e32 v5, 31, v5
	v_cvt_u32_f32_e32 v6, v6
	s_delay_alu instid0(VALU_DEP_1) | instskip(NEXT) | instid1(VALU_DEP_1)
	v_xor_b32_e32 v6, v6, v5
	v_sub_nc_u32_e32 v6, v6, v5
.LBB150_1379:
	s_mov_b32 s19, 0
.LBB150_1380:
	s_delay_alu instid0(SALU_CYCLE_1)
	s_and_not1_b32 vcc_lo, exec_lo, s19
	s_cbranch_vccnz .LBB150_1382
; %bb.1381:
	global_load_b32 v5, v[0:1], off
	s_waitcnt vmcnt(0)
	v_cvt_f32_f16_e32 v5, v5
	s_delay_alu instid0(VALU_DEP_1)
	v_cvt_i32_f32_e32 v6, v5
.LBB150_1382:
	s_cbranch_execnz .LBB150_1393
.LBB150_1383:
	v_cmp_gt_i16_e32 vcc_lo, 6, v4
	s_cbranch_vccnz .LBB150_1386
; %bb.1384:
	v_cmp_lt_i16_e32 vcc_lo, 6, v4
	s_cbranch_vccz .LBB150_1387
; %bb.1385:
	global_load_b64 v[5:6], v[0:1], off
	s_mov_b32 s19, 0
	s_waitcnt vmcnt(0)
	v_trunc_f64_e32 v[5:6], v[5:6]
	s_delay_alu instid0(VALU_DEP_1) | instskip(NEXT) | instid1(VALU_DEP_1)
	v_ldexp_f64 v[7:8], v[5:6], 0xffffffe0
	v_floor_f64_e32 v[7:8], v[7:8]
	s_delay_alu instid0(VALU_DEP_1) | instskip(NEXT) | instid1(VALU_DEP_1)
	v_fma_f64 v[5:6], 0xc1f00000, v[7:8], v[5:6]
	v_cvt_u32_f64_e32 v6, v[5:6]
	s_branch .LBB150_1388
.LBB150_1386:
	s_mov_b32 s19, -1
                                        ; implicit-def: $vgpr6
	s_branch .LBB150_1391
.LBB150_1387:
	s_mov_b32 s19, -1
                                        ; implicit-def: $vgpr6
.LBB150_1388:
	s_delay_alu instid0(SALU_CYCLE_1)
	s_and_not1_b32 vcc_lo, exec_lo, s19
	s_cbranch_vccnz .LBB150_1390
; %bb.1389:
	global_load_b32 v5, v[0:1], off
	s_waitcnt vmcnt(0)
	v_trunc_f32_e32 v5, v5
	s_delay_alu instid0(VALU_DEP_1) | instskip(NEXT) | instid1(VALU_DEP_1)
	v_mul_f32_e64 v6, 0x2f800000, |v5|
	v_floor_f32_e32 v6, v6
	s_delay_alu instid0(VALU_DEP_1) | instskip(SKIP_1) | instid1(VALU_DEP_2)
	v_fma_f32 v6, 0xcf800000, v6, |v5|
	v_ashrrev_i32_e32 v5, 31, v5
	v_cvt_u32_f32_e32 v6, v6
	s_delay_alu instid0(VALU_DEP_1) | instskip(NEXT) | instid1(VALU_DEP_1)
	v_xor_b32_e32 v6, v6, v5
	v_sub_nc_u32_e32 v6, v6, v5
.LBB150_1390:
	s_mov_b32 s19, 0
.LBB150_1391:
	s_delay_alu instid0(SALU_CYCLE_1)
	s_and_not1_b32 vcc_lo, exec_lo, s19
	s_cbranch_vccnz .LBB150_1393
; %bb.1392:
	global_load_u16 v5, v[0:1], off
	s_waitcnt vmcnt(0)
	v_cvt_f32_f16_e32 v5, v5
	s_delay_alu instid0(VALU_DEP_1)
	v_cvt_i32_f32_e32 v6, v5
.LBB150_1393:
	s_cbranch_execnz .LBB150_1412
.LBB150_1394:
	v_cmp_gt_i16_e32 vcc_lo, 2, v4
	s_cbranch_vccnz .LBB150_1398
; %bb.1395:
	v_cmp_gt_i16_e32 vcc_lo, 3, v4
	s_cbranch_vccnz .LBB150_1399
; %bb.1396:
	v_cmp_lt_i16_e32 vcc_lo, 3, v4
	s_cbranch_vccz .LBB150_1400
; %bb.1397:
	global_load_b64 v[6:7], v[0:1], off
	s_mov_b32 s19, 0
	s_branch .LBB150_1401
.LBB150_1398:
                                        ; implicit-def: $vgpr6
	s_branch .LBB150_1407
.LBB150_1399:
	s_mov_b32 s19, -1
                                        ; implicit-def: $vgpr6
	s_branch .LBB150_1404
.LBB150_1400:
	s_mov_b32 s19, -1
                                        ; implicit-def: $vgpr6
.LBB150_1401:
	s_delay_alu instid0(SALU_CYCLE_1)
	s_and_not1_b32 vcc_lo, exec_lo, s19
	s_cbranch_vccnz .LBB150_1403
; %bb.1402:
	global_load_b32 v6, v[0:1], off
.LBB150_1403:
	s_mov_b32 s19, 0
.LBB150_1404:
	s_delay_alu instid0(SALU_CYCLE_1)
	s_and_not1_b32 vcc_lo, exec_lo, s19
	s_cbranch_vccnz .LBB150_1406
; %bb.1405:
	global_load_u16 v6, v[0:1], off
.LBB150_1406:
	s_cbranch_execnz .LBB150_1412
.LBB150_1407:
	v_cmp_lt_i16_e32 vcc_lo, 0, v4
	s_mov_b32 s19, 0
	s_cbranch_vccz .LBB150_1409
; %bb.1408:
	global_load_u8 v6, v[0:1], off
	s_branch .LBB150_1410
.LBB150_1409:
	s_mov_b32 s19, -1
                                        ; implicit-def: $vgpr6
.LBB150_1410:
	s_delay_alu instid0(SALU_CYCLE_1)
	s_and_not1_b32 vcc_lo, exec_lo, s19
	s_cbranch_vccnz .LBB150_1412
; %bb.1411:
	global_load_u8 v6, v[0:1], off
.LBB150_1412:
	s_or_b32 s21, s21, exec_lo
.LBB150_1413:
	s_or_b32 exec_lo, exec_lo, s0
	s_mov_b32 s0, 0
	s_mov_b32 s20, 0
                                        ; implicit-def: $vgpr7
                                        ; implicit-def: $vgpr4_vgpr5
                                        ; implicit-def: $vgpr0_vgpr1
	s_and_saveexec_b32 s19, s21
	s_cbranch_execz .LBB150_1493
; %bb.1414:
	s_waitcnt vmcnt(0)
	s_delay_alu instid0(VALU_DEP_1) | instskip(SKIP_1) | instid1(VALU_DEP_2)
	v_and_b32_e32 v0, 0xff, v6
	v_and_b32_e64 v7, 0xff, s14
	v_and_b32_e32 v0, 0xffff, v0
	s_delay_alu instid0(VALU_DEP_2) | instskip(NEXT) | instid1(VALU_DEP_2)
	v_cmp_gt_i16_e32 vcc_lo, 11, v7
	v_cvt_f64_u32_e32 v[0:1], v0
	s_and_b32 vcc_lo, exec_lo, vcc_lo
	s_delay_alu instid0(VALU_DEP_1) | instskip(SKIP_1) | instid1(VALU_DEP_1)
	v_mul_f64 v[0:1], v[2:3], v[0:1]
	v_mul_lo_u32 v2, v16, s8
	v_ashrrev_i32_e32 v3, 31, v2
	v_add_co_u32 v4, s0, s4, v2
	s_delay_alu instid0(VALU_DEP_1)
	v_add_co_ci_u32_e64 v5, s0, s5, v3, s0
	v_mul_f64 v[0:1], s[2:3], v[0:1]
	s_cbranch_vccnz .LBB150_1421
; %bb.1415:
	v_cmp_lt_i16_e32 vcc_lo, 25, v7
	s_mov_b32 s20, -1
	s_mov_b32 s0, s18
	s_cbranch_vccz .LBB150_1451
; %bb.1416:
	v_cmp_lt_i16_e32 vcc_lo, 28, v7
	s_mov_b32 s0, s18
	s_cbranch_vccz .LBB150_1435
; %bb.1417:
	v_cmp_lt_i16_e32 vcc_lo, 43, v7
	;; [unrolled: 4-line block ×3, first 2 shown]
	s_mov_b32 s0, s18
	s_cbranch_vccz .LBB150_1425
; %bb.1419:
	v_cmp_eq_u16_e32 vcc_lo, 46, v7
	s_mov_b32 s0, -1
	s_cbranch_vccz .LBB150_1424
; %bb.1420:
	v_cvt_f32_f64_e32 v2, v[0:1]
	s_mov_b32 s0, 0
	s_mov_b32 s20, 0
	s_delay_alu instid0(VALU_DEP_1) | instskip(SKIP_1) | instid1(VALU_DEP_2)
	v_bfe_u32 v3, v2, 16, 1
	v_cmp_o_f32_e32 vcc_lo, v2, v2
	v_add3_u32 v3, v2, v3, 0x7fff
	s_delay_alu instid0(VALU_DEP_1) | instskip(NEXT) | instid1(VALU_DEP_1)
	v_lshrrev_b32_e32 v3, 16, v3
	v_cndmask_b32_e32 v2, 0x7fc0, v3, vcc_lo
	global_store_b32 v[4:5], v2, off
	s_branch .LBB150_1425
.LBB150_1421:
	s_mov_b32 s21, 0
	s_mov_b32 s20, -1
	s_mov_b32 s0, s18
	s_branch .LBB150_1492
.LBB150_1422:
	s_trap 2
	s_sendmsg_rtn_b32 s0, sendmsg(MSG_RTN_GET_DOORBELL)
	s_mov_b32 ttmp2, m0
	s_waitcnt lgkmcnt(0)
	s_and_b32 s0, s0, 0x3ff
	s_delay_alu instid0(SALU_CYCLE_1) | instskip(NEXT) | instid1(SALU_CYCLE_1)
	s_bitset1_b32 s0, 10
	s_mov_b32 m0, s0
	s_sendmsg sendmsg(MSG_INTERRUPT)
	s_mov_b32 m0, ttmp2
.LBB150_1423:                           ; =>This Inner Loop Header: Depth=1
	s_sethalt 5
	s_branch .LBB150_1423
.LBB150_1424:
	s_mov_b32 s20, 0
.LBB150_1425:
	s_delay_alu instid0(SALU_CYCLE_1)
	s_and_b32 vcc_lo, exec_lo, s20
	s_cbranch_vccz .LBB150_1430
; %bb.1426:
	v_cmp_eq_u16_e32 vcc_lo, 44, v7
	s_mov_b32 s0, -1
	s_cbranch_vccz .LBB150_1430
; %bb.1427:
	v_cvt_f32_f64_e32 v2, v[0:1]
	v_mov_b32_e32 v3, 0xff
	s_mov_b32 s20, exec_lo
	s_delay_alu instid0(VALU_DEP_2) | instskip(NEXT) | instid1(VALU_DEP_1)
	v_bfe_u32 v6, v2, 23, 8
	v_cmpx_ne_u32_e32 0xff, v6
; %bb.1428:
	v_and_b32_e32 v3, 0x400000, v2
	v_and_or_b32 v6, 0x3fffff, v2, v6
	v_lshrrev_b32_e32 v2, 23, v2
	s_delay_alu instid0(VALU_DEP_3) | instskip(NEXT) | instid1(VALU_DEP_3)
	v_cmp_ne_u32_e32 vcc_lo, 0, v3
	v_cmp_ne_u32_e64 s0, 0, v6
	s_delay_alu instid0(VALU_DEP_1) | instskip(NEXT) | instid1(SALU_CYCLE_1)
	s_and_b32 s0, vcc_lo, s0
	v_cndmask_b32_e64 v3, 0, 1, s0
	s_delay_alu instid0(VALU_DEP_1)
	v_add_nc_u32_e32 v3, v2, v3
; %bb.1429:
	s_or_b32 exec_lo, exec_lo, s20
	s_mov_b32 s0, 0
	global_store_b8 v[4:5], v3, off
.LBB150_1430:
	s_mov_b32 s20, 0
.LBB150_1431:
	s_delay_alu instid0(SALU_CYCLE_1)
	s_and_b32 vcc_lo, exec_lo, s20
	s_cbranch_vccz .LBB150_1434
; %bb.1432:
	v_cmp_eq_u16_e32 vcc_lo, 29, v7
	s_mov_b32 s0, -1
	s_cbranch_vccz .LBB150_1434
; %bb.1433:
	v_trunc_f64_e32 v[2:3], v[0:1]
	s_mov_b32 s0, 0
	s_mov_b32 s20, 0
	s_delay_alu instid0(VALU_DEP_1) | instskip(NEXT) | instid1(VALU_DEP_1)
	v_ldexp_f64 v[8:9], v[2:3], 0xffffffe0
	v_floor_f64_e32 v[8:9], v[8:9]
	s_delay_alu instid0(VALU_DEP_1) | instskip(SKIP_1) | instid1(VALU_DEP_2)
	v_fma_f64 v[2:3], 0xc1f00000, v[8:9], v[2:3]
	v_cvt_u32_f64_e32 v9, v[8:9]
	v_cvt_u32_f64_e32 v8, v[2:3]
	global_store_b64 v[4:5], v[8:9], off
	s_branch .LBB150_1435
.LBB150_1434:
	s_mov_b32 s20, 0
.LBB150_1435:
	s_delay_alu instid0(SALU_CYCLE_1)
	s_and_b32 vcc_lo, exec_lo, s20
	s_cbranch_vccz .LBB150_1450
; %bb.1436:
	v_cmp_gt_i16_e32 vcc_lo, 27, v7
	s_mov_b32 s20, -1
	s_cbranch_vccnz .LBB150_1442
; %bb.1437:
	s_delay_alu instid0(VALU_DEP_4)
	v_cvt_u32_f64_e32 v2, v[0:1]
	v_cmp_lt_i16_e32 vcc_lo, 27, v7
	s_cbranch_vccz .LBB150_1439
; %bb.1438:
	s_mov_b32 s20, 0
	global_store_b32 v[4:5], v2, off
.LBB150_1439:
	s_and_not1_b32 vcc_lo, exec_lo, s20
	s_cbranch_vccnz .LBB150_1441
; %bb.1440:
	global_store_b16 v[4:5], v2, off
.LBB150_1441:
	s_mov_b32 s20, 0
.LBB150_1442:
	s_delay_alu instid0(SALU_CYCLE_1)
	s_and_not1_b32 vcc_lo, exec_lo, s20
	s_cbranch_vccnz .LBB150_1450
; %bb.1443:
	s_delay_alu instid0(VALU_DEP_4) | instskip(SKIP_2) | instid1(VALU_DEP_2)
	v_cvt_f32_f64_e32 v2, v[0:1]
	v_mov_b32_e32 v6, 0x80
	s_mov_b32 s20, exec_lo
	v_and_b32_e32 v3, 0x7fffffff, v2
	s_delay_alu instid0(VALU_DEP_1)
	v_cmpx_gt_u32_e32 0x43800000, v3
	s_cbranch_execz .LBB150_1449
; %bb.1444:
	v_cmp_lt_u32_e32 vcc_lo, 0x3bffffff, v3
	s_mov_b32 s21, 0
                                        ; implicit-def: $vgpr3
	s_and_saveexec_b32 s22, vcc_lo
	s_delay_alu instid0(SALU_CYCLE_1)
	s_xor_b32 s22, exec_lo, s22
	s_cbranch_execz .LBB150_1685
; %bb.1445:
	v_bfe_u32 v3, v2, 20, 1
	s_mov_b32 s21, exec_lo
	s_delay_alu instid0(VALU_DEP_1) | instskip(NEXT) | instid1(VALU_DEP_1)
	v_add3_u32 v3, v2, v3, 0x487ffff
	v_lshrrev_b32_e32 v3, 20, v3
	s_or_saveexec_b32 s22, s22
                                        ; implicit-def: $sgpr23
	s_delay_alu instid0(SALU_CYCLE_1)
	s_xor_b32 exec_lo, exec_lo, s22
	s_cbranch_execnz .LBB150_1686
.LBB150_1446:
	s_or_b32 exec_lo, exec_lo, s22
	v_mov_b32_e32 v6, s23
	s_and_saveexec_b32 s22, s21
.LBB150_1447:
	v_lshrrev_b32_e32 v2, 24, v2
	s_delay_alu instid0(VALU_DEP_1)
	v_and_or_b32 v6, 0x80, v2, v3
.LBB150_1448:
	s_or_b32 exec_lo, exec_lo, s22
.LBB150_1449:
	s_delay_alu instid0(SALU_CYCLE_1)
	s_or_b32 exec_lo, exec_lo, s20
	global_store_b8 v[4:5], v6, off
.LBB150_1450:
	s_mov_b32 s20, 0
.LBB150_1451:
	s_delay_alu instid0(SALU_CYCLE_1)
	s_and_b32 vcc_lo, exec_lo, s20
	s_mov_b32 s20, 0
	s_cbranch_vccz .LBB150_1491
; %bb.1452:
	v_cmp_lt_i16_e32 vcc_lo, 22, v7
	s_mov_b32 s21, -1
	s_cbranch_vccz .LBB150_1484
; %bb.1453:
	v_cmp_gt_i16_e32 vcc_lo, 24, v7
	s_cbranch_vccnz .LBB150_1473
; %bb.1454:
	v_cmp_lt_i16_e32 vcc_lo, 24, v7
	s_cbranch_vccz .LBB150_1462
; %bb.1455:
	v_cvt_f32_f64_e32 v2, v[0:1]
	v_mov_b32_e32 v6, 0x80
	s_mov_b32 s21, exec_lo
	s_delay_alu instid0(VALU_DEP_2) | instskip(NEXT) | instid1(VALU_DEP_1)
	v_and_b32_e32 v3, 0x7fffffff, v2
	v_cmpx_gt_u32_e32 0x47800000, v3
	s_cbranch_execz .LBB150_1461
; %bb.1456:
	v_cmp_lt_u32_e32 vcc_lo, 0x37ffffff, v3
	s_mov_b32 s22, 0
                                        ; implicit-def: $vgpr3
	s_and_saveexec_b32 s23, vcc_lo
	s_delay_alu instid0(SALU_CYCLE_1)
	s_xor_b32 s23, exec_lo, s23
	s_cbranch_execz .LBB150_1813
; %bb.1457:
	v_bfe_u32 v3, v2, 21, 1
	s_mov_b32 s22, exec_lo
	s_delay_alu instid0(VALU_DEP_1) | instskip(NEXT) | instid1(VALU_DEP_1)
	v_add3_u32 v3, v2, v3, 0x88fffff
	v_lshrrev_b32_e32 v3, 21, v3
	s_or_saveexec_b32 s23, s23
                                        ; implicit-def: $sgpr24
	s_delay_alu instid0(SALU_CYCLE_1)
	s_xor_b32 exec_lo, exec_lo, s23
	s_cbranch_execnz .LBB150_1814
.LBB150_1458:
	s_or_b32 exec_lo, exec_lo, s23
	v_mov_b32_e32 v6, s24
	s_and_saveexec_b32 s23, s22
.LBB150_1459:
	v_lshrrev_b32_e32 v2, 24, v2
	s_delay_alu instid0(VALU_DEP_1)
	v_and_or_b32 v6, 0x80, v2, v3
.LBB150_1460:
	s_or_b32 exec_lo, exec_lo, s23
.LBB150_1461:
	s_delay_alu instid0(SALU_CYCLE_1)
	s_or_b32 exec_lo, exec_lo, s21
	s_mov_b32 s21, 0
	global_store_b8 v[4:5], v6, off
.LBB150_1462:
	s_and_b32 vcc_lo, exec_lo, s21
	s_cbranch_vccz .LBB150_1472
; %bb.1463:
	v_cvt_f32_f64_e32 v2, v[0:1]
	s_mov_b32 s21, exec_lo
                                        ; implicit-def: $vgpr3
	s_delay_alu instid0(VALU_DEP_1) | instskip(NEXT) | instid1(VALU_DEP_1)
	v_and_b32_e32 v6, 0x7fffffff, v2
	v_cmpx_gt_u32_e32 0x43f00000, v6
	s_xor_b32 s21, exec_lo, s21
	s_cbranch_execz .LBB150_1469
; %bb.1464:
	s_mov_b32 s22, exec_lo
                                        ; implicit-def: $vgpr3
	v_cmpx_lt_u32_e32 0x3c7fffff, v6
	s_xor_b32 s22, exec_lo, s22
; %bb.1465:
	v_bfe_u32 v3, v2, 20, 1
	s_delay_alu instid0(VALU_DEP_1) | instskip(NEXT) | instid1(VALU_DEP_1)
	v_add3_u32 v3, v2, v3, 0x407ffff
	v_and_b32_e32 v6, 0xff00000, v3
	v_lshrrev_b32_e32 v3, 20, v3
	s_delay_alu instid0(VALU_DEP_2) | instskip(NEXT) | instid1(VALU_DEP_2)
	v_cmp_ne_u32_e32 vcc_lo, 0x7f00000, v6
	v_cndmask_b32_e32 v3, 0x7e, v3, vcc_lo
; %bb.1466:
	s_and_not1_saveexec_b32 s22, s22
; %bb.1467:
	v_add_f32_e64 v3, 0x46800000, |v2|
; %bb.1468:
	s_or_b32 exec_lo, exec_lo, s22
                                        ; implicit-def: $vgpr6
.LBB150_1469:
	s_and_not1_saveexec_b32 s21, s21
; %bb.1470:
	v_mov_b32_e32 v3, 0x7f
	v_cmp_lt_u32_e32 vcc_lo, 0x7f800000, v6
	s_delay_alu instid0(VALU_DEP_2)
	v_cndmask_b32_e32 v3, 0x7e, v3, vcc_lo
; %bb.1471:
	s_or_b32 exec_lo, exec_lo, s21
	v_lshrrev_b32_e32 v2, 24, v2
	s_delay_alu instid0(VALU_DEP_1)
	v_and_or_b32 v2, 0x80, v2, v3
	global_store_b8 v[4:5], v2, off
.LBB150_1472:
	s_mov_b32 s21, 0
.LBB150_1473:
	s_delay_alu instid0(SALU_CYCLE_1)
	s_and_not1_b32 vcc_lo, exec_lo, s21
	s_cbranch_vccnz .LBB150_1483
; %bb.1474:
	s_delay_alu instid0(VALU_DEP_4) | instskip(SKIP_1) | instid1(VALU_DEP_1)
	v_cvt_f32_f64_e32 v2, v[0:1]
	s_mov_b32 s21, exec_lo
                                        ; implicit-def: $vgpr3
	v_and_b32_e32 v6, 0x7fffffff, v2
	s_delay_alu instid0(VALU_DEP_1)
	v_cmpx_gt_u32_e32 0x47800000, v6
	s_xor_b32 s21, exec_lo, s21
	s_cbranch_execz .LBB150_1480
; %bb.1475:
	s_mov_b32 s22, exec_lo
                                        ; implicit-def: $vgpr3
	v_cmpx_lt_u32_e32 0x387fffff, v6
	s_xor_b32 s22, exec_lo, s22
; %bb.1476:
	v_bfe_u32 v3, v2, 21, 1
	s_delay_alu instid0(VALU_DEP_1) | instskip(NEXT) | instid1(VALU_DEP_1)
	v_add3_u32 v3, v2, v3, 0x80fffff
	v_lshrrev_b32_e32 v3, 21, v3
; %bb.1477:
	s_and_not1_saveexec_b32 s22, s22
; %bb.1478:
	v_add_f32_e64 v3, 0x43000000, |v2|
; %bb.1479:
	s_or_b32 exec_lo, exec_lo, s22
                                        ; implicit-def: $vgpr6
.LBB150_1480:
	s_and_not1_saveexec_b32 s21, s21
; %bb.1481:
	v_mov_b32_e32 v3, 0x7f
	v_cmp_lt_u32_e32 vcc_lo, 0x7f800000, v6
	s_delay_alu instid0(VALU_DEP_2)
	v_cndmask_b32_e32 v3, 0x7c, v3, vcc_lo
; %bb.1482:
	s_or_b32 exec_lo, exec_lo, s21
	v_lshrrev_b32_e32 v2, 24, v2
	s_delay_alu instid0(VALU_DEP_1)
	v_and_or_b32 v2, 0x80, v2, v3
	global_store_b8 v[4:5], v2, off
.LBB150_1483:
	s_mov_b32 s21, 0
.LBB150_1484:
	s_delay_alu instid0(SALU_CYCLE_1)
	s_and_not1_b32 vcc_lo, exec_lo, s21
	s_mov_b32 s21, 0
	s_cbranch_vccnz .LBB150_1492
; %bb.1485:
	v_cmp_lt_i16_e32 vcc_lo, 14, v7
	s_mov_b32 s21, -1
	s_cbranch_vccz .LBB150_1489
; %bb.1486:
	v_cmp_eq_u16_e32 vcc_lo, 15, v7
	s_mov_b32 s0, -1
	s_cbranch_vccz .LBB150_1488
; %bb.1487:
	v_cvt_f32_f64_e32 v2, v[0:1]
	s_mov_b32 s0, 0
	s_delay_alu instid0(VALU_DEP_1) | instskip(SKIP_1) | instid1(VALU_DEP_2)
	v_bfe_u32 v3, v2, 16, 1
	v_cmp_o_f32_e32 vcc_lo, v2, v2
	v_add3_u32 v3, v2, v3, 0x7fff
	s_delay_alu instid0(VALU_DEP_1) | instskip(NEXT) | instid1(VALU_DEP_1)
	v_lshrrev_b32_e32 v3, 16, v3
	v_cndmask_b32_e32 v2, 0x7fc0, v3, vcc_lo
	global_store_b16 v[4:5], v2, off
.LBB150_1488:
	s_mov_b32 s21, 0
.LBB150_1489:
	s_delay_alu instid0(SALU_CYCLE_1)
	s_and_b32 vcc_lo, exec_lo, s21
	s_mov_b32 s21, 0
	s_cbranch_vccz .LBB150_1492
; %bb.1490:
	v_cmp_ne_u16_e32 vcc_lo, 11, v7
	s_and_not1_b32 s0, s0, exec_lo
	s_mov_b32 s21, -1
	s_and_b32 s22, vcc_lo, exec_lo
	s_delay_alu instid0(SALU_CYCLE_1)
	s_or_b32 s0, s0, s22
	s_branch .LBB150_1492
.LBB150_1491:
	s_mov_b32 s21, 0
.LBB150_1492:
	s_and_not1_b32 s18, s18, exec_lo
	s_and_b32 s22, s0, exec_lo
	s_and_b32 s20, s20, exec_lo
	;; [unrolled: 1-line block ×3, first 2 shown]
	s_or_b32 s18, s18, s22
.LBB150_1493:
	s_or_b32 exec_lo, exec_lo, s19
	s_and_saveexec_b32 s19, s18
	s_cbranch_execnz .LBB150_1555
; %bb.1494:
	s_or_b32 exec_lo, exec_lo, s19
	s_and_saveexec_b32 s18, s0
	s_delay_alu instid0(SALU_CYCLE_1)
	s_xor_b32 s0, exec_lo, s18
	s_cbranch_execz .LBB150_1496
.LBB150_1495:
	s_waitcnt vmcnt(0)
	s_delay_alu instid0(VALU_DEP_1)
	v_cmp_neq_f64_e32 vcc_lo, 0, v[0:1]
	v_cndmask_b32_e64 v2, 0, 1, vcc_lo
	global_store_b8 v[4:5], v2, off
.LBB150_1496:
	s_or_b32 exec_lo, exec_lo, s0
	s_and_saveexec_b32 s0, s20
	s_delay_alu instid0(SALU_CYCLE_1)
	s_xor_b32 s0, exec_lo, s0
	s_cbranch_execz .LBB150_1534
; %bb.1497:
	s_waitcnt vmcnt(0)
	v_cmp_gt_i16_e32 vcc_lo, 5, v7
	s_mov_b32 s18, -1
	s_cbranch_vccnz .LBB150_1518
; %bb.1498:
	v_cmp_gt_i16_e32 vcc_lo, 8, v7
	s_cbranch_vccnz .LBB150_1508
; %bb.1499:
	v_cmp_gt_i16_e32 vcc_lo, 9, v7
	s_cbranch_vccnz .LBB150_1505
; %bb.1500:
	v_cmp_lt_i16_e32 vcc_lo, 9, v7
	s_cbranch_vccz .LBB150_1502
; %bb.1501:
	v_mov_b32_e32 v2, 0
	s_mov_b32 s18, 0
	s_delay_alu instid0(VALU_DEP_1)
	v_mov_b32_e32 v3, v2
	global_store_b128 v[4:5], v[0:3], off
.LBB150_1502:
	s_and_not1_b32 vcc_lo, exec_lo, s18
	s_cbranch_vccnz .LBB150_1504
; %bb.1503:
	v_cvt_f32_f64_e32 v2, v[0:1]
	v_mov_b32_e32 v3, 0
	global_store_b64 v[4:5], v[2:3], off
.LBB150_1504:
	s_mov_b32 s18, 0
.LBB150_1505:
	s_delay_alu instid0(SALU_CYCLE_1)
	s_and_not1_b32 vcc_lo, exec_lo, s18
	s_cbranch_vccnz .LBB150_1507
; %bb.1506:
	s_delay_alu instid0(VALU_DEP_4) | instskip(NEXT) | instid1(VALU_DEP_1)
	v_cvt_f32_f64_e32 v2, v[0:1]
	v_cvt_f16_f32_e32 v2, v2
	s_delay_alu instid0(VALU_DEP_1)
	v_and_b32_e32 v2, 0xffff, v2
	global_store_b32 v[4:5], v2, off
.LBB150_1507:
	s_mov_b32 s18, 0
.LBB150_1508:
	s_delay_alu instid0(SALU_CYCLE_1)
	s_and_not1_b32 vcc_lo, exec_lo, s18
	s_cbranch_vccnz .LBB150_1517
; %bb.1509:
	v_cmp_gt_i16_e32 vcc_lo, 6, v7
	s_mov_b32 s18, -1
	s_cbranch_vccnz .LBB150_1515
; %bb.1510:
	v_cmp_lt_i16_e32 vcc_lo, 6, v7
	s_cbranch_vccz .LBB150_1512
; %bb.1511:
	s_mov_b32 s18, 0
	global_store_b64 v[4:5], v[0:1], off
.LBB150_1512:
	s_and_not1_b32 vcc_lo, exec_lo, s18
	s_cbranch_vccnz .LBB150_1514
; %bb.1513:
	v_cvt_f32_f64_e32 v2, v[0:1]
	global_store_b32 v[4:5], v2, off
.LBB150_1514:
	s_mov_b32 s18, 0
.LBB150_1515:
	s_delay_alu instid0(SALU_CYCLE_1)
	s_and_not1_b32 vcc_lo, exec_lo, s18
	s_cbranch_vccnz .LBB150_1517
; %bb.1516:
	s_delay_alu instid0(VALU_DEP_4) | instskip(NEXT) | instid1(VALU_DEP_1)
	v_cvt_f32_f64_e32 v2, v[0:1]
	v_cvt_f16_f32_e32 v2, v2
	global_store_b16 v[4:5], v2, off
.LBB150_1517:
	s_mov_b32 s18, 0
.LBB150_1518:
	s_delay_alu instid0(SALU_CYCLE_1)
	s_and_not1_b32 vcc_lo, exec_lo, s18
	s_cbranch_vccnz .LBB150_1534
; %bb.1519:
	v_cmp_gt_i16_e32 vcc_lo, 2, v7
	s_mov_b32 s18, -1
	s_cbranch_vccnz .LBB150_1529
; %bb.1520:
	v_cmp_gt_i16_e32 vcc_lo, 3, v7
	s_cbranch_vccnz .LBB150_1526
; %bb.1521:
	v_cmp_lt_i16_e32 vcc_lo, 3, v7
	s_cbranch_vccz .LBB150_1523
; %bb.1522:
	v_trunc_f64_e32 v[2:3], v[0:1]
	s_mov_b32 s18, 0
	s_delay_alu instid0(VALU_DEP_1) | instskip(NEXT) | instid1(VALU_DEP_1)
	v_ldexp_f64 v[8:9], v[2:3], 0xffffffe0
	v_floor_f64_e32 v[8:9], v[8:9]
	s_delay_alu instid0(VALU_DEP_1) | instskip(SKIP_1) | instid1(VALU_DEP_2)
	v_fma_f64 v[2:3], 0xc1f00000, v[8:9], v[2:3]
	v_cvt_i32_f64_e32 v9, v[8:9]
	v_cvt_u32_f64_e32 v8, v[2:3]
	global_store_b64 v[4:5], v[8:9], off
.LBB150_1523:
	s_and_not1_b32 vcc_lo, exec_lo, s18
	s_cbranch_vccnz .LBB150_1525
; %bb.1524:
	v_cvt_i32_f64_e32 v2, v[0:1]
	global_store_b32 v[4:5], v2, off
.LBB150_1525:
	s_mov_b32 s18, 0
.LBB150_1526:
	s_delay_alu instid0(SALU_CYCLE_1)
	s_and_not1_b32 vcc_lo, exec_lo, s18
	s_cbranch_vccnz .LBB150_1528
; %bb.1527:
	s_delay_alu instid0(VALU_DEP_4)
	v_cvt_i32_f64_e32 v2, v[0:1]
	global_store_b16 v[4:5], v2, off
.LBB150_1528:
	s_mov_b32 s18, 0
.LBB150_1529:
	s_delay_alu instid0(SALU_CYCLE_1)
	s_and_not1_b32 vcc_lo, exec_lo, s18
	s_cbranch_vccnz .LBB150_1534
; %bb.1530:
	v_cmp_lt_i16_e32 vcc_lo, 0, v7
	s_mov_b32 s18, -1
	s_cbranch_vccz .LBB150_1532
; %bb.1531:
	s_delay_alu instid0(VALU_DEP_4)
	v_cvt_i32_f64_e32 v2, v[0:1]
	s_mov_b32 s18, 0
	global_store_b8 v[4:5], v2, off
.LBB150_1532:
	s_and_not1_b32 vcc_lo, exec_lo, s18
	s_cbranch_vccnz .LBB150_1534
; %bb.1533:
	v_trunc_f64_e32 v[0:1], v[0:1]
	s_delay_alu instid0(VALU_DEP_1) | instskip(NEXT) | instid1(VALU_DEP_1)
	v_ldexp_f64 v[2:3], v[0:1], 0xffffffe0
	v_floor_f64_e32 v[2:3], v[2:3]
	s_delay_alu instid0(VALU_DEP_1) | instskip(NEXT) | instid1(VALU_DEP_1)
	v_fma_f64 v[0:1], 0xc1f00000, v[2:3], v[0:1]
	v_cvt_u32_f64_e32 v0, v[0:1]
	global_store_b8 v[4:5], v0, off
.LBB150_1534:
	s_or_b32 exec_lo, exec_lo, s0
	s_delay_alu instid0(SALU_CYCLE_1)
	s_and_b32 s18, s1, exec_lo
                                        ; implicit-def: $vgpr16
.LBB150_1535:
	s_or_saveexec_b32 s17, s17
	s_mov_b32 s0, 0
                                        ; implicit-def: $vgpr15
                                        ; implicit-def: $vgpr4_vgpr5
                                        ; implicit-def: $vgpr0_vgpr1
	s_xor_b32 exec_lo, exec_lo, s17
	s_cbranch_execz .LBB150_3022
; %bb.1536:
	s_waitcnt vmcnt(0)
	v_mul_lo_u32 v6, s9, v16
	v_and_b32_e64 v14, 0xff, s16
	s_delay_alu instid0(VALU_DEP_1) | instskip(NEXT) | instid1(VALU_DEP_3)
	v_cmp_gt_i16_e32 vcc_lo, 11, v14
	v_ashrrev_i32_e32 v0, 31, v6
	v_add_co_u32 v2, s0, s6, v6
	s_delay_alu instid0(VALU_DEP_1)
	v_add_co_ci_u32_e64 v3, s0, s7, v0, s0
	s_cbranch_vccnz .LBB150_1543
; %bb.1537:
	v_cmp_lt_i16_e32 vcc_lo, 25, v14
	s_mov_b32 s16, 0
	s_cbranch_vccz .LBB150_1549
; %bb.1538:
	v_cmp_lt_i16_e32 vcc_lo, 28, v14
	s_cbranch_vccz .LBB150_1551
; %bb.1539:
	v_cmp_lt_i16_e32 vcc_lo, 43, v14
	;; [unrolled: 3-line block ×3, first 2 shown]
	s_cbranch_vccz .LBB150_1557
; %bb.1541:
	v_cmp_eq_u16_e32 vcc_lo, 46, v14
	s_mov_b32 s1, 0
	s_cbranch_vccz .LBB150_1597
; %bb.1542:
	global_load_b32 v0, v[2:3], off
	s_mov_b32 s0, -1
	s_waitcnt vmcnt(0)
	v_lshlrev_b32_e32 v0, 16, v0
	s_delay_alu instid0(VALU_DEP_1)
	v_cvt_f64_f32_e32 v[0:1], v0
	s_branch .LBB150_1599
.LBB150_1543:
	s_mov_b32 s0, 0
	s_mov_b32 s15, s18
                                        ; implicit-def: $vgpr0_vgpr1
	s_cbranch_execz .LBB150_1662
; %bb.1544:
	v_cmp_gt_i16_e32 vcc_lo, 5, v14
	s_cbranch_vccnz .LBB150_1550
; %bb.1545:
	v_cmp_gt_i16_e32 vcc_lo, 8, v14
	s_cbranch_vccnz .LBB150_1552
	;; [unrolled: 3-line block ×3, first 2 shown]
; %bb.1547:
	v_cmp_lt_i16_e32 vcc_lo, 9, v14
	s_cbranch_vccz .LBB150_1558
; %bb.1548:
	global_load_b64 v[0:1], v[2:3], off
	s_mov_b32 s0, 0
	s_branch .LBB150_1559
.LBB150_1549:
	s_mov_b32 s0, 0
                                        ; implicit-def: $vgpr0_vgpr1
	s_cbranch_execnz .LBB150_1629
	s_branch .LBB150_1658
.LBB150_1550:
                                        ; implicit-def: $vgpr0_vgpr1
	s_branch .LBB150_1576
.LBB150_1551:
	s_mov_b32 s1, -1
	s_mov_b32 s0, 0
                                        ; implicit-def: $vgpr0_vgpr1
	s_branch .LBB150_1608
.LBB150_1552:
                                        ; implicit-def: $vgpr0_vgpr1
	s_branch .LBB150_1565
.LBB150_1553:
	s_mov_b32 s0, 0
                                        ; implicit-def: $vgpr0_vgpr1
	s_cbranch_execnz .LBB150_1604
	s_branch .LBB150_1607
.LBB150_1554:
	s_mov_b32 s0, -1
                                        ; implicit-def: $vgpr0_vgpr1
	s_branch .LBB150_1562
.LBB150_1555:
	s_cbranch_execnz .LBB150_1595
; %bb.1556:
	s_or_b32 s1, s1, exec_lo
	s_and_not1_b32 s0, s0, exec_lo
	s_or_b32 exec_lo, exec_lo, s19
	s_and_saveexec_b32 s18, s0
	s_delay_alu instid0(SALU_CYCLE_1)
	s_xor_b32 s0, exec_lo, s18
	s_cbranch_execnz .LBB150_1495
	s_branch .LBB150_1496
.LBB150_1557:
	s_mov_b32 s1, -1
	s_branch .LBB150_1598
.LBB150_1558:
	s_mov_b32 s0, -1
                                        ; implicit-def: $vgpr0_vgpr1
.LBB150_1559:
	s_delay_alu instid0(SALU_CYCLE_1)
	s_and_not1_b32 vcc_lo, exec_lo, s0
	s_cbranch_vccnz .LBB150_1561
; %bb.1560:
	global_load_b32 v0, v[2:3], off
	s_waitcnt vmcnt(0)
	v_cvt_f64_f32_e32 v[0:1], v0
.LBB150_1561:
	s_mov_b32 s0, 0
.LBB150_1562:
	s_delay_alu instid0(SALU_CYCLE_1)
	s_and_not1_b32 vcc_lo, exec_lo, s0
	s_cbranch_vccnz .LBB150_1564
; %bb.1563:
	global_load_b32 v0, v[2:3], off
	s_waitcnt vmcnt(0)
	v_cvt_f32_f16_e32 v0, v0
	s_delay_alu instid0(VALU_DEP_1)
	v_cvt_f64_f32_e32 v[0:1], v0
.LBB150_1564:
	s_cbranch_execnz .LBB150_1575
.LBB150_1565:
	v_cmp_gt_i16_e32 vcc_lo, 6, v14
	s_cbranch_vccnz .LBB150_1568
; %bb.1566:
	v_cmp_lt_i16_e32 vcc_lo, 6, v14
	s_cbranch_vccz .LBB150_1569
; %bb.1567:
	global_load_b64 v[0:1], v[2:3], off
	s_mov_b32 s0, 0
	s_branch .LBB150_1570
.LBB150_1568:
	s_mov_b32 s0, -1
                                        ; implicit-def: $vgpr0_vgpr1
	s_branch .LBB150_1573
.LBB150_1569:
	s_mov_b32 s0, -1
                                        ; implicit-def: $vgpr0_vgpr1
.LBB150_1570:
	s_delay_alu instid0(SALU_CYCLE_1)
	s_and_not1_b32 vcc_lo, exec_lo, s0
	s_cbranch_vccnz .LBB150_1572
; %bb.1571:
	global_load_b32 v0, v[2:3], off
	s_waitcnt vmcnt(0)
	v_cvt_f64_f32_e32 v[0:1], v0
.LBB150_1572:
	s_mov_b32 s0, 0
.LBB150_1573:
	s_delay_alu instid0(SALU_CYCLE_1)
	s_and_not1_b32 vcc_lo, exec_lo, s0
	s_cbranch_vccnz .LBB150_1575
; %bb.1574:
	global_load_u16 v0, v[2:3], off
	s_waitcnt vmcnt(0)
	v_cvt_f32_f16_e32 v0, v0
	s_delay_alu instid0(VALU_DEP_1)
	v_cvt_f64_f32_e32 v[0:1], v0
.LBB150_1575:
	s_cbranch_execnz .LBB150_1594
.LBB150_1576:
	v_cmp_gt_i16_e32 vcc_lo, 2, v14
	s_cbranch_vccnz .LBB150_1580
; %bb.1577:
	v_cmp_gt_i16_e32 vcc_lo, 3, v14
	s_cbranch_vccnz .LBB150_1581
; %bb.1578:
	v_cmp_lt_i16_e32 vcc_lo, 3, v14
	s_cbranch_vccz .LBB150_1582
; %bb.1579:
	global_load_b64 v[0:1], v[2:3], off
	s_mov_b32 s0, 0
	s_waitcnt vmcnt(0)
	v_cvt_f64_i32_e32 v[4:5], v1
	v_cvt_f64_u32_e32 v[0:1], v0
	s_delay_alu instid0(VALU_DEP_2) | instskip(NEXT) | instid1(VALU_DEP_1)
	v_ldexp_f64 v[4:5], v[4:5], 32
	v_add_f64 v[0:1], v[4:5], v[0:1]
	s_branch .LBB150_1583
.LBB150_1580:
                                        ; implicit-def: $vgpr0_vgpr1
	s_branch .LBB150_1589
.LBB150_1581:
	s_mov_b32 s0, -1
                                        ; implicit-def: $vgpr0_vgpr1
	s_branch .LBB150_1586
.LBB150_1582:
	s_mov_b32 s0, -1
                                        ; implicit-def: $vgpr0_vgpr1
.LBB150_1583:
	s_delay_alu instid0(SALU_CYCLE_1)
	s_and_not1_b32 vcc_lo, exec_lo, s0
	s_cbranch_vccnz .LBB150_1585
; %bb.1584:
	global_load_b32 v0, v[2:3], off
	s_waitcnt vmcnt(0)
	v_cvt_f64_i32_e32 v[0:1], v0
.LBB150_1585:
	s_mov_b32 s0, 0
.LBB150_1586:
	s_delay_alu instid0(SALU_CYCLE_1)
	s_and_not1_b32 vcc_lo, exec_lo, s0
	s_cbranch_vccnz .LBB150_1588
; %bb.1587:
	global_load_i16 v0, v[2:3], off
	s_waitcnt vmcnt(0)
	v_cvt_f64_i32_e32 v[0:1], v0
.LBB150_1588:
	s_cbranch_execnz .LBB150_1594
.LBB150_1589:
	v_cmp_lt_i16_e32 vcc_lo, 0, v14
	s_mov_b32 s0, 0
	s_cbranch_vccz .LBB150_1591
; %bb.1590:
	global_load_i8 v0, v[2:3], off
	s_waitcnt vmcnt(0)
	v_cvt_f64_i32_e32 v[0:1], v0
	s_branch .LBB150_1592
.LBB150_1591:
	s_mov_b32 s0, -1
                                        ; implicit-def: $vgpr0_vgpr1
.LBB150_1592:
	s_delay_alu instid0(SALU_CYCLE_1)
	s_and_not1_b32 vcc_lo, exec_lo, s0
	s_cbranch_vccnz .LBB150_1594
; %bb.1593:
	global_load_u8 v0, v[2:3], off
	s_waitcnt vmcnt(0)
	v_cvt_f64_u32_e32 v[0:1], v0
.LBB150_1594:
                                        ; implicit-def: $vgpr2_vgpr3
	s_branch .LBB150_1663
.LBB150_1595:
	s_trap 2
	s_sendmsg_rtn_b32 s0, sendmsg(MSG_RTN_GET_DOORBELL)
	s_mov_b32 ttmp2, m0
	s_waitcnt lgkmcnt(0)
	s_and_b32 s0, s0, 0x3ff
	s_delay_alu instid0(SALU_CYCLE_1) | instskip(NEXT) | instid1(SALU_CYCLE_1)
	s_bitset1_b32 s0, 10
	s_mov_b32 m0, s0
	s_sendmsg sendmsg(MSG_INTERRUPT)
	s_mov_b32 m0, ttmp2
.LBB150_1596:                           ; =>This Inner Loop Header: Depth=1
	s_sethalt 5
	s_branch .LBB150_1596
.LBB150_1597:
	s_mov_b32 s15, -1
.LBB150_1598:
	s_mov_b32 s0, 0
                                        ; implicit-def: $vgpr0_vgpr1
.LBB150_1599:
	s_and_b32 vcc_lo, exec_lo, s1
	s_cbranch_vccz .LBB150_1602
; %bb.1600:
	v_cmp_eq_u16_e32 vcc_lo, 44, v14
	s_cbranch_vccz .LBB150_1603
; %bb.1601:
	global_load_u8 v4, v[2:3], off
	s_mov_b32 s15, 0
	s_mov_b32 s0, -1
	s_waitcnt vmcnt(0)
	v_cmp_ne_u32_e32 vcc_lo, 0xff, v4
	v_lshlrev_b32_e32 v0, 23, v4
	s_delay_alu instid0(VALU_DEP_1) | instskip(NEXT) | instid1(VALU_DEP_1)
	v_cvt_f64_f32_e32 v[0:1], v0
	v_cndmask_b32_e32 v1, 0x7ff80000, v1, vcc_lo
	s_delay_alu instid0(VALU_DEP_2) | instskip(SKIP_1) | instid1(VALU_DEP_3)
	v_cndmask_b32_e32 v0, 0x20000000, v0, vcc_lo
	v_cmp_ne_u32_e32 vcc_lo, 0, v4
	v_cndmask_b32_e32 v1, 0x38000000, v1, vcc_lo
	s_delay_alu instid0(VALU_DEP_3)
	v_cndmask_b32_e32 v0, 0, v0, vcc_lo
.LBB150_1602:
	s_branch .LBB150_1607
.LBB150_1603:
	s_mov_b32 s15, -1
                                        ; implicit-def: $vgpr0_vgpr1
	s_branch .LBB150_1607
.LBB150_1604:
	v_cmp_eq_u16_e32 vcc_lo, 29, v14
	s_cbranch_vccz .LBB150_1606
; %bb.1605:
	global_load_b64 v[0:1], v[2:3], off
	s_mov_b32 s15, 0
	s_mov_b32 s0, -1
	s_mov_b32 s1, 0
	s_waitcnt vmcnt(0)
	v_cvt_f64_u32_e32 v[4:5], v1
	v_cvt_f64_u32_e32 v[0:1], v0
	s_delay_alu instid0(VALU_DEP_2) | instskip(NEXT) | instid1(VALU_DEP_1)
	v_ldexp_f64 v[4:5], v[4:5], 32
	v_add_f64 v[0:1], v[4:5], v[0:1]
	s_branch .LBB150_1608
.LBB150_1606:
	s_mov_b32 s15, -1
                                        ; implicit-def: $vgpr0_vgpr1
.LBB150_1607:
	s_mov_b32 s1, 0
.LBB150_1608:
	s_delay_alu instid0(SALU_CYCLE_1)
	s_and_b32 vcc_lo, exec_lo, s1
	s_cbranch_vccz .LBB150_1628
; %bb.1609:
	v_cmp_gt_i16_e32 vcc_lo, 27, v14
	s_cbranch_vccnz .LBB150_1612
; %bb.1610:
	v_cmp_lt_i16_e32 vcc_lo, 27, v14
	s_cbranch_vccz .LBB150_1613
; %bb.1611:
	global_load_b32 v0, v[2:3], off
	s_mov_b32 s0, 0
	s_waitcnt vmcnt(0)
	v_cvt_f64_u32_e32 v[0:1], v0
	s_branch .LBB150_1614
.LBB150_1612:
	s_mov_b32 s0, -1
                                        ; implicit-def: $vgpr0_vgpr1
	s_branch .LBB150_1617
.LBB150_1613:
	s_mov_b32 s0, -1
                                        ; implicit-def: $vgpr0_vgpr1
.LBB150_1614:
	s_delay_alu instid0(SALU_CYCLE_1)
	s_and_not1_b32 vcc_lo, exec_lo, s0
	s_cbranch_vccnz .LBB150_1616
; %bb.1615:
	global_load_u16 v0, v[2:3], off
	s_waitcnt vmcnt(0)
	v_cvt_f64_u32_e32 v[0:1], v0
.LBB150_1616:
	s_mov_b32 s0, 0
.LBB150_1617:
	s_delay_alu instid0(SALU_CYCLE_1)
	s_and_not1_b32 vcc_lo, exec_lo, s0
	s_cbranch_vccnz .LBB150_1627
; %bb.1618:
	global_load_u8 v4, v[2:3], off
	s_mov_b32 s19, 0
	s_mov_b32 s20, exec_lo
                                        ; implicit-def: $sgpr0_sgpr1
	s_waitcnt vmcnt(0)
	v_cmpx_lt_i16_e32 0x7f, v4
	s_xor_b32 s20, exec_lo, s20
	s_cbranch_execz .LBB150_1622
; %bb.1619:
	s_mov_b32 s21, -1
	s_mov_b32 s19, exec_lo
                                        ; implicit-def: $sgpr0_sgpr1
	v_cmpx_eq_u16_e32 0x80, v4
; %bb.1620:
	s_mov_b32 s1, 0x7ff80000
	s_brev_b32 s0, 4
	s_xor_b32 s21, exec_lo, -1
; %bb.1621:
	s_or_b32 exec_lo, exec_lo, s19
	s_delay_alu instid0(SALU_CYCLE_1)
	s_and_b32 s19, s21, exec_lo
.LBB150_1622:
	s_or_saveexec_b32 s20, s20
	v_dual_mov_b32 v0, s0 :: v_dual_mov_b32 v1, s1
	s_xor_b32 exec_lo, exec_lo, s20
; %bb.1623:
	v_cmp_ne_u16_e32 vcc_lo, 0, v4
	v_mov_b32_e32 v0, 0
	v_mov_b32_e32 v1, 0
	s_and_not1_b32 s0, s19, exec_lo
	s_and_b32 s1, vcc_lo, exec_lo
	s_delay_alu instid0(SALU_CYCLE_1)
	s_or_b32 s19, s0, s1
; %bb.1624:
	s_or_b32 exec_lo, exec_lo, s20
	s_and_saveexec_b32 s0, s19
	s_cbranch_execz .LBB150_1626
; %bb.1625:
	v_and_b32_e32 v0, 0xffff, v4
	v_lshlrev_b32_e32 v4, 24, v4
	s_delay_alu instid0(VALU_DEP_2) | instskip(NEXT) | instid1(VALU_DEP_2)
	v_and_b32_e32 v1, 7, v0
	v_and_b32_e32 v4, 0x80000000, v4
	s_delay_alu instid0(VALU_DEP_2) | instskip(NEXT) | instid1(VALU_DEP_1)
	v_clz_i32_u32_e32 v5, v1
	v_min_u32_e32 v5, 32, v5
	s_delay_alu instid0(VALU_DEP_1) | instskip(SKIP_1) | instid1(VALU_DEP_2)
	v_subrev_nc_u32_e32 v7, 28, v5
	v_sub_nc_u32_e32 v5, 29, v5
	v_lshlrev_b32_e32 v7, v7, v0
	v_bfe_u32 v0, v0, 3, 4
	s_delay_alu instid0(VALU_DEP_2) | instskip(NEXT) | instid1(VALU_DEP_2)
	v_and_b32_e32 v7, 7, v7
	v_cmp_eq_u32_e32 vcc_lo, 0, v0
	s_delay_alu instid0(VALU_DEP_2) | instskip(NEXT) | instid1(VALU_DEP_1)
	v_dual_cndmask_b32 v0, v0, v5 :: v_dual_cndmask_b32 v1, v1, v7
	v_lshl_add_u32 v0, v0, 23, 0x3b800000
	s_delay_alu instid0(VALU_DEP_2) | instskip(NEXT) | instid1(VALU_DEP_1)
	v_lshlrev_b32_e32 v1, 20, v1
	v_or3_b32 v0, v4, v0, v1
	s_delay_alu instid0(VALU_DEP_1)
	v_cvt_f64_f32_e32 v[0:1], v0
.LBB150_1626:
	s_or_b32 exec_lo, exec_lo, s0
.LBB150_1627:
	s_mov_b32 s0, -1
.LBB150_1628:
	s_branch .LBB150_1658
.LBB150_1629:
	v_cmp_lt_i16_e32 vcc_lo, 22, v14
	s_cbranch_vccz .LBB150_1641
; %bb.1630:
	v_cmp_gt_i16_e32 vcc_lo, 24, v14
	s_cbranch_vccnz .LBB150_1642
; %bb.1631:
	v_cmp_lt_i16_e32 vcc_lo, 24, v14
	s_cbranch_vccz .LBB150_1643
; %bb.1632:
	global_load_u8 v4, v[2:3], off
	s_mov_b32 s19, exec_lo
                                        ; implicit-def: $sgpr0_sgpr1
	s_waitcnt vmcnt(0)
	v_cmpx_lt_i16_e32 0x7f, v4
	s_xor_b32 s19, exec_lo, s19
	s_cbranch_execz .LBB150_1636
; %bb.1633:
	s_mov_b32 s20, -1
	s_mov_b32 s16, exec_lo
                                        ; implicit-def: $sgpr0_sgpr1
	v_cmpx_eq_u16_e32 0x80, v4
; %bb.1634:
	s_mov_b32 s1, 0x7ff80000
	s_brev_b32 s0, 4
	s_xor_b32 s20, exec_lo, -1
; %bb.1635:
	s_or_b32 exec_lo, exec_lo, s16
	s_delay_alu instid0(SALU_CYCLE_1)
	s_and_b32 s16, s20, exec_lo
.LBB150_1636:
	s_or_saveexec_b32 s19, s19
	v_dual_mov_b32 v0, s0 :: v_dual_mov_b32 v1, s1
	s_xor_b32 exec_lo, exec_lo, s19
; %bb.1637:
	v_cmp_ne_u16_e32 vcc_lo, 0, v4
	v_mov_b32_e32 v0, 0
	v_mov_b32_e32 v1, 0
	s_and_not1_b32 s0, s16, exec_lo
	s_and_b32 s1, vcc_lo, exec_lo
	s_delay_alu instid0(SALU_CYCLE_1)
	s_or_b32 s16, s0, s1
; %bb.1638:
	s_or_b32 exec_lo, exec_lo, s19
	s_and_saveexec_b32 s0, s16
	s_cbranch_execz .LBB150_1640
; %bb.1639:
	v_and_b32_e32 v0, 0xffff, v4
	v_lshlrev_b32_e32 v4, 24, v4
	s_delay_alu instid0(VALU_DEP_2) | instskip(NEXT) | instid1(VALU_DEP_2)
	v_and_b32_e32 v1, 3, v0
	v_and_b32_e32 v4, 0x80000000, v4
	s_delay_alu instid0(VALU_DEP_2) | instskip(NEXT) | instid1(VALU_DEP_1)
	v_clz_i32_u32_e32 v5, v1
	v_min_u32_e32 v5, 32, v5
	s_delay_alu instid0(VALU_DEP_1) | instskip(SKIP_1) | instid1(VALU_DEP_2)
	v_subrev_nc_u32_e32 v7, 29, v5
	v_sub_nc_u32_e32 v5, 30, v5
	v_lshlrev_b32_e32 v7, v7, v0
	v_bfe_u32 v0, v0, 2, 5
	s_delay_alu instid0(VALU_DEP_2) | instskip(NEXT) | instid1(VALU_DEP_2)
	v_and_b32_e32 v7, 3, v7
	v_cmp_eq_u32_e32 vcc_lo, 0, v0
	s_delay_alu instid0(VALU_DEP_2) | instskip(NEXT) | instid1(VALU_DEP_1)
	v_dual_cndmask_b32 v0, v0, v5 :: v_dual_cndmask_b32 v1, v1, v7
	v_lshl_add_u32 v0, v0, 23, 0x37800000
	s_delay_alu instid0(VALU_DEP_2) | instskip(NEXT) | instid1(VALU_DEP_1)
	v_lshlrev_b32_e32 v1, 21, v1
	v_or3_b32 v0, v4, v0, v1
	s_delay_alu instid0(VALU_DEP_1)
	v_cvt_f64_f32_e32 v[0:1], v0
.LBB150_1640:
	s_or_b32 exec_lo, exec_lo, s0
	s_mov_b32 s0, 0
	s_branch .LBB150_1644
.LBB150_1641:
                                        ; implicit-def: $vgpr0_vgpr1
	s_mov_b32 s16, 0
	s_branch .LBB150_1650
.LBB150_1642:
	s_mov_b32 s0, -1
                                        ; implicit-def: $vgpr0_vgpr1
	s_branch .LBB150_1647
.LBB150_1643:
	s_mov_b32 s0, -1
                                        ; implicit-def: $vgpr0_vgpr1
.LBB150_1644:
	s_delay_alu instid0(SALU_CYCLE_1)
	s_and_b32 vcc_lo, exec_lo, s0
	s_cbranch_vccz .LBB150_1646
; %bb.1645:
	global_load_u8 v0, v[2:3], off
	s_waitcnt vmcnt(0)
	v_lshlrev_b32_e32 v0, 24, v0
	s_delay_alu instid0(VALU_DEP_1) | instskip(NEXT) | instid1(VALU_DEP_1)
	v_and_b32_e32 v1, 0x7f000000, v0
	v_clz_i32_u32_e32 v4, v1
	v_add_nc_u32_e32 v7, 0x1000000, v1
	v_cmp_ne_u32_e32 vcc_lo, 0, v1
	s_delay_alu instid0(VALU_DEP_3) | instskip(NEXT) | instid1(VALU_DEP_1)
	v_min_u32_e32 v4, 32, v4
	v_sub_nc_u32_e64 v4, v4, 4 clamp
	s_delay_alu instid0(VALU_DEP_1) | instskip(SKIP_1) | instid1(VALU_DEP_2)
	v_lshlrev_b32_e32 v5, v4, v1
	v_lshlrev_b32_e32 v4, 23, v4
	v_lshrrev_b32_e32 v5, 4, v5
	s_delay_alu instid0(VALU_DEP_1) | instskip(SKIP_1) | instid1(VALU_DEP_2)
	v_sub_nc_u32_e32 v4, v5, v4
	v_ashrrev_i32_e32 v5, 8, v7
	v_add_nc_u32_e32 v4, 0x3c000000, v4
	s_delay_alu instid0(VALU_DEP_1) | instskip(NEXT) | instid1(VALU_DEP_1)
	v_and_or_b32 v4, 0x7f800000, v5, v4
	v_cndmask_b32_e32 v1, 0, v4, vcc_lo
	s_delay_alu instid0(VALU_DEP_1) | instskip(NEXT) | instid1(VALU_DEP_1)
	v_and_or_b32 v0, 0x80000000, v0, v1
	v_cvt_f64_f32_e32 v[0:1], v0
.LBB150_1646:
	s_mov_b32 s0, 0
.LBB150_1647:
	s_delay_alu instid0(SALU_CYCLE_1)
	s_and_not1_b32 vcc_lo, exec_lo, s0
	s_cbranch_vccnz .LBB150_1649
; %bb.1648:
	global_load_u8 v0, v[2:3], off
	s_waitcnt vmcnt(0)
	v_lshlrev_b32_e32 v1, 25, v0
	v_lshlrev_b16 v0, 8, v0
	s_delay_alu instid0(VALU_DEP_2) | instskip(NEXT) | instid1(VALU_DEP_2)
	v_lshrrev_b32_e32 v4, 4, v1
	v_and_or_b32 v5, 0x7f00, v0, 0.5
	v_cmp_gt_u32_e32 vcc_lo, 0x8000000, v1
	v_bfe_i32 v0, v0, 0, 16
	s_delay_alu instid0(VALU_DEP_4) | instskip(NEXT) | instid1(VALU_DEP_1)
	v_or_b32_e32 v4, 0x70000000, v4
	v_dual_add_f32 v5, -0.5, v5 :: v_dual_mul_f32 v4, 0x7800000, v4
	s_delay_alu instid0(VALU_DEP_1) | instskip(NEXT) | instid1(VALU_DEP_1)
	v_cndmask_b32_e32 v1, v4, v5, vcc_lo
	v_and_or_b32 v0, 0x80000000, v0, v1
	s_delay_alu instid0(VALU_DEP_1)
	v_cvt_f64_f32_e32 v[0:1], v0
.LBB150_1649:
	s_mov_b32 s0, -1
	s_mov_b32 s16, 0
	s_cbranch_execnz .LBB150_1658
.LBB150_1650:
	v_cmp_lt_i16_e32 vcc_lo, 14, v14
	s_cbranch_vccz .LBB150_1653
; %bb.1651:
	v_cmp_eq_u16_e32 vcc_lo, 15, v14
	s_cbranch_vccz .LBB150_1654
; %bb.1652:
	global_load_u16 v0, v[2:3], off
	s_mov_b32 s15, 0
	s_mov_b32 s0, -1
	s_waitcnt vmcnt(0)
	v_lshlrev_b32_e32 v0, 16, v0
	s_delay_alu instid0(VALU_DEP_1)
	v_cvt_f64_f32_e32 v[0:1], v0
	s_branch .LBB150_1655
.LBB150_1653:
	s_mov_b32 s1, -1
                                        ; implicit-def: $vgpr0_vgpr1
	s_branch .LBB150_1656
.LBB150_1654:
	s_mov_b32 s15, -1
                                        ; implicit-def: $vgpr0_vgpr1
.LBB150_1655:
	s_mov_b32 s1, 0
.LBB150_1656:
	s_delay_alu instid0(SALU_CYCLE_1)
	s_and_b32 vcc_lo, exec_lo, s1
	s_cbranch_vccz .LBB150_1658
; %bb.1657:
	v_cmp_ne_u16_e64 s15, 11, v14
	s_mov_b32 s16, -1
                                        ; implicit-def: $vgpr0_vgpr1
.LBB150_1658:
	s_delay_alu instid0(VALU_DEP_1)
	s_and_b32 vcc_lo, exec_lo, s15
	s_mov_b32 s15, s18
	s_cbranch_vccnz .LBB150_1682
; %bb.1659:
	s_and_not1_b32 vcc_lo, exec_lo, s16
	s_cbranch_vccnz .LBB150_1661
.LBB150_1660:
	global_load_u8 v0, v[2:3], off
	s_mov_b32 s0, -1
	s_waitcnt vmcnt(0)
	v_cmp_ne_u16_e32 vcc_lo, 0, v0
	v_mov_b32_e32 v0, 0
	v_cndmask_b32_e64 v1, 0, 0x3ff00000, vcc_lo
.LBB150_1661:
.LBB150_1662:
	s_and_not1_b32 vcc_lo, exec_lo, s0
                                        ; implicit-def: $vgpr2_vgpr3
	s_cbranch_vccnz .LBB150_3020
.LBB150_1663:
	v_mul_lo_u32 v8, s10, v16
	v_and_b32_e64 v17, 0xff, s11
	s_delay_alu instid0(VALU_DEP_1) | instskip(NEXT) | instid1(VALU_DEP_3)
	v_cmp_gt_i16_e32 vcc_lo, 11, v17
	v_ashrrev_i32_e32 v2, 31, v8
	v_add_co_u32 v4, s0, s12, v8
	s_delay_alu instid0(VALU_DEP_1)
	v_add_co_ci_u32_e64 v5, s0, s13, v2, s0
	s_cbranch_vccnz .LBB150_1670
; %bb.1664:
	v_cmp_lt_i16_e32 vcc_lo, 25, v17
	s_mov_b32 s1, 0
	s_cbranch_vccz .LBB150_1676
; %bb.1665:
	v_cmp_lt_i16_e32 vcc_lo, 28, v17
	s_cbranch_vccz .LBB150_1678
; %bb.1666:
	v_cmp_lt_i16_e32 vcc_lo, 43, v17
	;; [unrolled: 3-line block ×3, first 2 shown]
	s_cbranch_vccz .LBB150_1684
; %bb.1668:
	v_cmp_eq_u16_e32 vcc_lo, 46, v17
	s_mov_b32 s16, 0
	s_cbranch_vccz .LBB150_1728
; %bb.1669:
	global_load_b32 v2, v[4:5], off
	s_mov_b32 s0, 0
	s_mov_b32 s11, -1
	s_waitcnt vmcnt(0)
	v_lshlrev_b32_e32 v2, 16, v2
	s_delay_alu instid0(VALU_DEP_1) | instskip(NEXT) | instid1(VALU_DEP_1)
	v_trunc_f32_e32 v2, v2
	v_mul_f32_e64 v3, 0x2f800000, |v2|
	s_delay_alu instid0(VALU_DEP_1) | instskip(NEXT) | instid1(VALU_DEP_1)
	v_floor_f32_e32 v3, v3
	v_fma_f32 v3, 0xcf800000, v3, |v2|
	v_ashrrev_i32_e32 v2, 31, v2
	s_delay_alu instid0(VALU_DEP_2) | instskip(NEXT) | instid1(VALU_DEP_1)
	v_cvt_u32_f32_e32 v3, v3
	v_xor_b32_e32 v3, v3, v2
	s_delay_alu instid0(VALU_DEP_1)
	v_sub_nc_u32_e32 v2, v3, v2
	s_branch .LBB150_1730
.LBB150_1670:
	s_mov_b32 s11, 0
                                        ; implicit-def: $vgpr2
	s_cbranch_execz .LBB150_1791
; %bb.1671:
	v_cmp_gt_i16_e32 vcc_lo, 5, v17
	s_cbranch_vccnz .LBB150_1677
; %bb.1672:
	v_cmp_gt_i16_e32 vcc_lo, 8, v17
	s_cbranch_vccnz .LBB150_1679
	;; [unrolled: 3-line block ×3, first 2 shown]
; %bb.1674:
	v_cmp_lt_i16_e32 vcc_lo, 9, v17
	s_cbranch_vccz .LBB150_1687
; %bb.1675:
	global_load_b64 v[2:3], v[4:5], off
	s_mov_b32 s0, 0
	s_waitcnt vmcnt(0)
	v_trunc_f64_e32 v[2:3], v[2:3]
	s_delay_alu instid0(VALU_DEP_1) | instskip(NEXT) | instid1(VALU_DEP_1)
	v_ldexp_f64 v[9:10], v[2:3], 0xffffffe0
	v_floor_f64_e32 v[9:10], v[9:10]
	s_delay_alu instid0(VALU_DEP_1) | instskip(NEXT) | instid1(VALU_DEP_1)
	v_fma_f64 v[2:3], 0xc1f00000, v[9:10], v[2:3]
	v_cvt_u32_f64_e32 v2, v[2:3]
	s_branch .LBB150_1688
.LBB150_1676:
	s_mov_b32 s11, 0
	s_mov_b32 s0, 0
                                        ; implicit-def: $vgpr2
	s_cbranch_execnz .LBB150_1757
	s_branch .LBB150_1787
.LBB150_1677:
                                        ; implicit-def: $vgpr2
	s_branch .LBB150_1706
.LBB150_1678:
	s_mov_b32 s16, -1
	s_mov_b32 s11, 0
	s_mov_b32 s0, 0
                                        ; implicit-def: $vgpr2
	s_branch .LBB150_1740
.LBB150_1679:
	s_mov_b32 s0, -1
                                        ; implicit-def: $vgpr2
	s_branch .LBB150_1694
.LBB150_1680:
	s_mov_b32 s16, -1
	s_mov_b32 s11, 0
	s_mov_b32 s0, 0
                                        ; implicit-def: $vgpr2
	s_branch .LBB150_1735
.LBB150_1681:
	s_mov_b32 s0, -1
                                        ; implicit-def: $vgpr2
	s_branch .LBB150_1691
.LBB150_1682:
	s_cbranch_execnz .LBB150_1726
; %bb.1683:
	s_or_b32 s15, s18, exec_lo
                                        ; implicit-def: $vgpr0_vgpr1
	s_cbranch_execz .LBB150_1660
	s_branch .LBB150_1661
.LBB150_1684:
	s_mov_b32 s16, -1
	s_mov_b32 s11, 0
	s_mov_b32 s0, 0
	s_branch .LBB150_1729
.LBB150_1685:
	s_or_saveexec_b32 s22, s22
                                        ; implicit-def: $sgpr23
	s_delay_alu instid0(SALU_CYCLE_1)
	s_xor_b32 exec_lo, exec_lo, s22
	s_cbranch_execz .LBB150_1446
.LBB150_1686:
	v_add_f32_e64 v3, 0x46000000, |v2|
	s_and_not1_b32 s21, s21, exec_lo
	s_mov_b32 s23, 0
	s_delay_alu instid0(VALU_DEP_1) | instskip(NEXT) | instid1(VALU_DEP_1)
	v_and_b32_e32 v3, 0xff, v3
	v_cmp_ne_u32_e32 vcc_lo, 0, v3
	s_and_b32 s24, vcc_lo, exec_lo
	s_delay_alu instid0(SALU_CYCLE_1)
	s_or_b32 s21, s21, s24
	s_or_b32 exec_lo, exec_lo, s22
	v_mov_b32_e32 v6, s23
	s_and_saveexec_b32 s22, s21
	s_cbranch_execnz .LBB150_1447
	s_branch .LBB150_1448
.LBB150_1687:
	s_mov_b32 s0, -1
                                        ; implicit-def: $vgpr2
.LBB150_1688:
	s_delay_alu instid0(SALU_CYCLE_1)
	s_and_not1_b32 vcc_lo, exec_lo, s0
	s_cbranch_vccnz .LBB150_1690
; %bb.1689:
	global_load_b32 v2, v[4:5], off
	s_waitcnt vmcnt(0)
	v_trunc_f32_e32 v2, v2
	s_delay_alu instid0(VALU_DEP_1) | instskip(NEXT) | instid1(VALU_DEP_1)
	v_mul_f32_e64 v3, 0x2f800000, |v2|
	v_floor_f32_e32 v3, v3
	s_delay_alu instid0(VALU_DEP_1) | instskip(SKIP_1) | instid1(VALU_DEP_2)
	v_fma_f32 v3, 0xcf800000, v3, |v2|
	v_ashrrev_i32_e32 v2, 31, v2
	v_cvt_u32_f32_e32 v3, v3
	s_delay_alu instid0(VALU_DEP_1) | instskip(NEXT) | instid1(VALU_DEP_1)
	v_xor_b32_e32 v3, v3, v2
	v_sub_nc_u32_e32 v2, v3, v2
.LBB150_1690:
	s_mov_b32 s0, 0
.LBB150_1691:
	s_delay_alu instid0(SALU_CYCLE_1)
	s_and_not1_b32 vcc_lo, exec_lo, s0
	s_cbranch_vccnz .LBB150_1693
; %bb.1692:
	global_load_b32 v2, v[4:5], off
	s_waitcnt vmcnt(0)
	v_cvt_f32_f16_e32 v2, v2
	s_delay_alu instid0(VALU_DEP_1)
	v_cvt_i32_f32_e32 v2, v2
.LBB150_1693:
	s_mov_b32 s0, 0
.LBB150_1694:
	s_delay_alu instid0(SALU_CYCLE_1)
	s_and_not1_b32 vcc_lo, exec_lo, s0
	s_cbranch_vccnz .LBB150_1705
; %bb.1695:
	v_cmp_gt_i16_e32 vcc_lo, 6, v17
	s_cbranch_vccnz .LBB150_1698
; %bb.1696:
	v_cmp_lt_i16_e32 vcc_lo, 6, v17
	s_cbranch_vccz .LBB150_1699
; %bb.1697:
	global_load_b64 v[2:3], v[4:5], off
	s_mov_b32 s0, 0
	s_waitcnt vmcnt(0)
	v_trunc_f64_e32 v[2:3], v[2:3]
	s_delay_alu instid0(VALU_DEP_1) | instskip(NEXT) | instid1(VALU_DEP_1)
	v_ldexp_f64 v[9:10], v[2:3], 0xffffffe0
	v_floor_f64_e32 v[9:10], v[9:10]
	s_delay_alu instid0(VALU_DEP_1) | instskip(NEXT) | instid1(VALU_DEP_1)
	v_fma_f64 v[2:3], 0xc1f00000, v[9:10], v[2:3]
	v_cvt_u32_f64_e32 v2, v[2:3]
	s_branch .LBB150_1700
.LBB150_1698:
	s_mov_b32 s0, -1
                                        ; implicit-def: $vgpr2
	s_branch .LBB150_1703
.LBB150_1699:
	s_mov_b32 s0, -1
                                        ; implicit-def: $vgpr2
.LBB150_1700:
	s_delay_alu instid0(SALU_CYCLE_1)
	s_and_not1_b32 vcc_lo, exec_lo, s0
	s_cbranch_vccnz .LBB150_1702
; %bb.1701:
	global_load_b32 v2, v[4:5], off
	s_waitcnt vmcnt(0)
	v_trunc_f32_e32 v2, v2
	s_delay_alu instid0(VALU_DEP_1) | instskip(NEXT) | instid1(VALU_DEP_1)
	v_mul_f32_e64 v3, 0x2f800000, |v2|
	v_floor_f32_e32 v3, v3
	s_delay_alu instid0(VALU_DEP_1) | instskip(SKIP_1) | instid1(VALU_DEP_2)
	v_fma_f32 v3, 0xcf800000, v3, |v2|
	v_ashrrev_i32_e32 v2, 31, v2
	v_cvt_u32_f32_e32 v3, v3
	s_delay_alu instid0(VALU_DEP_1) | instskip(NEXT) | instid1(VALU_DEP_1)
	v_xor_b32_e32 v3, v3, v2
	v_sub_nc_u32_e32 v2, v3, v2
.LBB150_1702:
	s_mov_b32 s0, 0
.LBB150_1703:
	s_delay_alu instid0(SALU_CYCLE_1)
	s_and_not1_b32 vcc_lo, exec_lo, s0
	s_cbranch_vccnz .LBB150_1705
; %bb.1704:
	global_load_u16 v2, v[4:5], off
	s_waitcnt vmcnt(0)
	v_cvt_f32_f16_e32 v2, v2
	s_delay_alu instid0(VALU_DEP_1)
	v_cvt_i32_f32_e32 v2, v2
.LBB150_1705:
	s_cbranch_execnz .LBB150_1725
.LBB150_1706:
	v_cmp_gt_i16_e32 vcc_lo, 2, v17
	s_cbranch_vccnz .LBB150_1710
; %bb.1707:
	v_cmp_gt_i16_e32 vcc_lo, 3, v17
	s_cbranch_vccnz .LBB150_1711
; %bb.1708:
	v_cmp_lt_i16_e32 vcc_lo, 3, v17
	s_cbranch_vccz .LBB150_1712
; %bb.1709:
	global_load_b64 v[2:3], v[4:5], off
	s_mov_b32 s0, 0
	s_branch .LBB150_1713
.LBB150_1710:
	s_mov_b32 s0, -1
                                        ; implicit-def: $vgpr2
	s_branch .LBB150_1719
.LBB150_1711:
	s_mov_b32 s0, -1
                                        ; implicit-def: $vgpr2
	s_branch .LBB150_1716
.LBB150_1712:
	s_mov_b32 s0, -1
                                        ; implicit-def: $vgpr2
.LBB150_1713:
	s_delay_alu instid0(SALU_CYCLE_1)
	s_and_not1_b32 vcc_lo, exec_lo, s0
	s_cbranch_vccnz .LBB150_1715
; %bb.1714:
	global_load_b32 v2, v[4:5], off
.LBB150_1715:
	s_mov_b32 s0, 0
.LBB150_1716:
	s_delay_alu instid0(SALU_CYCLE_1)
	s_and_not1_b32 vcc_lo, exec_lo, s0
	s_cbranch_vccnz .LBB150_1718
; %bb.1717:
	global_load_u16 v2, v[4:5], off
.LBB150_1718:
	s_mov_b32 s0, 0
.LBB150_1719:
	s_delay_alu instid0(SALU_CYCLE_1)
	s_and_not1_b32 vcc_lo, exec_lo, s0
	s_cbranch_vccnz .LBB150_1725
; %bb.1720:
	v_cmp_lt_i16_e32 vcc_lo, 0, v17
	s_mov_b32 s0, 0
	s_cbranch_vccz .LBB150_1722
; %bb.1721:
	global_load_u8 v2, v[4:5], off
	s_branch .LBB150_1723
.LBB150_1722:
	s_mov_b32 s0, -1
                                        ; implicit-def: $vgpr2
.LBB150_1723:
	s_delay_alu instid0(SALU_CYCLE_1)
	s_and_not1_b32 vcc_lo, exec_lo, s0
	s_cbranch_vccnz .LBB150_1725
; %bb.1724:
	global_load_u8 v2, v[4:5], off
.LBB150_1725:
	s_branch .LBB150_1792
.LBB150_1726:
	s_trap 2
	s_sendmsg_rtn_b32 s0, sendmsg(MSG_RTN_GET_DOORBELL)
	s_mov_b32 ttmp2, m0
	s_waitcnt lgkmcnt(0)
	s_and_b32 s0, s0, 0x3ff
	s_delay_alu instid0(SALU_CYCLE_1) | instskip(NEXT) | instid1(SALU_CYCLE_1)
	s_bitset1_b32 s0, 10
	s_mov_b32 m0, s0
	s_sendmsg sendmsg(MSG_INTERRUPT)
	s_mov_b32 m0, ttmp2
.LBB150_1727:                           ; =>This Inner Loop Header: Depth=1
	s_sethalt 5
	s_branch .LBB150_1727
.LBB150_1728:
	s_mov_b32 s0, -1
	s_mov_b32 s11, 0
.LBB150_1729:
                                        ; implicit-def: $vgpr2
.LBB150_1730:
	s_and_b32 vcc_lo, exec_lo, s16
	s_cbranch_vccz .LBB150_1734
; %bb.1731:
	v_cmp_eq_u16_e32 vcc_lo, 44, v17
	s_cbranch_vccz .LBB150_1733
; %bb.1732:
	global_load_u8 v2, v[4:5], off
	s_mov_b32 s0, 0
	s_mov_b32 s11, -1
	s_waitcnt vmcnt(0)
	v_lshlrev_b32_e32 v3, 23, v2
	v_cmp_ne_u32_e32 vcc_lo, 0, v2
	s_delay_alu instid0(VALU_DEP_2) | instskip(NEXT) | instid1(VALU_DEP_1)
	v_trunc_f32_e32 v3, v3
	v_mul_f32_e64 v7, 0x2f800000, |v3|
	s_delay_alu instid0(VALU_DEP_1) | instskip(NEXT) | instid1(VALU_DEP_1)
	v_floor_f32_e32 v7, v7
	v_fma_f32 v7, 0xcf800000, v7, |v3|
	v_ashrrev_i32_e32 v3, 31, v3
	s_delay_alu instid0(VALU_DEP_2) | instskip(NEXT) | instid1(VALU_DEP_1)
	v_cvt_u32_f32_e32 v7, v7
	v_xor_b32_e32 v7, v7, v3
	s_delay_alu instid0(VALU_DEP_1) | instskip(NEXT) | instid1(VALU_DEP_1)
	v_sub_nc_u32_e32 v3, v7, v3
	v_cndmask_b32_e32 v2, 0, v3, vcc_lo
	s_branch .LBB150_1734
.LBB150_1733:
	s_mov_b32 s0, -1
                                        ; implicit-def: $vgpr2
.LBB150_1734:
	s_mov_b32 s16, 0
.LBB150_1735:
	s_delay_alu instid0(SALU_CYCLE_1)
	s_and_b32 vcc_lo, exec_lo, s16
	s_cbranch_vccz .LBB150_1739
; %bb.1736:
	v_cmp_eq_u16_e32 vcc_lo, 29, v17
	s_cbranch_vccz .LBB150_1738
; %bb.1737:
	global_load_b64 v[2:3], v[4:5], off
	s_mov_b32 s0, 0
	s_mov_b32 s11, -1
	s_branch .LBB150_1739
.LBB150_1738:
	s_mov_b32 s0, -1
                                        ; implicit-def: $vgpr2
.LBB150_1739:
	s_mov_b32 s16, 0
.LBB150_1740:
	s_delay_alu instid0(SALU_CYCLE_1)
	s_and_b32 vcc_lo, exec_lo, s16
	s_cbranch_vccz .LBB150_1756
; %bb.1741:
	v_cmp_gt_i16_e32 vcc_lo, 27, v17
	s_cbranch_vccnz .LBB150_1744
; %bb.1742:
	v_cmp_lt_i16_e32 vcc_lo, 27, v17
	s_cbranch_vccz .LBB150_1745
; %bb.1743:
	global_load_b32 v2, v[4:5], off
	s_mov_b32 s11, 0
	s_branch .LBB150_1746
.LBB150_1744:
	s_mov_b32 s11, -1
                                        ; implicit-def: $vgpr2
	s_branch .LBB150_1749
.LBB150_1745:
	s_mov_b32 s11, -1
                                        ; implicit-def: $vgpr2
.LBB150_1746:
	s_delay_alu instid0(SALU_CYCLE_1)
	s_and_not1_b32 vcc_lo, exec_lo, s11
	s_cbranch_vccnz .LBB150_1748
; %bb.1747:
	global_load_u16 v2, v[4:5], off
.LBB150_1748:
	s_mov_b32 s11, 0
.LBB150_1749:
	s_delay_alu instid0(SALU_CYCLE_1)
	s_and_not1_b32 vcc_lo, exec_lo, s11
	s_cbranch_vccnz .LBB150_1755
; %bb.1750:
	global_load_u8 v3, v[4:5], off
	s_mov_b32 s16, 0
	s_mov_b32 s11, exec_lo
                                        ; implicit-def: $sgpr19
	s_waitcnt vmcnt(0)
	v_cmpx_lt_i16_e32 0x7f, v3
	s_xor_b32 s11, exec_lo, s11
	s_cbranch_execz .LBB150_1766
; %bb.1751:
	v_cmp_ne_u16_e32 vcc_lo, 0x80, v3
	s_mov_b32 s19, 0
	s_and_b32 s16, vcc_lo, exec_lo
	s_or_saveexec_b32 s11, s11
	v_mov_b32_e32 v2, s19
	s_xor_b32 exec_lo, exec_lo, s11
	s_cbranch_execnz .LBB150_1767
.LBB150_1752:
	s_or_b32 exec_lo, exec_lo, s11
	s_and_saveexec_b32 s11, s16
	s_cbranch_execz .LBB150_1754
.LBB150_1753:
	v_and_b32_e32 v2, 0xffff, v3
	v_lshlrev_b32_e32 v3, 24, v3
	s_delay_alu instid0(VALU_DEP_2) | instskip(NEXT) | instid1(VALU_DEP_2)
	v_and_b32_e32 v7, 7, v2
	v_and_b32_e32 v3, 0x80000000, v3
	s_delay_alu instid0(VALU_DEP_2) | instskip(NEXT) | instid1(VALU_DEP_1)
	v_clz_i32_u32_e32 v9, v7
	v_min_u32_e32 v9, 32, v9
	s_delay_alu instid0(VALU_DEP_1) | instskip(SKIP_1) | instid1(VALU_DEP_2)
	v_subrev_nc_u32_e32 v10, 28, v9
	v_sub_nc_u32_e32 v9, 29, v9
	v_lshlrev_b32_e32 v10, v10, v2
	v_bfe_u32 v2, v2, 3, 4
	s_delay_alu instid0(VALU_DEP_2) | instskip(NEXT) | instid1(VALU_DEP_2)
	v_and_b32_e32 v10, 7, v10
	v_cmp_eq_u32_e32 vcc_lo, 0, v2
	s_delay_alu instid0(VALU_DEP_2) | instskip(NEXT) | instid1(VALU_DEP_1)
	v_dual_cndmask_b32 v2, v2, v9 :: v_dual_cndmask_b32 v7, v7, v10
	v_lshl_add_u32 v2, v2, 23, 0x3b800000
	s_delay_alu instid0(VALU_DEP_2) | instskip(NEXT) | instid1(VALU_DEP_1)
	v_lshlrev_b32_e32 v7, 20, v7
	v_or3_b32 v2, v3, v2, v7
	s_delay_alu instid0(VALU_DEP_1) | instskip(NEXT) | instid1(VALU_DEP_1)
	v_trunc_f32_e32 v2, v2
	v_mul_f32_e64 v3, 0x2f800000, |v2|
	s_delay_alu instid0(VALU_DEP_1) | instskip(NEXT) | instid1(VALU_DEP_1)
	v_floor_f32_e32 v3, v3
	v_fma_f32 v3, 0xcf800000, v3, |v2|
	v_ashrrev_i32_e32 v2, 31, v2
	s_delay_alu instid0(VALU_DEP_2) | instskip(NEXT) | instid1(VALU_DEP_1)
	v_cvt_u32_f32_e32 v3, v3
	v_xor_b32_e32 v3, v3, v2
	s_delay_alu instid0(VALU_DEP_1)
	v_sub_nc_u32_e32 v2, v3, v2
.LBB150_1754:
	s_or_b32 exec_lo, exec_lo, s11
.LBB150_1755:
	s_mov_b32 s11, -1
.LBB150_1756:
	s_branch .LBB150_1787
.LBB150_1757:
	v_cmp_lt_i16_e32 vcc_lo, 22, v17
	s_cbranch_vccz .LBB150_1765
; %bb.1758:
	v_cmp_gt_i16_e32 vcc_lo, 24, v17
	s_cbranch_vccnz .LBB150_1768
; %bb.1759:
	v_cmp_lt_i16_e32 vcc_lo, 24, v17
	s_cbranch_vccz .LBB150_1769
; %bb.1760:
	global_load_u8 v3, v[4:5], off
	s_mov_b32 s11, 0
	s_mov_b32 s1, exec_lo
                                        ; implicit-def: $sgpr16
	s_waitcnt vmcnt(0)
	v_cmpx_lt_i16_e32 0x7f, v3
	s_xor_b32 s1, exec_lo, s1
	s_cbranch_execz .LBB150_1781
; %bb.1761:
	v_cmp_ne_u16_e32 vcc_lo, 0x80, v3
	s_mov_b32 s16, 0
	s_and_b32 s11, vcc_lo, exec_lo
	s_or_saveexec_b32 s1, s1
	v_mov_b32_e32 v2, s16
	s_xor_b32 exec_lo, exec_lo, s1
	s_cbranch_execnz .LBB150_1782
.LBB150_1762:
	s_or_b32 exec_lo, exec_lo, s1
	s_and_saveexec_b32 s1, s11
	s_cbranch_execz .LBB150_1764
.LBB150_1763:
	v_and_b32_e32 v2, 0xffff, v3
	v_lshlrev_b32_e32 v3, 24, v3
	s_delay_alu instid0(VALU_DEP_2) | instskip(NEXT) | instid1(VALU_DEP_2)
	v_and_b32_e32 v7, 3, v2
	v_and_b32_e32 v3, 0x80000000, v3
	s_delay_alu instid0(VALU_DEP_2) | instskip(NEXT) | instid1(VALU_DEP_1)
	v_clz_i32_u32_e32 v9, v7
	v_min_u32_e32 v9, 32, v9
	s_delay_alu instid0(VALU_DEP_1) | instskip(SKIP_1) | instid1(VALU_DEP_2)
	v_subrev_nc_u32_e32 v10, 29, v9
	v_sub_nc_u32_e32 v9, 30, v9
	v_lshlrev_b32_e32 v10, v10, v2
	v_bfe_u32 v2, v2, 2, 5
	s_delay_alu instid0(VALU_DEP_2) | instskip(NEXT) | instid1(VALU_DEP_2)
	v_and_b32_e32 v10, 3, v10
	v_cmp_eq_u32_e32 vcc_lo, 0, v2
	s_delay_alu instid0(VALU_DEP_2) | instskip(NEXT) | instid1(VALU_DEP_1)
	v_dual_cndmask_b32 v2, v2, v9 :: v_dual_cndmask_b32 v7, v7, v10
	v_lshl_add_u32 v2, v2, 23, 0x37800000
	s_delay_alu instid0(VALU_DEP_2) | instskip(NEXT) | instid1(VALU_DEP_1)
	v_lshlrev_b32_e32 v7, 21, v7
	v_or3_b32 v2, v3, v2, v7
	s_delay_alu instid0(VALU_DEP_1) | instskip(NEXT) | instid1(VALU_DEP_1)
	v_trunc_f32_e32 v2, v2
	v_mul_f32_e64 v3, 0x2f800000, |v2|
	s_delay_alu instid0(VALU_DEP_1) | instskip(NEXT) | instid1(VALU_DEP_1)
	v_floor_f32_e32 v3, v3
	v_fma_f32 v3, 0xcf800000, v3, |v2|
	v_ashrrev_i32_e32 v2, 31, v2
	s_delay_alu instid0(VALU_DEP_2) | instskip(NEXT) | instid1(VALU_DEP_1)
	v_cvt_u32_f32_e32 v3, v3
	v_xor_b32_e32 v3, v3, v2
	s_delay_alu instid0(VALU_DEP_1)
	v_sub_nc_u32_e32 v2, v3, v2
.LBB150_1764:
	s_or_b32 exec_lo, exec_lo, s1
	s_mov_b32 s1, 0
	s_branch .LBB150_1770
.LBB150_1765:
	s_mov_b32 s1, -1
                                        ; implicit-def: $vgpr2
	s_branch .LBB150_1776
.LBB150_1766:
	s_or_saveexec_b32 s11, s11
	v_mov_b32_e32 v2, s19
	s_xor_b32 exec_lo, exec_lo, s11
	s_cbranch_execz .LBB150_1752
.LBB150_1767:
	v_cmp_ne_u16_e32 vcc_lo, 0, v3
	v_mov_b32_e32 v2, 0
	s_and_not1_b32 s16, s16, exec_lo
	s_and_b32 s19, vcc_lo, exec_lo
	s_delay_alu instid0(SALU_CYCLE_1)
	s_or_b32 s16, s16, s19
	s_or_b32 exec_lo, exec_lo, s11
	s_and_saveexec_b32 s11, s16
	s_cbranch_execnz .LBB150_1753
	s_branch .LBB150_1754
.LBB150_1768:
	s_mov_b32 s1, -1
                                        ; implicit-def: $vgpr2
	s_branch .LBB150_1773
.LBB150_1769:
	s_mov_b32 s1, -1
                                        ; implicit-def: $vgpr2
.LBB150_1770:
	s_delay_alu instid0(SALU_CYCLE_1)
	s_and_b32 vcc_lo, exec_lo, s1
	s_cbranch_vccz .LBB150_1772
; %bb.1771:
	global_load_u8 v2, v[4:5], off
	s_waitcnt vmcnt(0)
	v_lshlrev_b32_e32 v2, 24, v2
	s_delay_alu instid0(VALU_DEP_1) | instskip(NEXT) | instid1(VALU_DEP_1)
	v_and_b32_e32 v3, 0x7f000000, v2
	v_clz_i32_u32_e32 v7, v3
	v_add_nc_u32_e32 v10, 0x1000000, v3
	v_cmp_ne_u32_e32 vcc_lo, 0, v3
	s_delay_alu instid0(VALU_DEP_3) | instskip(NEXT) | instid1(VALU_DEP_1)
	v_min_u32_e32 v7, 32, v7
	v_sub_nc_u32_e64 v7, v7, 4 clamp
	s_delay_alu instid0(VALU_DEP_1) | instskip(SKIP_1) | instid1(VALU_DEP_2)
	v_lshlrev_b32_e32 v9, v7, v3
	v_lshlrev_b32_e32 v7, 23, v7
	v_lshrrev_b32_e32 v9, 4, v9
	s_delay_alu instid0(VALU_DEP_1) | instskip(SKIP_1) | instid1(VALU_DEP_2)
	v_sub_nc_u32_e32 v7, v9, v7
	v_ashrrev_i32_e32 v9, 8, v10
	v_add_nc_u32_e32 v7, 0x3c000000, v7
	s_delay_alu instid0(VALU_DEP_1) | instskip(NEXT) | instid1(VALU_DEP_1)
	v_and_or_b32 v7, 0x7f800000, v9, v7
	v_cndmask_b32_e32 v3, 0, v7, vcc_lo
	s_delay_alu instid0(VALU_DEP_1) | instskip(NEXT) | instid1(VALU_DEP_1)
	v_and_or_b32 v2, 0x80000000, v2, v3
	v_trunc_f32_e32 v2, v2
	s_delay_alu instid0(VALU_DEP_1) | instskip(NEXT) | instid1(VALU_DEP_1)
	v_mul_f32_e64 v3, 0x2f800000, |v2|
	v_floor_f32_e32 v3, v3
	s_delay_alu instid0(VALU_DEP_1) | instskip(SKIP_1) | instid1(VALU_DEP_2)
	v_fma_f32 v3, 0xcf800000, v3, |v2|
	v_ashrrev_i32_e32 v2, 31, v2
	v_cvt_u32_f32_e32 v3, v3
	s_delay_alu instid0(VALU_DEP_1) | instskip(NEXT) | instid1(VALU_DEP_1)
	v_xor_b32_e32 v3, v3, v2
	v_sub_nc_u32_e32 v2, v3, v2
.LBB150_1772:
	s_mov_b32 s1, 0
.LBB150_1773:
	s_delay_alu instid0(SALU_CYCLE_1)
	s_and_not1_b32 vcc_lo, exec_lo, s1
	s_cbranch_vccnz .LBB150_1775
; %bb.1774:
	global_load_u8 v2, v[4:5], off
	s_waitcnt vmcnt(0)
	v_lshlrev_b32_e32 v3, 25, v2
	v_lshlrev_b16 v2, 8, v2
	s_delay_alu instid0(VALU_DEP_2) | instskip(NEXT) | instid1(VALU_DEP_2)
	v_lshrrev_b32_e32 v7, 4, v3
	v_and_or_b32 v9, 0x7f00, v2, 0.5
	v_cmp_gt_u32_e32 vcc_lo, 0x8000000, v3
	v_bfe_i32 v2, v2, 0, 16
	s_delay_alu instid0(VALU_DEP_4) | instskip(NEXT) | instid1(VALU_DEP_4)
	v_or_b32_e32 v7, 0x70000000, v7
	v_add_f32_e32 v9, -0.5, v9
	s_delay_alu instid0(VALU_DEP_2) | instskip(NEXT) | instid1(VALU_DEP_1)
	v_mul_f32_e32 v7, 0x7800000, v7
	v_cndmask_b32_e32 v3, v7, v9, vcc_lo
	s_delay_alu instid0(VALU_DEP_1) | instskip(NEXT) | instid1(VALU_DEP_1)
	v_and_or_b32 v2, 0x80000000, v2, v3
	v_trunc_f32_e32 v2, v2
	s_delay_alu instid0(VALU_DEP_1) | instskip(NEXT) | instid1(VALU_DEP_1)
	v_mul_f32_e64 v3, 0x2f800000, |v2|
	v_floor_f32_e32 v3, v3
	s_delay_alu instid0(VALU_DEP_1) | instskip(SKIP_1) | instid1(VALU_DEP_2)
	v_fma_f32 v3, 0xcf800000, v3, |v2|
	v_ashrrev_i32_e32 v2, 31, v2
	v_cvt_u32_f32_e32 v3, v3
	s_delay_alu instid0(VALU_DEP_1) | instskip(NEXT) | instid1(VALU_DEP_1)
	v_xor_b32_e32 v3, v3, v2
	v_sub_nc_u32_e32 v2, v3, v2
.LBB150_1775:
	s_mov_b32 s1, 0
	s_mov_b32 s11, -1
.LBB150_1776:
	s_and_not1_b32 vcc_lo, exec_lo, s1
	s_mov_b32 s1, 0
	s_cbranch_vccnz .LBB150_1787
; %bb.1777:
	v_cmp_lt_i16_e32 vcc_lo, 14, v17
	s_cbranch_vccz .LBB150_1780
; %bb.1778:
	v_cmp_eq_u16_e32 vcc_lo, 15, v17
	s_cbranch_vccz .LBB150_1783
; %bb.1779:
	global_load_u16 v2, v[4:5], off
	s_mov_b32 s0, 0
	s_mov_b32 s11, -1
	s_waitcnt vmcnt(0)
	v_lshlrev_b32_e32 v2, 16, v2
	s_delay_alu instid0(VALU_DEP_1) | instskip(NEXT) | instid1(VALU_DEP_1)
	v_trunc_f32_e32 v2, v2
	v_mul_f32_e64 v3, 0x2f800000, |v2|
	s_delay_alu instid0(VALU_DEP_1) | instskip(NEXT) | instid1(VALU_DEP_1)
	v_floor_f32_e32 v3, v3
	v_fma_f32 v3, 0xcf800000, v3, |v2|
	v_ashrrev_i32_e32 v2, 31, v2
	s_delay_alu instid0(VALU_DEP_2) | instskip(NEXT) | instid1(VALU_DEP_1)
	v_cvt_u32_f32_e32 v3, v3
	v_xor_b32_e32 v3, v3, v2
	s_delay_alu instid0(VALU_DEP_1)
	v_sub_nc_u32_e32 v2, v3, v2
	s_branch .LBB150_1785
.LBB150_1780:
	s_mov_b32 s1, -1
	s_branch .LBB150_1784
.LBB150_1781:
	s_or_saveexec_b32 s1, s1
	v_mov_b32_e32 v2, s16
	s_xor_b32 exec_lo, exec_lo, s1
	s_cbranch_execz .LBB150_1762
.LBB150_1782:
	v_cmp_ne_u16_e32 vcc_lo, 0, v3
	v_mov_b32_e32 v2, 0
	s_and_not1_b32 s11, s11, exec_lo
	s_and_b32 s16, vcc_lo, exec_lo
	s_delay_alu instid0(SALU_CYCLE_1)
	s_or_b32 s11, s11, s16
	s_or_b32 exec_lo, exec_lo, s1
	s_and_saveexec_b32 s1, s11
	s_cbranch_execnz .LBB150_1763
	s_branch .LBB150_1764
.LBB150_1783:
	s_mov_b32 s0, -1
.LBB150_1784:
                                        ; implicit-def: $vgpr2
.LBB150_1785:
	s_and_b32 vcc_lo, exec_lo, s1
	s_mov_b32 s1, 0
	s_cbranch_vccz .LBB150_1787
; %bb.1786:
	v_cmp_ne_u16_e64 s0, 11, v17
	s_mov_b32 s1, -1
                                        ; implicit-def: $vgpr2
.LBB150_1787:
	s_delay_alu instid0(VALU_DEP_1)
	s_and_b32 vcc_lo, exec_lo, s0
	s_cbranch_vccnz .LBB150_1811
; %bb.1788:
	s_and_not1_b32 vcc_lo, exec_lo, s1
	s_cbranch_vccnz .LBB150_1790
.LBB150_1789:
	global_load_u8 v2, v[4:5], off
	s_mov_b32 s11, -1
	s_waitcnt vmcnt(0)
	v_cmp_ne_u16_e32 vcc_lo, 0, v2
	v_cndmask_b32_e64 v2, 0, 1, vcc_lo
.LBB150_1790:
.LBB150_1791:
	s_and_not1_b32 vcc_lo, exec_lo, s11
	s_cbranch_vccnz .LBB150_3020
.LBB150_1792:
	s_lshl_b32 s9, s9, 7
	v_cmp_gt_i16_e32 vcc_lo, 11, v14
	s_waitcnt vmcnt(0)
	v_add_nc_u32_e32 v3, s9, v6
	s_delay_alu instid0(VALU_DEP_1) | instskip(SKIP_1) | instid1(VALU_DEP_1)
	v_ashrrev_i32_e32 v4, 31, v3
	v_add_co_u32 v6, s0, s6, v3
	v_add_co_ci_u32_e64 v7, s0, s7, v4, s0
	s_cbranch_vccnz .LBB150_1799
; %bb.1793:
	v_cmp_lt_i16_e32 vcc_lo, 25, v14
	s_mov_b32 s16, 0
	s_cbranch_vccz .LBB150_1805
; %bb.1794:
	v_cmp_lt_i16_e32 vcc_lo, 28, v14
	s_cbranch_vccz .LBB150_1807
; %bb.1795:
	v_cmp_lt_i16_e32 vcc_lo, 43, v14
	;; [unrolled: 3-line block ×3, first 2 shown]
	s_cbranch_vccz .LBB150_1815
; %bb.1797:
	v_cmp_eq_u16_e32 vcc_lo, 46, v14
	s_mov_b32 s1, 0
	s_cbranch_vccz .LBB150_1858
; %bb.1798:
	global_load_b32 v4, v[6:7], off
	s_mov_b32 s11, 0
	s_mov_b32 s0, -1
	s_waitcnt vmcnt(0)
	v_lshlrev_b32_e32 v4, 16, v4
	s_delay_alu instid0(VALU_DEP_1)
	v_cvt_f64_f32_e32 v[4:5], v4
	s_branch .LBB150_1860
.LBB150_1799:
	s_mov_b32 s0, 0
                                        ; implicit-def: $vgpr4_vgpr5
	s_cbranch_execz .LBB150_1926
; %bb.1800:
	v_cmp_gt_i16_e32 vcc_lo, 5, v14
	s_cbranch_vccnz .LBB150_1806
; %bb.1801:
	v_cmp_gt_i16_e32 vcc_lo, 8, v14
	s_cbranch_vccnz .LBB150_1808
	;; [unrolled: 3-line block ×3, first 2 shown]
; %bb.1803:
	v_cmp_lt_i16_e32 vcc_lo, 9, v14
	s_cbranch_vccz .LBB150_1816
; %bb.1804:
	global_load_b64 v[4:5], v[6:7], off
	s_mov_b32 s0, 0
	s_branch .LBB150_1817
.LBB150_1805:
	s_mov_b32 s1, -1
	s_mov_b32 s0, 0
	s_mov_b32 s11, 0
                                        ; implicit-def: $vgpr4_vgpr5
	s_branch .LBB150_1891
.LBB150_1806:
	s_mov_b32 s0, -1
                                        ; implicit-def: $vgpr4_vgpr5
	s_branch .LBB150_1835
.LBB150_1807:
	s_mov_b32 s1, -1
	s_mov_b32 s0, 0
	s_mov_b32 s11, 0
                                        ; implicit-def: $vgpr4_vgpr5
	s_branch .LBB150_1870
.LBB150_1808:
	s_mov_b32 s0, -1
                                        ; implicit-def: $vgpr4_vgpr5
	s_branch .LBB150_1823
.LBB150_1809:
	s_mov_b32 s1, -1
	s_mov_b32 s0, 0
	s_mov_b32 s11, 0
                                        ; implicit-def: $vgpr4_vgpr5
	s_branch .LBB150_1865
.LBB150_1810:
	s_mov_b32 s0, -1
                                        ; implicit-def: $vgpr4_vgpr5
	s_branch .LBB150_1820
.LBB150_1811:
	s_cbranch_execnz .LBB150_1856
; %bb.1812:
	s_or_b32 s15, s15, exec_lo
                                        ; implicit-def: $vgpr2
	s_cbranch_execz .LBB150_1789
	s_branch .LBB150_1790
.LBB150_1813:
	s_or_saveexec_b32 s23, s23
                                        ; implicit-def: $sgpr24
	s_delay_alu instid0(SALU_CYCLE_1)
	s_xor_b32 exec_lo, exec_lo, s23
	s_cbranch_execz .LBB150_1458
.LBB150_1814:
	v_add_f32_e64 v3, 0x42800000, |v2|
	s_and_not1_b32 s22, s22, exec_lo
	s_mov_b32 s24, 0
	s_delay_alu instid0(VALU_DEP_1) | instskip(NEXT) | instid1(VALU_DEP_1)
	v_and_b32_e32 v3, 0xff, v3
	v_cmp_ne_u32_e32 vcc_lo, 0, v3
	s_and_b32 s25, vcc_lo, exec_lo
	s_delay_alu instid0(SALU_CYCLE_1)
	s_or_b32 s22, s22, s25
	s_or_b32 exec_lo, exec_lo, s23
	v_mov_b32_e32 v6, s24
	s_and_saveexec_b32 s23, s22
	s_cbranch_execnz .LBB150_1459
	s_branch .LBB150_1460
.LBB150_1815:
	s_mov_b32 s1, -1
	s_mov_b32 s0, 0
	s_mov_b32 s11, 0
	s_branch .LBB150_1859
.LBB150_1816:
	s_mov_b32 s0, -1
                                        ; implicit-def: $vgpr4_vgpr5
.LBB150_1817:
	s_delay_alu instid0(SALU_CYCLE_1)
	s_and_not1_b32 vcc_lo, exec_lo, s0
	s_cbranch_vccnz .LBB150_1819
; %bb.1818:
	global_load_b32 v4, v[6:7], off
	s_waitcnt vmcnt(0)
	v_cvt_f64_f32_e32 v[4:5], v4
.LBB150_1819:
	s_mov_b32 s0, 0
.LBB150_1820:
	s_delay_alu instid0(SALU_CYCLE_1)
	s_and_not1_b32 vcc_lo, exec_lo, s0
	s_cbranch_vccnz .LBB150_1822
; %bb.1821:
	global_load_b32 v4, v[6:7], off
	s_waitcnt vmcnt(0)
	v_cvt_f32_f16_e32 v4, v4
	s_delay_alu instid0(VALU_DEP_1)
	v_cvt_f64_f32_e32 v[4:5], v4
.LBB150_1822:
	s_mov_b32 s0, 0
.LBB150_1823:
	s_delay_alu instid0(SALU_CYCLE_1)
	s_and_not1_b32 vcc_lo, exec_lo, s0
	s_cbranch_vccnz .LBB150_1834
; %bb.1824:
	v_cmp_gt_i16_e32 vcc_lo, 6, v14
	s_cbranch_vccnz .LBB150_1827
; %bb.1825:
	v_cmp_lt_i16_e32 vcc_lo, 6, v14
	s_cbranch_vccz .LBB150_1828
; %bb.1826:
	global_load_b64 v[4:5], v[6:7], off
	s_mov_b32 s0, 0
	s_branch .LBB150_1829
.LBB150_1827:
	s_mov_b32 s0, -1
                                        ; implicit-def: $vgpr4_vgpr5
	s_branch .LBB150_1832
.LBB150_1828:
	s_mov_b32 s0, -1
                                        ; implicit-def: $vgpr4_vgpr5
.LBB150_1829:
	s_delay_alu instid0(SALU_CYCLE_1)
	s_and_not1_b32 vcc_lo, exec_lo, s0
	s_cbranch_vccnz .LBB150_1831
; %bb.1830:
	global_load_b32 v4, v[6:7], off
	s_waitcnt vmcnt(0)
	v_cvt_f64_f32_e32 v[4:5], v4
.LBB150_1831:
	s_mov_b32 s0, 0
.LBB150_1832:
	s_delay_alu instid0(SALU_CYCLE_1)
	s_and_not1_b32 vcc_lo, exec_lo, s0
	s_cbranch_vccnz .LBB150_1834
; %bb.1833:
	global_load_u16 v4, v[6:7], off
	s_waitcnt vmcnt(0)
	v_cvt_f32_f16_e32 v4, v4
	s_delay_alu instid0(VALU_DEP_1)
	v_cvt_f64_f32_e32 v[4:5], v4
.LBB150_1834:
	s_mov_b32 s0, 0
.LBB150_1835:
	s_delay_alu instid0(SALU_CYCLE_1)
	s_and_not1_b32 vcc_lo, exec_lo, s0
	s_cbranch_vccnz .LBB150_1855
; %bb.1836:
	v_cmp_gt_i16_e32 vcc_lo, 2, v14
	s_cbranch_vccnz .LBB150_1840
; %bb.1837:
	v_cmp_gt_i16_e32 vcc_lo, 3, v14
	s_cbranch_vccnz .LBB150_1841
; %bb.1838:
	v_cmp_lt_i16_e32 vcc_lo, 3, v14
	s_cbranch_vccz .LBB150_1842
; %bb.1839:
	global_load_b64 v[4:5], v[6:7], off
	s_mov_b32 s0, 0
	s_waitcnt vmcnt(0)
	v_cvt_f64_i32_e32 v[9:10], v5
	v_cvt_f64_u32_e32 v[4:5], v4
	s_delay_alu instid0(VALU_DEP_2) | instskip(NEXT) | instid1(VALU_DEP_1)
	v_ldexp_f64 v[9:10], v[9:10], 32
	v_add_f64 v[4:5], v[9:10], v[4:5]
	s_branch .LBB150_1843
.LBB150_1840:
	s_mov_b32 s0, -1
                                        ; implicit-def: $vgpr4_vgpr5
	s_branch .LBB150_1849
.LBB150_1841:
	s_mov_b32 s0, -1
                                        ; implicit-def: $vgpr4_vgpr5
	s_branch .LBB150_1846
.LBB150_1842:
	s_mov_b32 s0, -1
                                        ; implicit-def: $vgpr4_vgpr5
.LBB150_1843:
	s_delay_alu instid0(SALU_CYCLE_1)
	s_and_not1_b32 vcc_lo, exec_lo, s0
	s_cbranch_vccnz .LBB150_1845
; %bb.1844:
	global_load_b32 v4, v[6:7], off
	s_waitcnt vmcnt(0)
	v_cvt_f64_i32_e32 v[4:5], v4
.LBB150_1845:
	s_mov_b32 s0, 0
.LBB150_1846:
	s_delay_alu instid0(SALU_CYCLE_1)
	s_and_not1_b32 vcc_lo, exec_lo, s0
	s_cbranch_vccnz .LBB150_1848
; %bb.1847:
	global_load_i16 v4, v[6:7], off
	s_waitcnt vmcnt(0)
	v_cvt_f64_i32_e32 v[4:5], v4
.LBB150_1848:
	s_mov_b32 s0, 0
.LBB150_1849:
	s_delay_alu instid0(SALU_CYCLE_1)
	s_and_not1_b32 vcc_lo, exec_lo, s0
	s_cbranch_vccnz .LBB150_1855
; %bb.1850:
	v_cmp_lt_i16_e32 vcc_lo, 0, v14
	s_mov_b32 s0, 0
	s_cbranch_vccz .LBB150_1852
; %bb.1851:
	global_load_i8 v4, v[6:7], off
	s_waitcnt vmcnt(0)
	v_cvt_f64_i32_e32 v[4:5], v4
	s_branch .LBB150_1853
.LBB150_1852:
	s_mov_b32 s0, -1
                                        ; implicit-def: $vgpr4_vgpr5
.LBB150_1853:
	s_delay_alu instid0(SALU_CYCLE_1)
	s_and_not1_b32 vcc_lo, exec_lo, s0
	s_cbranch_vccnz .LBB150_1855
; %bb.1854:
	global_load_u8 v4, v[6:7], off
	s_waitcnt vmcnt(0)
	v_cvt_f64_u32_e32 v[4:5], v4
.LBB150_1855:
	s_branch .LBB150_1927
.LBB150_1856:
	s_trap 2
	s_sendmsg_rtn_b32 s0, sendmsg(MSG_RTN_GET_DOORBELL)
	s_mov_b32 ttmp2, m0
	s_waitcnt lgkmcnt(0)
	s_and_b32 s0, s0, 0x3ff
	s_delay_alu instid0(SALU_CYCLE_1) | instskip(NEXT) | instid1(SALU_CYCLE_1)
	s_bitset1_b32 s0, 10
	s_mov_b32 m0, s0
	s_sendmsg sendmsg(MSG_INTERRUPT)
	s_mov_b32 m0, ttmp2
.LBB150_1857:                           ; =>This Inner Loop Header: Depth=1
	s_sethalt 5
	s_branch .LBB150_1857
.LBB150_1858:
	s_mov_b32 s11, -1
	s_mov_b32 s0, 0
.LBB150_1859:
                                        ; implicit-def: $vgpr4_vgpr5
.LBB150_1860:
	s_and_b32 vcc_lo, exec_lo, s1
	s_cbranch_vccz .LBB150_1864
; %bb.1861:
	v_cmp_eq_u16_e32 vcc_lo, 44, v14
	s_cbranch_vccz .LBB150_1863
; %bb.1862:
	global_load_u8 v9, v[6:7], off
	s_mov_b32 s11, 0
	s_mov_b32 s0, -1
	s_waitcnt vmcnt(0)
	v_lshlrev_b32_e32 v4, 23, v9
	v_cmp_ne_u32_e32 vcc_lo, 0xff, v9
	s_delay_alu instid0(VALU_DEP_2) | instskip(NEXT) | instid1(VALU_DEP_1)
	v_cvt_f64_f32_e32 v[4:5], v4
	v_cndmask_b32_e32 v4, 0x20000000, v4, vcc_lo
	s_delay_alu instid0(VALU_DEP_2) | instskip(SKIP_1) | instid1(VALU_DEP_2)
	v_cndmask_b32_e32 v5, 0x7ff80000, v5, vcc_lo
	v_cmp_ne_u32_e32 vcc_lo, 0, v9
	v_cndmask_b32_e32 v5, 0x38000000, v5, vcc_lo
	s_delay_alu instid0(VALU_DEP_4)
	v_cndmask_b32_e32 v4, 0, v4, vcc_lo
	s_branch .LBB150_1864
.LBB150_1863:
	s_mov_b32 s11, -1
                                        ; implicit-def: $vgpr4_vgpr5
.LBB150_1864:
	s_mov_b32 s1, 0
.LBB150_1865:
	s_delay_alu instid0(SALU_CYCLE_1)
	s_and_b32 vcc_lo, exec_lo, s1
	s_cbranch_vccz .LBB150_1869
; %bb.1866:
	v_cmp_eq_u16_e32 vcc_lo, 29, v14
	s_cbranch_vccz .LBB150_1868
; %bb.1867:
	global_load_b64 v[4:5], v[6:7], off
	s_mov_b32 s11, 0
	s_mov_b32 s0, -1
	s_mov_b32 s1, 0
	s_waitcnt vmcnt(0)
	v_cvt_f64_u32_e32 v[9:10], v5
	v_cvt_f64_u32_e32 v[4:5], v4
	s_delay_alu instid0(VALU_DEP_2) | instskip(NEXT) | instid1(VALU_DEP_1)
	v_ldexp_f64 v[9:10], v[9:10], 32
	v_add_f64 v[4:5], v[9:10], v[4:5]
	s_branch .LBB150_1870
.LBB150_1868:
	s_mov_b32 s11, -1
                                        ; implicit-def: $vgpr4_vgpr5
.LBB150_1869:
	s_mov_b32 s1, 0
.LBB150_1870:
	s_delay_alu instid0(SALU_CYCLE_1)
	s_and_b32 vcc_lo, exec_lo, s1
	s_cbranch_vccz .LBB150_1890
; %bb.1871:
	v_cmp_gt_i16_e32 vcc_lo, 27, v14
	s_cbranch_vccnz .LBB150_1874
; %bb.1872:
	v_cmp_lt_i16_e32 vcc_lo, 27, v14
	s_cbranch_vccz .LBB150_1875
; %bb.1873:
	global_load_b32 v4, v[6:7], off
	s_mov_b32 s0, 0
	s_waitcnt vmcnt(0)
	v_cvt_f64_u32_e32 v[4:5], v4
	s_branch .LBB150_1876
.LBB150_1874:
	s_mov_b32 s0, -1
                                        ; implicit-def: $vgpr4_vgpr5
	s_branch .LBB150_1879
.LBB150_1875:
	s_mov_b32 s0, -1
                                        ; implicit-def: $vgpr4_vgpr5
.LBB150_1876:
	s_delay_alu instid0(SALU_CYCLE_1)
	s_and_not1_b32 vcc_lo, exec_lo, s0
	s_cbranch_vccnz .LBB150_1878
; %bb.1877:
	global_load_u16 v4, v[6:7], off
	s_waitcnt vmcnt(0)
	v_cvt_f64_u32_e32 v[4:5], v4
.LBB150_1878:
	s_mov_b32 s0, 0
.LBB150_1879:
	s_delay_alu instid0(SALU_CYCLE_1)
	s_and_not1_b32 vcc_lo, exec_lo, s0
	s_cbranch_vccnz .LBB150_1889
; %bb.1880:
	global_load_u8 v9, v[6:7], off
	s_mov_b32 s19, 0
	s_mov_b32 s20, exec_lo
                                        ; implicit-def: $sgpr0_sgpr1
	s_waitcnt vmcnt(0)
	v_cmpx_lt_i16_e32 0x7f, v9
	s_xor_b32 s20, exec_lo, s20
	s_cbranch_execz .LBB150_1884
; %bb.1881:
	s_mov_b32 s21, -1
	s_mov_b32 s19, exec_lo
                                        ; implicit-def: $sgpr0_sgpr1
	v_cmpx_eq_u16_e32 0x80, v9
; %bb.1882:
	s_mov_b32 s1, 0x7ff80000
	s_brev_b32 s0, 4
	s_xor_b32 s21, exec_lo, -1
; %bb.1883:
	s_or_b32 exec_lo, exec_lo, s19
	s_delay_alu instid0(SALU_CYCLE_1)
	s_and_b32 s19, s21, exec_lo
.LBB150_1884:
	s_or_saveexec_b32 s20, s20
	v_dual_mov_b32 v5, s1 :: v_dual_mov_b32 v4, s0
	s_xor_b32 exec_lo, exec_lo, s20
; %bb.1885:
	v_cmp_ne_u16_e32 vcc_lo, 0, v9
	v_mov_b32_e32 v4, 0
	v_mov_b32_e32 v5, 0
	s_and_not1_b32 s0, s19, exec_lo
	s_and_b32 s1, vcc_lo, exec_lo
	s_delay_alu instid0(SALU_CYCLE_1)
	s_or_b32 s19, s0, s1
; %bb.1886:
	s_or_b32 exec_lo, exec_lo, s20
	s_and_saveexec_b32 s0, s19
	s_cbranch_execz .LBB150_1888
; %bb.1887:
	v_and_b32_e32 v4, 0xffff, v9
	v_lshlrev_b32_e32 v9, 24, v9
	s_delay_alu instid0(VALU_DEP_2) | instskip(NEXT) | instid1(VALU_DEP_2)
	v_and_b32_e32 v5, 7, v4
	v_and_b32_e32 v9, 0x80000000, v9
	s_delay_alu instid0(VALU_DEP_2) | instskip(NEXT) | instid1(VALU_DEP_1)
	v_clz_i32_u32_e32 v10, v5
	v_min_u32_e32 v10, 32, v10
	s_delay_alu instid0(VALU_DEP_1) | instskip(SKIP_1) | instid1(VALU_DEP_2)
	v_subrev_nc_u32_e32 v11, 28, v10
	v_sub_nc_u32_e32 v10, 29, v10
	v_lshlrev_b32_e32 v11, v11, v4
	v_bfe_u32 v4, v4, 3, 4
	s_delay_alu instid0(VALU_DEP_2) | instskip(NEXT) | instid1(VALU_DEP_2)
	v_and_b32_e32 v11, 7, v11
	v_cmp_eq_u32_e32 vcc_lo, 0, v4
	s_delay_alu instid0(VALU_DEP_2) | instskip(NEXT) | instid1(VALU_DEP_1)
	v_dual_cndmask_b32 v4, v4, v10 :: v_dual_cndmask_b32 v5, v5, v11
	v_lshl_add_u32 v4, v4, 23, 0x3b800000
	s_delay_alu instid0(VALU_DEP_2) | instskip(NEXT) | instid1(VALU_DEP_1)
	v_lshlrev_b32_e32 v5, 20, v5
	v_or3_b32 v4, v9, v4, v5
	s_delay_alu instid0(VALU_DEP_1)
	v_cvt_f64_f32_e32 v[4:5], v4
.LBB150_1888:
	s_or_b32 exec_lo, exec_lo, s0
.LBB150_1889:
	s_mov_b32 s0, -1
.LBB150_1890:
	s_mov_b32 s1, 0
.LBB150_1891:
	s_delay_alu instid0(SALU_CYCLE_1)
	s_and_b32 vcc_lo, exec_lo, s1
	s_cbranch_vccz .LBB150_1922
; %bb.1892:
	v_cmp_lt_i16_e32 vcc_lo, 22, v14
	s_cbranch_vccz .LBB150_1904
; %bb.1893:
	v_cmp_gt_i16_e32 vcc_lo, 24, v14
	s_cbranch_vccnz .LBB150_1905
; %bb.1894:
	v_cmp_lt_i16_e32 vcc_lo, 24, v14
	s_cbranch_vccz .LBB150_1906
; %bb.1895:
	global_load_u8 v9, v[6:7], off
	s_mov_b32 s19, exec_lo
                                        ; implicit-def: $sgpr0_sgpr1
	s_waitcnt vmcnt(0)
	v_cmpx_lt_i16_e32 0x7f, v9
	s_xor_b32 s19, exec_lo, s19
	s_cbranch_execz .LBB150_1899
; %bb.1896:
	s_mov_b32 s20, -1
	s_mov_b32 s16, exec_lo
                                        ; implicit-def: $sgpr0_sgpr1
	v_cmpx_eq_u16_e32 0x80, v9
; %bb.1897:
	s_mov_b32 s1, 0x7ff80000
	s_brev_b32 s0, 4
	s_xor_b32 s20, exec_lo, -1
; %bb.1898:
	s_or_b32 exec_lo, exec_lo, s16
	s_delay_alu instid0(SALU_CYCLE_1)
	s_and_b32 s16, s20, exec_lo
.LBB150_1899:
	s_or_saveexec_b32 s19, s19
	v_dual_mov_b32 v5, s1 :: v_dual_mov_b32 v4, s0
	s_xor_b32 exec_lo, exec_lo, s19
; %bb.1900:
	v_cmp_ne_u16_e32 vcc_lo, 0, v9
	v_mov_b32_e32 v4, 0
	v_mov_b32_e32 v5, 0
	s_and_not1_b32 s0, s16, exec_lo
	s_and_b32 s1, vcc_lo, exec_lo
	s_delay_alu instid0(SALU_CYCLE_1)
	s_or_b32 s16, s0, s1
; %bb.1901:
	s_or_b32 exec_lo, exec_lo, s19
	s_and_saveexec_b32 s0, s16
	s_cbranch_execz .LBB150_1903
; %bb.1902:
	v_and_b32_e32 v4, 0xffff, v9
	v_lshlrev_b32_e32 v9, 24, v9
	s_delay_alu instid0(VALU_DEP_2) | instskip(NEXT) | instid1(VALU_DEP_2)
	v_and_b32_e32 v5, 3, v4
	v_and_b32_e32 v9, 0x80000000, v9
	s_delay_alu instid0(VALU_DEP_2) | instskip(NEXT) | instid1(VALU_DEP_1)
	v_clz_i32_u32_e32 v10, v5
	v_min_u32_e32 v10, 32, v10
	s_delay_alu instid0(VALU_DEP_1) | instskip(SKIP_1) | instid1(VALU_DEP_2)
	v_subrev_nc_u32_e32 v11, 29, v10
	v_sub_nc_u32_e32 v10, 30, v10
	v_lshlrev_b32_e32 v11, v11, v4
	v_bfe_u32 v4, v4, 2, 5
	s_delay_alu instid0(VALU_DEP_2) | instskip(NEXT) | instid1(VALU_DEP_2)
	v_and_b32_e32 v11, 3, v11
	v_cmp_eq_u32_e32 vcc_lo, 0, v4
	s_delay_alu instid0(VALU_DEP_2) | instskip(NEXT) | instid1(VALU_DEP_1)
	v_dual_cndmask_b32 v4, v4, v10 :: v_dual_cndmask_b32 v5, v5, v11
	v_lshl_add_u32 v4, v4, 23, 0x37800000
	s_delay_alu instid0(VALU_DEP_2) | instskip(NEXT) | instid1(VALU_DEP_1)
	v_lshlrev_b32_e32 v5, 21, v5
	v_or3_b32 v4, v9, v4, v5
	s_delay_alu instid0(VALU_DEP_1)
	v_cvt_f64_f32_e32 v[4:5], v4
.LBB150_1903:
	s_or_b32 exec_lo, exec_lo, s0
	s_mov_b32 s0, 0
	s_branch .LBB150_1907
.LBB150_1904:
	s_mov_b32 s1, -1
                                        ; implicit-def: $vgpr4_vgpr5
	s_branch .LBB150_1913
.LBB150_1905:
	s_mov_b32 s0, -1
                                        ; implicit-def: $vgpr4_vgpr5
	s_branch .LBB150_1910
.LBB150_1906:
	s_mov_b32 s0, -1
                                        ; implicit-def: $vgpr4_vgpr5
.LBB150_1907:
	s_delay_alu instid0(SALU_CYCLE_1)
	s_and_b32 vcc_lo, exec_lo, s0
	s_cbranch_vccz .LBB150_1909
; %bb.1908:
	global_load_u8 v4, v[6:7], off
	s_waitcnt vmcnt(0)
	v_lshlrev_b32_e32 v4, 24, v4
	s_delay_alu instid0(VALU_DEP_1) | instskip(NEXT) | instid1(VALU_DEP_1)
	v_and_b32_e32 v5, 0x7f000000, v4
	v_clz_i32_u32_e32 v9, v5
	v_add_nc_u32_e32 v11, 0x1000000, v5
	v_cmp_ne_u32_e32 vcc_lo, 0, v5
	s_delay_alu instid0(VALU_DEP_3) | instskip(NEXT) | instid1(VALU_DEP_1)
	v_min_u32_e32 v9, 32, v9
	v_sub_nc_u32_e64 v9, v9, 4 clamp
	s_delay_alu instid0(VALU_DEP_1) | instskip(SKIP_1) | instid1(VALU_DEP_2)
	v_lshlrev_b32_e32 v10, v9, v5
	v_lshlrev_b32_e32 v9, 23, v9
	v_lshrrev_b32_e32 v10, 4, v10
	s_delay_alu instid0(VALU_DEP_1) | instskip(SKIP_1) | instid1(VALU_DEP_2)
	v_sub_nc_u32_e32 v9, v10, v9
	v_ashrrev_i32_e32 v10, 8, v11
	v_add_nc_u32_e32 v9, 0x3c000000, v9
	s_delay_alu instid0(VALU_DEP_1) | instskip(NEXT) | instid1(VALU_DEP_1)
	v_and_or_b32 v9, 0x7f800000, v10, v9
	v_cndmask_b32_e32 v5, 0, v9, vcc_lo
	s_delay_alu instid0(VALU_DEP_1) | instskip(NEXT) | instid1(VALU_DEP_1)
	v_and_or_b32 v4, 0x80000000, v4, v5
	v_cvt_f64_f32_e32 v[4:5], v4
.LBB150_1909:
	s_mov_b32 s0, 0
.LBB150_1910:
	s_delay_alu instid0(SALU_CYCLE_1)
	s_and_not1_b32 vcc_lo, exec_lo, s0
	s_cbranch_vccnz .LBB150_1912
; %bb.1911:
	global_load_u8 v4, v[6:7], off
	s_waitcnt vmcnt(0)
	v_lshlrev_b32_e32 v5, 25, v4
	v_lshlrev_b16 v4, 8, v4
	s_delay_alu instid0(VALU_DEP_1) | instskip(SKIP_1) | instid1(VALU_DEP_2)
	v_and_or_b32 v10, 0x7f00, v4, 0.5
	v_bfe_i32 v4, v4, 0, 16
	v_add_f32_e32 v10, -0.5, v10
	v_lshrrev_b32_e32 v9, 4, v5
	v_cmp_gt_u32_e32 vcc_lo, 0x8000000, v5
	s_delay_alu instid0(VALU_DEP_2) | instskip(NEXT) | instid1(VALU_DEP_1)
	v_or_b32_e32 v9, 0x70000000, v9
	v_mul_f32_e32 v9, 0x7800000, v9
	s_delay_alu instid0(VALU_DEP_1) | instskip(NEXT) | instid1(VALU_DEP_1)
	v_cndmask_b32_e32 v5, v9, v10, vcc_lo
	v_and_or_b32 v4, 0x80000000, v4, v5
	s_delay_alu instid0(VALU_DEP_1)
	v_cvt_f64_f32_e32 v[4:5], v4
.LBB150_1912:
	s_mov_b32 s1, 0
	s_mov_b32 s0, -1
.LBB150_1913:
	s_and_not1_b32 vcc_lo, exec_lo, s1
	s_mov_b32 s16, 0
	s_cbranch_vccnz .LBB150_1922
; %bb.1914:
	v_cmp_lt_i16_e32 vcc_lo, 14, v14
	s_cbranch_vccz .LBB150_1917
; %bb.1915:
	v_cmp_eq_u16_e32 vcc_lo, 15, v14
	s_cbranch_vccz .LBB150_1918
; %bb.1916:
	global_load_u16 v4, v[6:7], off
	s_mov_b32 s11, 0
	s_mov_b32 s0, -1
	s_waitcnt vmcnt(0)
	v_lshlrev_b32_e32 v4, 16, v4
	s_delay_alu instid0(VALU_DEP_1)
	v_cvt_f64_f32_e32 v[4:5], v4
	s_branch .LBB150_1919
.LBB150_1917:
	s_mov_b32 s1, -1
                                        ; implicit-def: $vgpr4_vgpr5
	s_branch .LBB150_1920
.LBB150_1918:
	s_mov_b32 s11, -1
                                        ; implicit-def: $vgpr4_vgpr5
.LBB150_1919:
	s_mov_b32 s1, 0
.LBB150_1920:
	s_delay_alu instid0(SALU_CYCLE_1)
	s_and_b32 vcc_lo, exec_lo, s1
	s_cbranch_vccz .LBB150_1922
; %bb.1921:
	v_cmp_ne_u16_e64 s11, 11, v14
	s_mov_b32 s16, -1
                                        ; implicit-def: $vgpr4_vgpr5
.LBB150_1922:
	s_delay_alu instid0(VALU_DEP_1)
	s_and_b32 vcc_lo, exec_lo, s11
	s_cbranch_vccnz .LBB150_1938
; %bb.1923:
	s_and_not1_b32 vcc_lo, exec_lo, s16
	s_cbranch_vccnz .LBB150_1925
.LBB150_1924:
	global_load_u8 v4, v[6:7], off
	s_mov_b32 s0, -1
	s_waitcnt vmcnt(0)
	v_cmp_ne_u16_e32 vcc_lo, 0, v4
	v_mov_b32_e32 v4, 0
	v_cndmask_b32_e64 v5, 0, 0x3ff00000, vcc_lo
.LBB150_1925:
.LBB150_1926:
	s_and_not1_b32 vcc_lo, exec_lo, s0
	s_cbranch_vccnz .LBB150_3020
.LBB150_1927:
	s_lshl_b32 s10, s10, 7
	v_cmp_gt_i16_e32 vcc_lo, 11, v17
	v_add_nc_u32_e32 v11, s10, v8
	s_delay_alu instid0(VALU_DEP_1) | instskip(SKIP_1) | instid1(VALU_DEP_1)
	v_ashrrev_i32_e32 v6, 31, v11
	v_add_co_u32 v8, s0, s12, v11
	v_add_co_ci_u32_e64 v9, s0, s13, v6, s0
	s_cbranch_vccnz .LBB150_1934
; %bb.1928:
	v_cmp_lt_i16_e32 vcc_lo, 25, v17
	s_mov_b32 s1, 0
	s_cbranch_vccz .LBB150_1935
; %bb.1929:
	v_cmp_lt_i16_e32 vcc_lo, 28, v17
	s_cbranch_vccz .LBB150_1936
; %bb.1930:
	v_cmp_lt_i16_e32 vcc_lo, 43, v17
	;; [unrolled: 3-line block ×3, first 2 shown]
	s_cbranch_vccz .LBB150_1940
; %bb.1932:
	v_cmp_eq_u16_e32 vcc_lo, 46, v17
	s_mov_b32 s16, 0
	s_cbranch_vccz .LBB150_1943
; %bb.1933:
	global_load_b32 v6, v[8:9], off
	s_mov_b32 s0, 0
	s_mov_b32 s11, -1
	s_waitcnt vmcnt(0)
	v_lshlrev_b32_e32 v6, 16, v6
	s_delay_alu instid0(VALU_DEP_1) | instskip(NEXT) | instid1(VALU_DEP_1)
	v_trunc_f32_e32 v6, v6
	v_mul_f32_e64 v7, 0x2f800000, |v6|
	s_delay_alu instid0(VALU_DEP_1) | instskip(NEXT) | instid1(VALU_DEP_1)
	v_floor_f32_e32 v7, v7
	v_fma_f32 v7, 0xcf800000, v7, |v6|
	v_ashrrev_i32_e32 v6, 31, v6
	s_delay_alu instid0(VALU_DEP_2) | instskip(NEXT) | instid1(VALU_DEP_1)
	v_cvt_u32_f32_e32 v7, v7
	v_xor_b32_e32 v7, v7, v6
	s_delay_alu instid0(VALU_DEP_1)
	v_sub_nc_u32_e32 v6, v7, v6
	s_branch .LBB150_1945
.LBB150_1934:
	s_mov_b32 s0, -1
	s_mov_b32 s11, 0
                                        ; implicit-def: $vgpr6
	s_branch .LBB150_2007
.LBB150_1935:
	s_mov_b32 s16, -1
	s_mov_b32 s11, 0
	s_mov_b32 s0, 0
                                        ; implicit-def: $vgpr6
	s_branch .LBB150_1972
.LBB150_1936:
	s_mov_b32 s16, -1
	s_mov_b32 s11, 0
	s_mov_b32 s0, 0
                                        ; implicit-def: $vgpr6
	s_branch .LBB150_1955
.LBB150_1937:
	s_mov_b32 s16, -1
	s_mov_b32 s11, 0
	s_mov_b32 s0, 0
                                        ; implicit-def: $vgpr6
	s_branch .LBB150_1950
.LBB150_1938:
	s_cbranch_execnz .LBB150_1941
; %bb.1939:
	s_or_b32 s15, s15, exec_lo
                                        ; implicit-def: $vgpr4_vgpr5
	s_cbranch_execz .LBB150_1924
	s_branch .LBB150_1925
.LBB150_1940:
	s_mov_b32 s16, -1
	s_mov_b32 s11, 0
	s_mov_b32 s0, 0
	s_branch .LBB150_1944
.LBB150_1941:
	s_trap 2
	s_sendmsg_rtn_b32 s0, sendmsg(MSG_RTN_GET_DOORBELL)
	s_mov_b32 ttmp2, m0
	s_waitcnt lgkmcnt(0)
	s_and_b32 s0, s0, 0x3ff
	s_delay_alu instid0(SALU_CYCLE_1) | instskip(NEXT) | instid1(SALU_CYCLE_1)
	s_bitset1_b32 s0, 10
	s_mov_b32 m0, s0
	s_sendmsg sendmsg(MSG_INTERRUPT)
	s_mov_b32 m0, ttmp2
.LBB150_1942:                           ; =>This Inner Loop Header: Depth=1
	s_sethalt 5
	s_branch .LBB150_1942
.LBB150_1943:
	s_mov_b32 s0, -1
	s_mov_b32 s11, 0
.LBB150_1944:
                                        ; implicit-def: $vgpr6
.LBB150_1945:
	s_and_b32 vcc_lo, exec_lo, s16
	s_cbranch_vccz .LBB150_1949
; %bb.1946:
	v_cmp_eq_u16_e32 vcc_lo, 44, v17
	s_cbranch_vccz .LBB150_1948
; %bb.1947:
	global_load_u8 v6, v[8:9], off
	s_mov_b32 s0, 0
	s_mov_b32 s11, -1
	s_waitcnt vmcnt(0)
	v_lshlrev_b32_e32 v7, 23, v6
	v_cmp_ne_u32_e32 vcc_lo, 0, v6
	s_delay_alu instid0(VALU_DEP_2) | instskip(NEXT) | instid1(VALU_DEP_1)
	v_trunc_f32_e32 v7, v7
	v_mul_f32_e64 v10, 0x2f800000, |v7|
	s_delay_alu instid0(VALU_DEP_1) | instskip(NEXT) | instid1(VALU_DEP_1)
	v_floor_f32_e32 v10, v10
	v_fma_f32 v10, 0xcf800000, v10, |v7|
	v_ashrrev_i32_e32 v7, 31, v7
	s_delay_alu instid0(VALU_DEP_2) | instskip(NEXT) | instid1(VALU_DEP_1)
	v_cvt_u32_f32_e32 v10, v10
	v_xor_b32_e32 v10, v10, v7
	s_delay_alu instid0(VALU_DEP_1) | instskip(NEXT) | instid1(VALU_DEP_1)
	v_sub_nc_u32_e32 v7, v10, v7
	v_cndmask_b32_e32 v6, 0, v7, vcc_lo
	s_branch .LBB150_1949
.LBB150_1948:
	s_mov_b32 s0, -1
                                        ; implicit-def: $vgpr6
.LBB150_1949:
	s_mov_b32 s16, 0
.LBB150_1950:
	s_delay_alu instid0(SALU_CYCLE_1)
	s_and_b32 vcc_lo, exec_lo, s16
	s_cbranch_vccz .LBB150_1954
; %bb.1951:
	v_cmp_eq_u16_e32 vcc_lo, 29, v17
	s_cbranch_vccz .LBB150_1953
; %bb.1952:
	global_load_b64 v[6:7], v[8:9], off
	s_mov_b32 s0, 0
	s_mov_b32 s11, -1
	s_branch .LBB150_1954
.LBB150_1953:
	s_mov_b32 s0, -1
                                        ; implicit-def: $vgpr6
.LBB150_1954:
	s_mov_b32 s16, 0
.LBB150_1955:
	s_delay_alu instid0(SALU_CYCLE_1)
	s_and_b32 vcc_lo, exec_lo, s16
	s_cbranch_vccz .LBB150_1971
; %bb.1956:
	v_cmp_gt_i16_e32 vcc_lo, 27, v17
	s_cbranch_vccnz .LBB150_1959
; %bb.1957:
	v_cmp_lt_i16_e32 vcc_lo, 27, v17
	s_cbranch_vccz .LBB150_1960
; %bb.1958:
	global_load_b32 v6, v[8:9], off
	s_mov_b32 s11, 0
	s_branch .LBB150_1961
.LBB150_1959:
	s_mov_b32 s11, -1
                                        ; implicit-def: $vgpr6
	s_branch .LBB150_1964
.LBB150_1960:
	s_mov_b32 s11, -1
                                        ; implicit-def: $vgpr6
.LBB150_1961:
	s_delay_alu instid0(SALU_CYCLE_1)
	s_and_not1_b32 vcc_lo, exec_lo, s11
	s_cbranch_vccnz .LBB150_1963
; %bb.1962:
	global_load_u16 v6, v[8:9], off
.LBB150_1963:
	s_mov_b32 s11, 0
.LBB150_1964:
	s_delay_alu instid0(SALU_CYCLE_1)
	s_and_not1_b32 vcc_lo, exec_lo, s11
	s_cbranch_vccnz .LBB150_1970
; %bb.1965:
	global_load_u8 v7, v[8:9], off
	s_mov_b32 s16, 0
	s_mov_b32 s11, exec_lo
                                        ; implicit-def: $sgpr19
	s_waitcnt vmcnt(0)
	v_cmpx_lt_i16_e32 0x7f, v7
	s_xor_b32 s11, exec_lo, s11
	s_cbranch_execz .LBB150_1982
; %bb.1966:
	v_cmp_ne_u16_e32 vcc_lo, 0x80, v7
	s_mov_b32 s19, 0
	s_and_b32 s16, vcc_lo, exec_lo
	s_or_saveexec_b32 s11, s11
	v_mov_b32_e32 v6, s19
	s_xor_b32 exec_lo, exec_lo, s11
	s_cbranch_execnz .LBB150_1983
.LBB150_1967:
	s_or_b32 exec_lo, exec_lo, s11
	s_and_saveexec_b32 s11, s16
	s_cbranch_execz .LBB150_1969
.LBB150_1968:
	v_and_b32_e32 v6, 0xffff, v7
	s_delay_alu instid0(VALU_DEP_1) | instskip(NEXT) | instid1(VALU_DEP_1)
	v_and_b32_e32 v10, 7, v6
	v_clz_i32_u32_e32 v12, v10
	s_delay_alu instid0(VALU_DEP_1) | instskip(NEXT) | instid1(VALU_DEP_1)
	v_min_u32_e32 v12, 32, v12
	v_subrev_nc_u32_e32 v13, 28, v12
	v_sub_nc_u32_e32 v12, 29, v12
	s_delay_alu instid0(VALU_DEP_2) | instskip(SKIP_1) | instid1(VALU_DEP_1)
	v_lshlrev_b32_e32 v13, v13, v6
	v_bfe_u32 v6, v6, 3, 4
	v_cmp_eq_u32_e32 vcc_lo, 0, v6
	s_delay_alu instid0(VALU_DEP_3) | instskip(SKIP_1) | instid1(VALU_DEP_2)
	v_dual_cndmask_b32 v6, v6, v12 :: v_dual_and_b32 v13, 7, v13
	v_lshlrev_b32_e32 v7, 24, v7
	v_lshl_add_u32 v6, v6, 23, 0x3b800000
	s_delay_alu instid0(VALU_DEP_2) | instskip(NEXT) | instid1(VALU_DEP_1)
	v_dual_cndmask_b32 v10, v10, v13 :: v_dual_and_b32 v7, 0x80000000, v7
	v_lshlrev_b32_e32 v10, 20, v10
	s_delay_alu instid0(VALU_DEP_1) | instskip(NEXT) | instid1(VALU_DEP_1)
	v_or3_b32 v6, v7, v6, v10
	v_trunc_f32_e32 v6, v6
	s_delay_alu instid0(VALU_DEP_1) | instskip(NEXT) | instid1(VALU_DEP_1)
	v_mul_f32_e64 v7, 0x2f800000, |v6|
	v_floor_f32_e32 v7, v7
	s_delay_alu instid0(VALU_DEP_1) | instskip(SKIP_1) | instid1(VALU_DEP_2)
	v_fma_f32 v7, 0xcf800000, v7, |v6|
	v_ashrrev_i32_e32 v6, 31, v6
	v_cvt_u32_f32_e32 v7, v7
	s_delay_alu instid0(VALU_DEP_1) | instskip(NEXT) | instid1(VALU_DEP_1)
	v_xor_b32_e32 v7, v7, v6
	v_sub_nc_u32_e32 v6, v7, v6
.LBB150_1969:
	s_or_b32 exec_lo, exec_lo, s11
.LBB150_1970:
	s_mov_b32 s11, -1
.LBB150_1971:
	s_mov_b32 s16, 0
.LBB150_1972:
	s_delay_alu instid0(SALU_CYCLE_1)
	s_and_b32 vcc_lo, exec_lo, s16
	s_cbranch_vccz .LBB150_2003
; %bb.1973:
	v_cmp_lt_i16_e32 vcc_lo, 22, v17
	s_cbranch_vccz .LBB150_1981
; %bb.1974:
	v_cmp_gt_i16_e32 vcc_lo, 24, v17
	s_cbranch_vccnz .LBB150_1984
; %bb.1975:
	v_cmp_lt_i16_e32 vcc_lo, 24, v17
	s_cbranch_vccz .LBB150_1985
; %bb.1976:
	global_load_u8 v7, v[8:9], off
	s_mov_b32 s11, 0
	s_mov_b32 s1, exec_lo
                                        ; implicit-def: $sgpr16
	s_waitcnt vmcnt(0)
	v_cmpx_lt_i16_e32 0x7f, v7
	s_xor_b32 s1, exec_lo, s1
	s_cbranch_execz .LBB150_1997
; %bb.1977:
	v_cmp_ne_u16_e32 vcc_lo, 0x80, v7
	s_mov_b32 s16, 0
	s_and_b32 s11, vcc_lo, exec_lo
	s_or_saveexec_b32 s1, s1
	v_mov_b32_e32 v6, s16
	s_xor_b32 exec_lo, exec_lo, s1
	s_cbranch_execnz .LBB150_1998
.LBB150_1978:
	s_or_b32 exec_lo, exec_lo, s1
	s_and_saveexec_b32 s1, s11
	s_cbranch_execz .LBB150_1980
.LBB150_1979:
	v_and_b32_e32 v6, 0xffff, v7
	s_delay_alu instid0(VALU_DEP_1) | instskip(NEXT) | instid1(VALU_DEP_1)
	v_and_b32_e32 v10, 3, v6
	v_clz_i32_u32_e32 v12, v10
	s_delay_alu instid0(VALU_DEP_1) | instskip(NEXT) | instid1(VALU_DEP_1)
	v_min_u32_e32 v12, 32, v12
	v_subrev_nc_u32_e32 v13, 29, v12
	v_sub_nc_u32_e32 v12, 30, v12
	s_delay_alu instid0(VALU_DEP_2) | instskip(SKIP_1) | instid1(VALU_DEP_1)
	v_lshlrev_b32_e32 v13, v13, v6
	v_bfe_u32 v6, v6, 2, 5
	v_cmp_eq_u32_e32 vcc_lo, 0, v6
	s_delay_alu instid0(VALU_DEP_3) | instskip(SKIP_1) | instid1(VALU_DEP_2)
	v_dual_cndmask_b32 v6, v6, v12 :: v_dual_and_b32 v13, 3, v13
	v_lshlrev_b32_e32 v7, 24, v7
	v_lshl_add_u32 v6, v6, 23, 0x37800000
	s_delay_alu instid0(VALU_DEP_2) | instskip(NEXT) | instid1(VALU_DEP_1)
	v_dual_cndmask_b32 v10, v10, v13 :: v_dual_and_b32 v7, 0x80000000, v7
	v_lshlrev_b32_e32 v10, 21, v10
	s_delay_alu instid0(VALU_DEP_1) | instskip(NEXT) | instid1(VALU_DEP_1)
	v_or3_b32 v6, v7, v6, v10
	v_trunc_f32_e32 v6, v6
	s_delay_alu instid0(VALU_DEP_1) | instskip(NEXT) | instid1(VALU_DEP_1)
	v_mul_f32_e64 v7, 0x2f800000, |v6|
	v_floor_f32_e32 v7, v7
	s_delay_alu instid0(VALU_DEP_1) | instskip(SKIP_1) | instid1(VALU_DEP_2)
	v_fma_f32 v7, 0xcf800000, v7, |v6|
	v_ashrrev_i32_e32 v6, 31, v6
	v_cvt_u32_f32_e32 v7, v7
	s_delay_alu instid0(VALU_DEP_1) | instskip(NEXT) | instid1(VALU_DEP_1)
	v_xor_b32_e32 v7, v7, v6
	v_sub_nc_u32_e32 v6, v7, v6
.LBB150_1980:
	s_or_b32 exec_lo, exec_lo, s1
	s_mov_b32 s1, 0
	s_branch .LBB150_1986
.LBB150_1981:
	s_mov_b32 s1, -1
                                        ; implicit-def: $vgpr6
	s_branch .LBB150_1992
.LBB150_1982:
	s_or_saveexec_b32 s11, s11
	v_mov_b32_e32 v6, s19
	s_xor_b32 exec_lo, exec_lo, s11
	s_cbranch_execz .LBB150_1967
.LBB150_1983:
	v_cmp_ne_u16_e32 vcc_lo, 0, v7
	v_mov_b32_e32 v6, 0
	s_and_not1_b32 s16, s16, exec_lo
	s_and_b32 s19, vcc_lo, exec_lo
	s_delay_alu instid0(SALU_CYCLE_1)
	s_or_b32 s16, s16, s19
	s_or_b32 exec_lo, exec_lo, s11
	s_and_saveexec_b32 s11, s16
	s_cbranch_execnz .LBB150_1968
	s_branch .LBB150_1969
.LBB150_1984:
	s_mov_b32 s1, -1
                                        ; implicit-def: $vgpr6
	s_branch .LBB150_1989
.LBB150_1985:
	s_mov_b32 s1, -1
                                        ; implicit-def: $vgpr6
.LBB150_1986:
	s_delay_alu instid0(SALU_CYCLE_1)
	s_and_b32 vcc_lo, exec_lo, s1
	s_cbranch_vccz .LBB150_1988
; %bb.1987:
	global_load_u8 v6, v[8:9], off
	s_waitcnt vmcnt(0)
	v_lshlrev_b32_e32 v6, 24, v6
	s_delay_alu instid0(VALU_DEP_1) | instskip(NEXT) | instid1(VALU_DEP_1)
	v_and_b32_e32 v7, 0x7f000000, v6
	v_clz_i32_u32_e32 v10, v7
	v_cmp_ne_u32_e32 vcc_lo, 0, v7
	v_add_nc_u32_e32 v13, 0x1000000, v7
	s_delay_alu instid0(VALU_DEP_3) | instskip(NEXT) | instid1(VALU_DEP_1)
	v_min_u32_e32 v10, 32, v10
	v_sub_nc_u32_e64 v10, v10, 4 clamp
	s_delay_alu instid0(VALU_DEP_1) | instskip(SKIP_1) | instid1(VALU_DEP_2)
	v_lshlrev_b32_e32 v12, v10, v7
	v_lshlrev_b32_e32 v10, 23, v10
	v_lshrrev_b32_e32 v12, 4, v12
	s_delay_alu instid0(VALU_DEP_1) | instskip(SKIP_1) | instid1(VALU_DEP_2)
	v_sub_nc_u32_e32 v10, v12, v10
	v_ashrrev_i32_e32 v12, 8, v13
	v_add_nc_u32_e32 v10, 0x3c000000, v10
	s_delay_alu instid0(VALU_DEP_1) | instskip(NEXT) | instid1(VALU_DEP_1)
	v_and_or_b32 v10, 0x7f800000, v12, v10
	v_cndmask_b32_e32 v7, 0, v10, vcc_lo
	s_delay_alu instid0(VALU_DEP_1) | instskip(NEXT) | instid1(VALU_DEP_1)
	v_and_or_b32 v6, 0x80000000, v6, v7
	v_trunc_f32_e32 v6, v6
	s_delay_alu instid0(VALU_DEP_1) | instskip(NEXT) | instid1(VALU_DEP_1)
	v_mul_f32_e64 v7, 0x2f800000, |v6|
	v_floor_f32_e32 v7, v7
	s_delay_alu instid0(VALU_DEP_1) | instskip(SKIP_1) | instid1(VALU_DEP_2)
	v_fma_f32 v7, 0xcf800000, v7, |v6|
	v_ashrrev_i32_e32 v6, 31, v6
	v_cvt_u32_f32_e32 v7, v7
	s_delay_alu instid0(VALU_DEP_1) | instskip(NEXT) | instid1(VALU_DEP_1)
	v_xor_b32_e32 v7, v7, v6
	v_sub_nc_u32_e32 v6, v7, v6
.LBB150_1988:
	s_mov_b32 s1, 0
.LBB150_1989:
	s_delay_alu instid0(SALU_CYCLE_1)
	s_and_not1_b32 vcc_lo, exec_lo, s1
	s_cbranch_vccnz .LBB150_1991
; %bb.1990:
	global_load_u8 v6, v[8:9], off
	s_waitcnt vmcnt(0)
	v_lshlrev_b32_e32 v7, 25, v6
	v_lshlrev_b16 v6, 8, v6
	s_delay_alu instid0(VALU_DEP_1) | instskip(SKIP_1) | instid1(VALU_DEP_2)
	v_and_or_b32 v12, 0x7f00, v6, 0.5
	v_bfe_i32 v6, v6, 0, 16
	v_add_f32_e32 v12, -0.5, v12
	v_lshrrev_b32_e32 v10, 4, v7
	v_cmp_gt_u32_e32 vcc_lo, 0x8000000, v7
	s_delay_alu instid0(VALU_DEP_2) | instskip(NEXT) | instid1(VALU_DEP_1)
	v_or_b32_e32 v10, 0x70000000, v10
	v_mul_f32_e32 v10, 0x7800000, v10
	s_delay_alu instid0(VALU_DEP_1) | instskip(NEXT) | instid1(VALU_DEP_1)
	v_cndmask_b32_e32 v7, v10, v12, vcc_lo
	v_and_or_b32 v6, 0x80000000, v6, v7
	s_delay_alu instid0(VALU_DEP_1) | instskip(NEXT) | instid1(VALU_DEP_1)
	v_trunc_f32_e32 v6, v6
	v_mul_f32_e64 v7, 0x2f800000, |v6|
	s_delay_alu instid0(VALU_DEP_1) | instskip(NEXT) | instid1(VALU_DEP_1)
	v_floor_f32_e32 v7, v7
	v_fma_f32 v7, 0xcf800000, v7, |v6|
	v_ashrrev_i32_e32 v6, 31, v6
	s_delay_alu instid0(VALU_DEP_2) | instskip(NEXT) | instid1(VALU_DEP_1)
	v_cvt_u32_f32_e32 v7, v7
	v_xor_b32_e32 v7, v7, v6
	s_delay_alu instid0(VALU_DEP_1)
	v_sub_nc_u32_e32 v6, v7, v6
.LBB150_1991:
	s_mov_b32 s1, 0
	s_mov_b32 s11, -1
.LBB150_1992:
	s_and_not1_b32 vcc_lo, exec_lo, s1
	s_mov_b32 s1, 0
	s_cbranch_vccnz .LBB150_2003
; %bb.1993:
	v_cmp_lt_i16_e32 vcc_lo, 14, v17
	s_cbranch_vccz .LBB150_1996
; %bb.1994:
	v_cmp_eq_u16_e32 vcc_lo, 15, v17
	s_cbranch_vccz .LBB150_1999
; %bb.1995:
	global_load_u16 v6, v[8:9], off
	s_mov_b32 s0, 0
	s_mov_b32 s11, -1
	s_waitcnt vmcnt(0)
	v_lshlrev_b32_e32 v6, 16, v6
	s_delay_alu instid0(VALU_DEP_1) | instskip(NEXT) | instid1(VALU_DEP_1)
	v_trunc_f32_e32 v6, v6
	v_mul_f32_e64 v7, 0x2f800000, |v6|
	s_delay_alu instid0(VALU_DEP_1) | instskip(NEXT) | instid1(VALU_DEP_1)
	v_floor_f32_e32 v7, v7
	v_fma_f32 v7, 0xcf800000, v7, |v6|
	v_ashrrev_i32_e32 v6, 31, v6
	s_delay_alu instid0(VALU_DEP_2) | instskip(NEXT) | instid1(VALU_DEP_1)
	v_cvt_u32_f32_e32 v7, v7
	v_xor_b32_e32 v7, v7, v6
	s_delay_alu instid0(VALU_DEP_1)
	v_sub_nc_u32_e32 v6, v7, v6
	s_branch .LBB150_2001
.LBB150_1996:
	s_mov_b32 s1, -1
	s_branch .LBB150_2000
.LBB150_1997:
	s_or_saveexec_b32 s1, s1
	v_mov_b32_e32 v6, s16
	s_xor_b32 exec_lo, exec_lo, s1
	s_cbranch_execz .LBB150_1978
.LBB150_1998:
	v_cmp_ne_u16_e32 vcc_lo, 0, v7
	v_mov_b32_e32 v6, 0
	s_and_not1_b32 s11, s11, exec_lo
	s_and_b32 s16, vcc_lo, exec_lo
	s_delay_alu instid0(SALU_CYCLE_1)
	s_or_b32 s11, s11, s16
	s_or_b32 exec_lo, exec_lo, s1
	s_and_saveexec_b32 s1, s11
	s_cbranch_execnz .LBB150_1979
	s_branch .LBB150_1980
.LBB150_1999:
	s_mov_b32 s0, -1
.LBB150_2000:
                                        ; implicit-def: $vgpr6
.LBB150_2001:
	s_and_b32 vcc_lo, exec_lo, s1
	s_mov_b32 s1, 0
	s_cbranch_vccz .LBB150_2003
; %bb.2002:
	v_cmp_ne_u16_e64 s0, 11, v17
	s_mov_b32 s1, -1
                                        ; implicit-def: $vgpr6
.LBB150_2003:
	s_delay_alu instid0(VALU_DEP_1)
	s_and_b32 vcc_lo, exec_lo, s0
	s_cbranch_vccnz .LBB150_2068
; %bb.2004:
	s_and_not1_b32 vcc_lo, exec_lo, s1
	s_cbranch_vccnz .LBB150_2006
.LBB150_2005:
	global_load_u8 v6, v[8:9], off
	s_mov_b32 s11, -1
	s_waitcnt vmcnt(0)
	v_cmp_ne_u16_e32 vcc_lo, 0, v6
	v_cndmask_b32_e64 v6, 0, 1, vcc_lo
.LBB150_2006:
	s_mov_b32 s0, 0
.LBB150_2007:
	s_delay_alu instid0(SALU_CYCLE_1)
	s_and_b32 vcc_lo, exec_lo, s0
	s_cbranch_vccz .LBB150_2056
; %bb.2008:
	v_cmp_gt_i16_e32 vcc_lo, 5, v17
	s_cbranch_vccnz .LBB150_2013
; %bb.2009:
	v_cmp_gt_i16_e32 vcc_lo, 8, v17
	s_cbranch_vccnz .LBB150_2014
	;; [unrolled: 3-line block ×3, first 2 shown]
; %bb.2011:
	v_cmp_lt_i16_e32 vcc_lo, 9, v17
	s_cbranch_vccz .LBB150_2016
; %bb.2012:
	global_load_b64 v[6:7], v[8:9], off
	s_mov_b32 s0, 0
	s_waitcnt vmcnt(0)
	v_trunc_f64_e32 v[6:7], v[6:7]
	s_delay_alu instid0(VALU_DEP_1) | instskip(NEXT) | instid1(VALU_DEP_1)
	v_ldexp_f64 v[12:13], v[6:7], 0xffffffe0
	v_floor_f64_e32 v[12:13], v[12:13]
	s_delay_alu instid0(VALU_DEP_1) | instskip(NEXT) | instid1(VALU_DEP_1)
	v_fma_f64 v[6:7], 0xc1f00000, v[12:13], v[6:7]
	v_cvt_u32_f64_e32 v6, v[6:7]
	s_branch .LBB150_2017
.LBB150_2013:
	s_mov_b32 s0, -1
                                        ; implicit-def: $vgpr6
	s_branch .LBB150_2035
.LBB150_2014:
	s_mov_b32 s0, -1
                                        ; implicit-def: $vgpr6
	s_branch .LBB150_2023
.LBB150_2015:
	s_mov_b32 s0, -1
                                        ; implicit-def: $vgpr6
	s_branch .LBB150_2020
.LBB150_2016:
	s_mov_b32 s0, -1
                                        ; implicit-def: $vgpr6
.LBB150_2017:
	s_delay_alu instid0(SALU_CYCLE_1)
	s_and_not1_b32 vcc_lo, exec_lo, s0
	s_cbranch_vccnz .LBB150_2019
; %bb.2018:
	global_load_b32 v6, v[8:9], off
	s_waitcnt vmcnt(0)
	v_trunc_f32_e32 v6, v6
	s_delay_alu instid0(VALU_DEP_1) | instskip(NEXT) | instid1(VALU_DEP_1)
	v_mul_f32_e64 v7, 0x2f800000, |v6|
	v_floor_f32_e32 v7, v7
	s_delay_alu instid0(VALU_DEP_1) | instskip(SKIP_1) | instid1(VALU_DEP_2)
	v_fma_f32 v7, 0xcf800000, v7, |v6|
	v_ashrrev_i32_e32 v6, 31, v6
	v_cvt_u32_f32_e32 v7, v7
	s_delay_alu instid0(VALU_DEP_1) | instskip(NEXT) | instid1(VALU_DEP_1)
	v_xor_b32_e32 v7, v7, v6
	v_sub_nc_u32_e32 v6, v7, v6
.LBB150_2019:
	s_mov_b32 s0, 0
.LBB150_2020:
	s_delay_alu instid0(SALU_CYCLE_1)
	s_and_not1_b32 vcc_lo, exec_lo, s0
	s_cbranch_vccnz .LBB150_2022
; %bb.2021:
	global_load_b32 v6, v[8:9], off
	s_waitcnt vmcnt(0)
	v_cvt_f32_f16_e32 v6, v6
	s_delay_alu instid0(VALU_DEP_1)
	v_cvt_i32_f32_e32 v6, v6
.LBB150_2022:
	s_mov_b32 s0, 0
.LBB150_2023:
	s_delay_alu instid0(SALU_CYCLE_1)
	s_and_not1_b32 vcc_lo, exec_lo, s0
	s_cbranch_vccnz .LBB150_2034
; %bb.2024:
	v_cmp_gt_i16_e32 vcc_lo, 6, v17
	s_cbranch_vccnz .LBB150_2027
; %bb.2025:
	v_cmp_lt_i16_e32 vcc_lo, 6, v17
	s_cbranch_vccz .LBB150_2028
; %bb.2026:
	global_load_b64 v[6:7], v[8:9], off
	s_mov_b32 s0, 0
	s_waitcnt vmcnt(0)
	v_trunc_f64_e32 v[6:7], v[6:7]
	s_delay_alu instid0(VALU_DEP_1) | instskip(NEXT) | instid1(VALU_DEP_1)
	v_ldexp_f64 v[12:13], v[6:7], 0xffffffe0
	v_floor_f64_e32 v[12:13], v[12:13]
	s_delay_alu instid0(VALU_DEP_1) | instskip(NEXT) | instid1(VALU_DEP_1)
	v_fma_f64 v[6:7], 0xc1f00000, v[12:13], v[6:7]
	v_cvt_u32_f64_e32 v6, v[6:7]
	s_branch .LBB150_2029
.LBB150_2027:
	s_mov_b32 s0, -1
                                        ; implicit-def: $vgpr6
	s_branch .LBB150_2032
.LBB150_2028:
	s_mov_b32 s0, -1
                                        ; implicit-def: $vgpr6
.LBB150_2029:
	s_delay_alu instid0(SALU_CYCLE_1)
	s_and_not1_b32 vcc_lo, exec_lo, s0
	s_cbranch_vccnz .LBB150_2031
; %bb.2030:
	global_load_b32 v6, v[8:9], off
	s_waitcnt vmcnt(0)
	v_trunc_f32_e32 v6, v6
	s_delay_alu instid0(VALU_DEP_1) | instskip(NEXT) | instid1(VALU_DEP_1)
	v_mul_f32_e64 v7, 0x2f800000, |v6|
	v_floor_f32_e32 v7, v7
	s_delay_alu instid0(VALU_DEP_1) | instskip(SKIP_1) | instid1(VALU_DEP_2)
	v_fma_f32 v7, 0xcf800000, v7, |v6|
	v_ashrrev_i32_e32 v6, 31, v6
	v_cvt_u32_f32_e32 v7, v7
	s_delay_alu instid0(VALU_DEP_1) | instskip(NEXT) | instid1(VALU_DEP_1)
	v_xor_b32_e32 v7, v7, v6
	v_sub_nc_u32_e32 v6, v7, v6
.LBB150_2031:
	s_mov_b32 s0, 0
.LBB150_2032:
	s_delay_alu instid0(SALU_CYCLE_1)
	s_and_not1_b32 vcc_lo, exec_lo, s0
	s_cbranch_vccnz .LBB150_2034
; %bb.2033:
	global_load_u16 v6, v[8:9], off
	s_waitcnt vmcnt(0)
	v_cvt_f32_f16_e32 v6, v6
	s_delay_alu instid0(VALU_DEP_1)
	v_cvt_i32_f32_e32 v6, v6
.LBB150_2034:
	s_mov_b32 s0, 0
.LBB150_2035:
	s_delay_alu instid0(SALU_CYCLE_1)
	s_and_not1_b32 vcc_lo, exec_lo, s0
	s_cbranch_vccnz .LBB150_2055
; %bb.2036:
	v_cmp_gt_i16_e32 vcc_lo, 2, v17
	s_cbranch_vccnz .LBB150_2040
; %bb.2037:
	v_cmp_gt_i16_e32 vcc_lo, 3, v17
	s_cbranch_vccnz .LBB150_2041
; %bb.2038:
	v_cmp_lt_i16_e32 vcc_lo, 3, v17
	s_cbranch_vccz .LBB150_2042
; %bb.2039:
	global_load_b64 v[6:7], v[8:9], off
	s_mov_b32 s0, 0
	s_branch .LBB150_2043
.LBB150_2040:
	s_mov_b32 s0, -1
                                        ; implicit-def: $vgpr6
	s_branch .LBB150_2049
.LBB150_2041:
	s_mov_b32 s0, -1
                                        ; implicit-def: $vgpr6
	s_branch .LBB150_2046
.LBB150_2042:
	s_mov_b32 s0, -1
                                        ; implicit-def: $vgpr6
.LBB150_2043:
	s_delay_alu instid0(SALU_CYCLE_1)
	s_and_not1_b32 vcc_lo, exec_lo, s0
	s_cbranch_vccnz .LBB150_2045
; %bb.2044:
	global_load_b32 v6, v[8:9], off
.LBB150_2045:
	s_mov_b32 s0, 0
.LBB150_2046:
	s_delay_alu instid0(SALU_CYCLE_1)
	s_and_not1_b32 vcc_lo, exec_lo, s0
	s_cbranch_vccnz .LBB150_2048
; %bb.2047:
	global_load_u16 v6, v[8:9], off
.LBB150_2048:
	s_mov_b32 s0, 0
.LBB150_2049:
	s_delay_alu instid0(SALU_CYCLE_1)
	s_and_not1_b32 vcc_lo, exec_lo, s0
	s_cbranch_vccnz .LBB150_2055
; %bb.2050:
	v_cmp_lt_i16_e32 vcc_lo, 0, v17
	s_mov_b32 s0, 0
	s_cbranch_vccz .LBB150_2052
; %bb.2051:
	global_load_u8 v6, v[8:9], off
	s_branch .LBB150_2053
.LBB150_2052:
	s_mov_b32 s0, -1
                                        ; implicit-def: $vgpr6
.LBB150_2053:
	s_delay_alu instid0(SALU_CYCLE_1)
	s_and_not1_b32 vcc_lo, exec_lo, s0
	s_cbranch_vccnz .LBB150_2055
; %bb.2054:
	global_load_u8 v6, v[8:9], off
.LBB150_2055:
	s_mov_b32 s11, -1
.LBB150_2056:
	s_delay_alu instid0(SALU_CYCLE_1)
	s_and_not1_b32 vcc_lo, exec_lo, s11
	s_cbranch_vccnz .LBB150_3020
; %bb.2057:
	v_add_nc_u32_e32 v3, s9, v3
	v_cmp_gt_i16_e32 vcc_lo, 11, v14
	s_waitcnt vmcnt(0)
	s_delay_alu instid0(VALU_DEP_2) | instskip(SKIP_1) | instid1(VALU_DEP_1)
	v_ashrrev_i32_e32 v7, 31, v3
	v_add_co_u32 v9, s0, s6, v3
	v_add_co_ci_u32_e64 v10, s0, s7, v7, s0
	s_cbranch_vccnz .LBB150_2064
; %bb.2058:
	v_cmp_lt_i16_e32 vcc_lo, 25, v14
	s_mov_b32 s16, 0
	s_cbranch_vccz .LBB150_2065
; %bb.2059:
	v_cmp_lt_i16_e32 vcc_lo, 28, v14
	s_cbranch_vccz .LBB150_2066
; %bb.2060:
	v_cmp_lt_i16_e32 vcc_lo, 43, v14
	;; [unrolled: 3-line block ×3, first 2 shown]
	s_cbranch_vccz .LBB150_2070
; %bb.2062:
	v_cmp_eq_u16_e32 vcc_lo, 46, v14
	s_mov_b32 s1, 0
	s_cbranch_vccz .LBB150_2073
; %bb.2063:
	global_load_b32 v7, v[9:10], off
	s_mov_b32 s11, 0
	s_mov_b32 s0, -1
	s_waitcnt vmcnt(0)
	v_lshlrev_b32_e32 v7, 16, v7
	s_delay_alu instid0(VALU_DEP_1)
	v_cvt_f64_f32_e32 v[7:8], v7
	s_branch .LBB150_2075
.LBB150_2064:
	s_mov_b32 s1, -1
	s_mov_b32 s0, 0
                                        ; implicit-def: $vgpr7_vgpr8
	s_branch .LBB150_2141
.LBB150_2065:
	s_mov_b32 s1, -1
	s_mov_b32 s0, 0
	s_mov_b32 s11, 0
                                        ; implicit-def: $vgpr7_vgpr8
	s_branch .LBB150_2106
.LBB150_2066:
	s_mov_b32 s1, -1
	s_mov_b32 s0, 0
	s_mov_b32 s11, 0
                                        ; implicit-def: $vgpr7_vgpr8
	s_branch .LBB150_2085
.LBB150_2067:
	s_mov_b32 s1, -1
	s_mov_b32 s0, 0
	s_mov_b32 s11, 0
                                        ; implicit-def: $vgpr7_vgpr8
	s_branch .LBB150_2080
.LBB150_2068:
	s_cbranch_execnz .LBB150_2071
; %bb.2069:
	s_or_b32 s15, s15, exec_lo
                                        ; implicit-def: $vgpr6
	s_cbranch_execz .LBB150_2005
	s_branch .LBB150_2006
.LBB150_2070:
	s_mov_b32 s1, -1
	s_mov_b32 s0, 0
	s_mov_b32 s11, 0
	s_branch .LBB150_2074
.LBB150_2071:
	s_trap 2
	s_sendmsg_rtn_b32 s0, sendmsg(MSG_RTN_GET_DOORBELL)
	s_mov_b32 ttmp2, m0
	s_waitcnt lgkmcnt(0)
	s_and_b32 s0, s0, 0x3ff
	s_delay_alu instid0(SALU_CYCLE_1) | instskip(NEXT) | instid1(SALU_CYCLE_1)
	s_bitset1_b32 s0, 10
	s_mov_b32 m0, s0
	s_sendmsg sendmsg(MSG_INTERRUPT)
	s_mov_b32 m0, ttmp2
.LBB150_2072:                           ; =>This Inner Loop Header: Depth=1
	s_sethalt 5
	s_branch .LBB150_2072
.LBB150_2073:
	s_mov_b32 s11, -1
	s_mov_b32 s0, 0
.LBB150_2074:
                                        ; implicit-def: $vgpr7_vgpr8
.LBB150_2075:
	s_and_b32 vcc_lo, exec_lo, s1
	s_cbranch_vccz .LBB150_2079
; %bb.2076:
	v_cmp_eq_u16_e32 vcc_lo, 44, v14
	s_cbranch_vccz .LBB150_2078
; %bb.2077:
	global_load_u8 v12, v[9:10], off
	s_mov_b32 s11, 0
	s_mov_b32 s0, -1
	s_waitcnt vmcnt(0)
	v_lshlrev_b32_e32 v7, 23, v12
	v_cmp_ne_u32_e32 vcc_lo, 0xff, v12
	s_delay_alu instid0(VALU_DEP_2) | instskip(NEXT) | instid1(VALU_DEP_1)
	v_cvt_f64_f32_e32 v[7:8], v7
	v_cndmask_b32_e32 v7, 0x20000000, v7, vcc_lo
	s_delay_alu instid0(VALU_DEP_2) | instskip(SKIP_1) | instid1(VALU_DEP_2)
	v_cndmask_b32_e32 v8, 0x7ff80000, v8, vcc_lo
	v_cmp_ne_u32_e32 vcc_lo, 0, v12
	v_cndmask_b32_e32 v8, 0x38000000, v8, vcc_lo
	s_delay_alu instid0(VALU_DEP_4)
	v_cndmask_b32_e32 v7, 0, v7, vcc_lo
	s_branch .LBB150_2079
.LBB150_2078:
	s_mov_b32 s11, -1
                                        ; implicit-def: $vgpr7_vgpr8
.LBB150_2079:
	s_mov_b32 s1, 0
.LBB150_2080:
	s_delay_alu instid0(SALU_CYCLE_1)
	s_and_b32 vcc_lo, exec_lo, s1
	s_cbranch_vccz .LBB150_2084
; %bb.2081:
	v_cmp_eq_u16_e32 vcc_lo, 29, v14
	s_cbranch_vccz .LBB150_2083
; %bb.2082:
	global_load_b64 v[7:8], v[9:10], off
	s_mov_b32 s11, 0
	s_mov_b32 s0, -1
	s_mov_b32 s1, 0
	s_waitcnt vmcnt(0)
	v_cvt_f64_u32_e32 v[12:13], v8
	v_cvt_f64_u32_e32 v[7:8], v7
	s_delay_alu instid0(VALU_DEP_2) | instskip(NEXT) | instid1(VALU_DEP_1)
	v_ldexp_f64 v[12:13], v[12:13], 32
	v_add_f64 v[7:8], v[12:13], v[7:8]
	s_branch .LBB150_2085
.LBB150_2083:
	s_mov_b32 s11, -1
                                        ; implicit-def: $vgpr7_vgpr8
.LBB150_2084:
	s_mov_b32 s1, 0
.LBB150_2085:
	s_delay_alu instid0(SALU_CYCLE_1)
	s_and_b32 vcc_lo, exec_lo, s1
	s_cbranch_vccz .LBB150_2105
; %bb.2086:
	v_cmp_gt_i16_e32 vcc_lo, 27, v14
	s_cbranch_vccnz .LBB150_2089
; %bb.2087:
	v_cmp_lt_i16_e32 vcc_lo, 27, v14
	s_cbranch_vccz .LBB150_2090
; %bb.2088:
	global_load_b32 v7, v[9:10], off
	s_mov_b32 s0, 0
	s_waitcnt vmcnt(0)
	v_cvt_f64_u32_e32 v[7:8], v7
	s_branch .LBB150_2091
.LBB150_2089:
	s_mov_b32 s0, -1
                                        ; implicit-def: $vgpr7_vgpr8
	s_branch .LBB150_2094
.LBB150_2090:
	s_mov_b32 s0, -1
                                        ; implicit-def: $vgpr7_vgpr8
.LBB150_2091:
	s_delay_alu instid0(SALU_CYCLE_1)
	s_and_not1_b32 vcc_lo, exec_lo, s0
	s_cbranch_vccnz .LBB150_2093
; %bb.2092:
	global_load_u16 v7, v[9:10], off
	s_waitcnt vmcnt(0)
	v_cvt_f64_u32_e32 v[7:8], v7
.LBB150_2093:
	s_mov_b32 s0, 0
.LBB150_2094:
	s_delay_alu instid0(SALU_CYCLE_1)
	s_and_not1_b32 vcc_lo, exec_lo, s0
	s_cbranch_vccnz .LBB150_2104
; %bb.2095:
	global_load_u8 v12, v[9:10], off
	s_mov_b32 s19, 0
	s_mov_b32 s20, exec_lo
                                        ; implicit-def: $sgpr0_sgpr1
	s_waitcnt vmcnt(0)
	v_cmpx_lt_i16_e32 0x7f, v12
	s_xor_b32 s20, exec_lo, s20
	s_cbranch_execz .LBB150_2099
; %bb.2096:
	s_mov_b32 s21, -1
	s_mov_b32 s19, exec_lo
                                        ; implicit-def: $sgpr0_sgpr1
	v_cmpx_eq_u16_e32 0x80, v12
; %bb.2097:
	s_mov_b32 s1, 0x7ff80000
	s_brev_b32 s0, 4
	s_xor_b32 s21, exec_lo, -1
; %bb.2098:
	s_or_b32 exec_lo, exec_lo, s19
	s_delay_alu instid0(SALU_CYCLE_1)
	s_and_b32 s19, s21, exec_lo
.LBB150_2099:
	s_or_saveexec_b32 s20, s20
	v_dual_mov_b32 v8, s1 :: v_dual_mov_b32 v7, s0
	s_xor_b32 exec_lo, exec_lo, s20
; %bb.2100:
	v_cmp_ne_u16_e32 vcc_lo, 0, v12
	v_mov_b32_e32 v7, 0
	v_mov_b32_e32 v8, 0
	s_and_not1_b32 s0, s19, exec_lo
	s_and_b32 s1, vcc_lo, exec_lo
	s_delay_alu instid0(SALU_CYCLE_1)
	s_or_b32 s19, s0, s1
; %bb.2101:
	s_or_b32 exec_lo, exec_lo, s20
	s_and_saveexec_b32 s0, s19
	s_cbranch_execz .LBB150_2103
; %bb.2102:
	v_and_b32_e32 v7, 0xffff, v12
	v_lshlrev_b32_e32 v12, 24, v12
	s_delay_alu instid0(VALU_DEP_2) | instskip(NEXT) | instid1(VALU_DEP_2)
	v_and_b32_e32 v8, 7, v7
	v_and_b32_e32 v12, 0x80000000, v12
	s_delay_alu instid0(VALU_DEP_2) | instskip(NEXT) | instid1(VALU_DEP_1)
	v_clz_i32_u32_e32 v13, v8
	v_min_u32_e32 v13, 32, v13
	s_delay_alu instid0(VALU_DEP_1) | instskip(SKIP_1) | instid1(VALU_DEP_2)
	v_subrev_nc_u32_e32 v15, 28, v13
	v_sub_nc_u32_e32 v13, 29, v13
	v_lshlrev_b32_e32 v15, v15, v7
	v_bfe_u32 v7, v7, 3, 4
	s_delay_alu instid0(VALU_DEP_2) | instskip(NEXT) | instid1(VALU_DEP_2)
	v_and_b32_e32 v15, 7, v15
	v_cmp_eq_u32_e32 vcc_lo, 0, v7
	s_delay_alu instid0(VALU_DEP_2) | instskip(NEXT) | instid1(VALU_DEP_1)
	v_dual_cndmask_b32 v7, v7, v13 :: v_dual_cndmask_b32 v8, v8, v15
	v_lshl_add_u32 v7, v7, 23, 0x3b800000
	s_delay_alu instid0(VALU_DEP_2) | instskip(NEXT) | instid1(VALU_DEP_1)
	v_lshlrev_b32_e32 v8, 20, v8
	v_or3_b32 v7, v12, v7, v8
	s_delay_alu instid0(VALU_DEP_1)
	v_cvt_f64_f32_e32 v[7:8], v7
.LBB150_2103:
	s_or_b32 exec_lo, exec_lo, s0
.LBB150_2104:
	s_mov_b32 s0, -1
.LBB150_2105:
	s_mov_b32 s1, 0
.LBB150_2106:
	s_delay_alu instid0(SALU_CYCLE_1)
	s_and_b32 vcc_lo, exec_lo, s1
	s_cbranch_vccz .LBB150_2137
; %bb.2107:
	v_cmp_lt_i16_e32 vcc_lo, 22, v14
	s_cbranch_vccz .LBB150_2119
; %bb.2108:
	v_cmp_gt_i16_e32 vcc_lo, 24, v14
	s_cbranch_vccnz .LBB150_2120
; %bb.2109:
	v_cmp_lt_i16_e32 vcc_lo, 24, v14
	s_cbranch_vccz .LBB150_2121
; %bb.2110:
	global_load_u8 v12, v[9:10], off
	s_mov_b32 s19, exec_lo
                                        ; implicit-def: $sgpr0_sgpr1
	s_waitcnt vmcnt(0)
	v_cmpx_lt_i16_e32 0x7f, v12
	s_xor_b32 s19, exec_lo, s19
	s_cbranch_execz .LBB150_2114
; %bb.2111:
	s_mov_b32 s20, -1
	s_mov_b32 s16, exec_lo
                                        ; implicit-def: $sgpr0_sgpr1
	v_cmpx_eq_u16_e32 0x80, v12
; %bb.2112:
	s_mov_b32 s1, 0x7ff80000
	s_brev_b32 s0, 4
	s_xor_b32 s20, exec_lo, -1
; %bb.2113:
	s_or_b32 exec_lo, exec_lo, s16
	s_delay_alu instid0(SALU_CYCLE_1)
	s_and_b32 s16, s20, exec_lo
.LBB150_2114:
	s_or_saveexec_b32 s19, s19
	v_dual_mov_b32 v8, s1 :: v_dual_mov_b32 v7, s0
	s_xor_b32 exec_lo, exec_lo, s19
; %bb.2115:
	v_cmp_ne_u16_e32 vcc_lo, 0, v12
	v_mov_b32_e32 v7, 0
	v_mov_b32_e32 v8, 0
	s_and_not1_b32 s0, s16, exec_lo
	s_and_b32 s1, vcc_lo, exec_lo
	s_delay_alu instid0(SALU_CYCLE_1)
	s_or_b32 s16, s0, s1
; %bb.2116:
	s_or_b32 exec_lo, exec_lo, s19
	s_and_saveexec_b32 s0, s16
	s_cbranch_execz .LBB150_2118
; %bb.2117:
	v_and_b32_e32 v7, 0xffff, v12
	v_lshlrev_b32_e32 v12, 24, v12
	s_delay_alu instid0(VALU_DEP_2) | instskip(NEXT) | instid1(VALU_DEP_2)
	v_and_b32_e32 v8, 3, v7
	v_and_b32_e32 v12, 0x80000000, v12
	s_delay_alu instid0(VALU_DEP_2) | instskip(NEXT) | instid1(VALU_DEP_1)
	v_clz_i32_u32_e32 v13, v8
	v_min_u32_e32 v13, 32, v13
	s_delay_alu instid0(VALU_DEP_1) | instskip(SKIP_1) | instid1(VALU_DEP_2)
	v_subrev_nc_u32_e32 v15, 29, v13
	v_sub_nc_u32_e32 v13, 30, v13
	v_lshlrev_b32_e32 v15, v15, v7
	v_bfe_u32 v7, v7, 2, 5
	s_delay_alu instid0(VALU_DEP_2) | instskip(NEXT) | instid1(VALU_DEP_2)
	v_and_b32_e32 v15, 3, v15
	v_cmp_eq_u32_e32 vcc_lo, 0, v7
	s_delay_alu instid0(VALU_DEP_2) | instskip(NEXT) | instid1(VALU_DEP_1)
	v_dual_cndmask_b32 v7, v7, v13 :: v_dual_cndmask_b32 v8, v8, v15
	v_lshl_add_u32 v7, v7, 23, 0x37800000
	s_delay_alu instid0(VALU_DEP_2) | instskip(NEXT) | instid1(VALU_DEP_1)
	v_lshlrev_b32_e32 v8, 21, v8
	v_or3_b32 v7, v12, v7, v8
	s_delay_alu instid0(VALU_DEP_1)
	v_cvt_f64_f32_e32 v[7:8], v7
.LBB150_2118:
	s_or_b32 exec_lo, exec_lo, s0
	s_mov_b32 s0, 0
	s_branch .LBB150_2122
.LBB150_2119:
	s_mov_b32 s1, -1
                                        ; implicit-def: $vgpr7_vgpr8
	s_branch .LBB150_2128
.LBB150_2120:
	s_mov_b32 s0, -1
                                        ; implicit-def: $vgpr7_vgpr8
	s_branch .LBB150_2125
.LBB150_2121:
	s_mov_b32 s0, -1
                                        ; implicit-def: $vgpr7_vgpr8
.LBB150_2122:
	s_delay_alu instid0(SALU_CYCLE_1)
	s_and_b32 vcc_lo, exec_lo, s0
	s_cbranch_vccz .LBB150_2124
; %bb.2123:
	global_load_u8 v7, v[9:10], off
	s_waitcnt vmcnt(0)
	v_lshlrev_b32_e32 v7, 24, v7
	s_delay_alu instid0(VALU_DEP_1) | instskip(NEXT) | instid1(VALU_DEP_1)
	v_and_b32_e32 v8, 0x7f000000, v7
	v_clz_i32_u32_e32 v12, v8
	v_add_nc_u32_e32 v15, 0x1000000, v8
	v_cmp_ne_u32_e32 vcc_lo, 0, v8
	s_delay_alu instid0(VALU_DEP_3) | instskip(NEXT) | instid1(VALU_DEP_1)
	v_min_u32_e32 v12, 32, v12
	v_sub_nc_u32_e64 v12, v12, 4 clamp
	s_delay_alu instid0(VALU_DEP_1) | instskip(SKIP_1) | instid1(VALU_DEP_2)
	v_lshlrev_b32_e32 v13, v12, v8
	v_lshlrev_b32_e32 v12, 23, v12
	v_lshrrev_b32_e32 v13, 4, v13
	s_delay_alu instid0(VALU_DEP_1) | instskip(SKIP_1) | instid1(VALU_DEP_2)
	v_sub_nc_u32_e32 v12, v13, v12
	v_ashrrev_i32_e32 v13, 8, v15
	v_add_nc_u32_e32 v12, 0x3c000000, v12
	s_delay_alu instid0(VALU_DEP_1) | instskip(NEXT) | instid1(VALU_DEP_1)
	v_and_or_b32 v12, 0x7f800000, v13, v12
	v_cndmask_b32_e32 v8, 0, v12, vcc_lo
	s_delay_alu instid0(VALU_DEP_1) | instskip(NEXT) | instid1(VALU_DEP_1)
	v_and_or_b32 v7, 0x80000000, v7, v8
	v_cvt_f64_f32_e32 v[7:8], v7
.LBB150_2124:
	s_mov_b32 s0, 0
.LBB150_2125:
	s_delay_alu instid0(SALU_CYCLE_1)
	s_and_not1_b32 vcc_lo, exec_lo, s0
	s_cbranch_vccnz .LBB150_2127
; %bb.2126:
	global_load_u8 v7, v[9:10], off
	s_waitcnt vmcnt(0)
	v_lshlrev_b32_e32 v8, 25, v7
	v_lshlrev_b16 v7, 8, v7
	s_delay_alu instid0(VALU_DEP_1) | instskip(SKIP_1) | instid1(VALU_DEP_2)
	v_and_or_b32 v13, 0x7f00, v7, 0.5
	v_bfe_i32 v7, v7, 0, 16
	v_add_f32_e32 v13, -0.5, v13
	v_lshrrev_b32_e32 v12, 4, v8
	v_cmp_gt_u32_e32 vcc_lo, 0x8000000, v8
	s_delay_alu instid0(VALU_DEP_2) | instskip(NEXT) | instid1(VALU_DEP_1)
	v_or_b32_e32 v12, 0x70000000, v12
	v_mul_f32_e32 v12, 0x7800000, v12
	s_delay_alu instid0(VALU_DEP_1) | instskip(NEXT) | instid1(VALU_DEP_1)
	v_cndmask_b32_e32 v8, v12, v13, vcc_lo
	v_and_or_b32 v7, 0x80000000, v7, v8
	s_delay_alu instid0(VALU_DEP_1)
	v_cvt_f64_f32_e32 v[7:8], v7
.LBB150_2127:
	s_mov_b32 s1, 0
	s_mov_b32 s0, -1
.LBB150_2128:
	s_and_not1_b32 vcc_lo, exec_lo, s1
	s_mov_b32 s16, 0
	s_cbranch_vccnz .LBB150_2137
; %bb.2129:
	v_cmp_lt_i16_e32 vcc_lo, 14, v14
	s_cbranch_vccz .LBB150_2132
; %bb.2130:
	v_cmp_eq_u16_e32 vcc_lo, 15, v14
	s_cbranch_vccz .LBB150_2133
; %bb.2131:
	global_load_u16 v7, v[9:10], off
	s_mov_b32 s11, 0
	s_mov_b32 s0, -1
	s_waitcnt vmcnt(0)
	v_lshlrev_b32_e32 v7, 16, v7
	s_delay_alu instid0(VALU_DEP_1)
	v_cvt_f64_f32_e32 v[7:8], v7
	s_branch .LBB150_2134
.LBB150_2132:
	s_mov_b32 s1, -1
                                        ; implicit-def: $vgpr7_vgpr8
	s_branch .LBB150_2135
.LBB150_2133:
	s_mov_b32 s11, -1
                                        ; implicit-def: $vgpr7_vgpr8
.LBB150_2134:
	s_mov_b32 s1, 0
.LBB150_2135:
	s_delay_alu instid0(SALU_CYCLE_1)
	s_and_b32 vcc_lo, exec_lo, s1
	s_cbranch_vccz .LBB150_2137
; %bb.2136:
	v_cmp_ne_u16_e64 s11, 11, v14
	s_mov_b32 s16, -1
                                        ; implicit-def: $vgpr7_vgpr8
.LBB150_2137:
	s_delay_alu instid0(VALU_DEP_1)
	s_and_b32 vcc_lo, exec_lo, s11
	s_cbranch_vccnz .LBB150_2202
; %bb.2138:
	s_and_not1_b32 vcc_lo, exec_lo, s16
	s_cbranch_vccnz .LBB150_2140
.LBB150_2139:
	global_load_u8 v7, v[9:10], off
	s_mov_b32 s0, -1
	s_waitcnt vmcnt(0)
	v_cmp_ne_u16_e32 vcc_lo, 0, v7
	v_mov_b32_e32 v7, 0
	v_cndmask_b32_e64 v8, 0, 0x3ff00000, vcc_lo
.LBB150_2140:
	s_mov_b32 s1, 0
.LBB150_2141:
	s_delay_alu instid0(SALU_CYCLE_1)
	s_and_b32 vcc_lo, exec_lo, s1
	s_cbranch_vccz .LBB150_2190
; %bb.2142:
	v_cmp_gt_i16_e32 vcc_lo, 5, v14
	s_cbranch_vccnz .LBB150_2147
; %bb.2143:
	v_cmp_gt_i16_e32 vcc_lo, 8, v14
	s_cbranch_vccnz .LBB150_2148
	;; [unrolled: 3-line block ×3, first 2 shown]
; %bb.2145:
	v_cmp_lt_i16_e32 vcc_lo, 9, v14
	s_cbranch_vccz .LBB150_2150
; %bb.2146:
	global_load_b64 v[7:8], v[9:10], off
	s_mov_b32 s0, 0
	s_branch .LBB150_2151
.LBB150_2147:
	s_mov_b32 s0, -1
                                        ; implicit-def: $vgpr7_vgpr8
	s_branch .LBB150_2169
.LBB150_2148:
	s_mov_b32 s0, -1
                                        ; implicit-def: $vgpr7_vgpr8
	s_branch .LBB150_2157
.LBB150_2149:
	s_mov_b32 s0, -1
                                        ; implicit-def: $vgpr7_vgpr8
	s_branch .LBB150_2154
.LBB150_2150:
	s_mov_b32 s0, -1
                                        ; implicit-def: $vgpr7_vgpr8
.LBB150_2151:
	s_delay_alu instid0(SALU_CYCLE_1)
	s_and_not1_b32 vcc_lo, exec_lo, s0
	s_cbranch_vccnz .LBB150_2153
; %bb.2152:
	global_load_b32 v7, v[9:10], off
	s_waitcnt vmcnt(0)
	v_cvt_f64_f32_e32 v[7:8], v7
.LBB150_2153:
	s_mov_b32 s0, 0
.LBB150_2154:
	s_delay_alu instid0(SALU_CYCLE_1)
	s_and_not1_b32 vcc_lo, exec_lo, s0
	s_cbranch_vccnz .LBB150_2156
; %bb.2155:
	global_load_b32 v7, v[9:10], off
	s_waitcnt vmcnt(0)
	v_cvt_f32_f16_e32 v7, v7
	s_delay_alu instid0(VALU_DEP_1)
	v_cvt_f64_f32_e32 v[7:8], v7
.LBB150_2156:
	s_mov_b32 s0, 0
.LBB150_2157:
	s_delay_alu instid0(SALU_CYCLE_1)
	s_and_not1_b32 vcc_lo, exec_lo, s0
	s_cbranch_vccnz .LBB150_2168
; %bb.2158:
	v_cmp_gt_i16_e32 vcc_lo, 6, v14
	s_cbranch_vccnz .LBB150_2161
; %bb.2159:
	v_cmp_lt_i16_e32 vcc_lo, 6, v14
	s_cbranch_vccz .LBB150_2162
; %bb.2160:
	global_load_b64 v[7:8], v[9:10], off
	s_mov_b32 s0, 0
	s_branch .LBB150_2163
.LBB150_2161:
	s_mov_b32 s0, -1
                                        ; implicit-def: $vgpr7_vgpr8
	s_branch .LBB150_2166
.LBB150_2162:
	s_mov_b32 s0, -1
                                        ; implicit-def: $vgpr7_vgpr8
.LBB150_2163:
	s_delay_alu instid0(SALU_CYCLE_1)
	s_and_not1_b32 vcc_lo, exec_lo, s0
	s_cbranch_vccnz .LBB150_2165
; %bb.2164:
	global_load_b32 v7, v[9:10], off
	s_waitcnt vmcnt(0)
	v_cvt_f64_f32_e32 v[7:8], v7
.LBB150_2165:
	s_mov_b32 s0, 0
.LBB150_2166:
	s_delay_alu instid0(SALU_CYCLE_1)
	s_and_not1_b32 vcc_lo, exec_lo, s0
	s_cbranch_vccnz .LBB150_2168
; %bb.2167:
	global_load_u16 v7, v[9:10], off
	s_waitcnt vmcnt(0)
	v_cvt_f32_f16_e32 v7, v7
	s_delay_alu instid0(VALU_DEP_1)
	v_cvt_f64_f32_e32 v[7:8], v7
.LBB150_2168:
	s_mov_b32 s0, 0
.LBB150_2169:
	s_delay_alu instid0(SALU_CYCLE_1)
	s_and_not1_b32 vcc_lo, exec_lo, s0
	s_cbranch_vccnz .LBB150_2189
; %bb.2170:
	v_cmp_gt_i16_e32 vcc_lo, 2, v14
	s_cbranch_vccnz .LBB150_2174
; %bb.2171:
	v_cmp_gt_i16_e32 vcc_lo, 3, v14
	s_cbranch_vccnz .LBB150_2175
; %bb.2172:
	v_cmp_lt_i16_e32 vcc_lo, 3, v14
	s_cbranch_vccz .LBB150_2176
; %bb.2173:
	global_load_b64 v[7:8], v[9:10], off
	s_mov_b32 s0, 0
	s_waitcnt vmcnt(0)
	v_cvt_f64_i32_e32 v[12:13], v8
	v_cvt_f64_u32_e32 v[7:8], v7
	s_delay_alu instid0(VALU_DEP_2) | instskip(NEXT) | instid1(VALU_DEP_1)
	v_ldexp_f64 v[12:13], v[12:13], 32
	v_add_f64 v[7:8], v[12:13], v[7:8]
	s_branch .LBB150_2177
.LBB150_2174:
	s_mov_b32 s0, -1
                                        ; implicit-def: $vgpr7_vgpr8
	s_branch .LBB150_2183
.LBB150_2175:
	s_mov_b32 s0, -1
                                        ; implicit-def: $vgpr7_vgpr8
	s_branch .LBB150_2180
.LBB150_2176:
	s_mov_b32 s0, -1
                                        ; implicit-def: $vgpr7_vgpr8
.LBB150_2177:
	s_delay_alu instid0(SALU_CYCLE_1)
	s_and_not1_b32 vcc_lo, exec_lo, s0
	s_cbranch_vccnz .LBB150_2179
; %bb.2178:
	global_load_b32 v7, v[9:10], off
	s_waitcnt vmcnt(0)
	v_cvt_f64_i32_e32 v[7:8], v7
.LBB150_2179:
	s_mov_b32 s0, 0
.LBB150_2180:
	s_delay_alu instid0(SALU_CYCLE_1)
	s_and_not1_b32 vcc_lo, exec_lo, s0
	s_cbranch_vccnz .LBB150_2182
; %bb.2181:
	global_load_i16 v7, v[9:10], off
	s_waitcnt vmcnt(0)
	v_cvt_f64_i32_e32 v[7:8], v7
.LBB150_2182:
	s_mov_b32 s0, 0
.LBB150_2183:
	s_delay_alu instid0(SALU_CYCLE_1)
	s_and_not1_b32 vcc_lo, exec_lo, s0
	s_cbranch_vccnz .LBB150_2189
; %bb.2184:
	v_cmp_lt_i16_e32 vcc_lo, 0, v14
	s_mov_b32 s0, 0
	s_cbranch_vccz .LBB150_2186
; %bb.2185:
	global_load_i8 v7, v[9:10], off
	s_waitcnt vmcnt(0)
	v_cvt_f64_i32_e32 v[7:8], v7
	s_branch .LBB150_2187
.LBB150_2186:
	s_mov_b32 s0, -1
                                        ; implicit-def: $vgpr7_vgpr8
.LBB150_2187:
	s_delay_alu instid0(SALU_CYCLE_1)
	s_and_not1_b32 vcc_lo, exec_lo, s0
	s_cbranch_vccnz .LBB150_2189
; %bb.2188:
	global_load_u8 v7, v[9:10], off
	s_waitcnt vmcnt(0)
	v_cvt_f64_u32_e32 v[7:8], v7
.LBB150_2189:
	s_mov_b32 s0, -1
.LBB150_2190:
	s_delay_alu instid0(SALU_CYCLE_1)
	s_and_not1_b32 vcc_lo, exec_lo, s0
	s_cbranch_vccnz .LBB150_3020
; %bb.2191:
	v_add_nc_u32_e32 v15, s10, v11
	v_cmp_gt_i16_e32 vcc_lo, 11, v17
	s_delay_alu instid0(VALU_DEP_2) | instskip(SKIP_1) | instid1(VALU_DEP_1)
	v_ashrrev_i32_e32 v9, 31, v15
	v_add_co_u32 v11, s0, s12, v15
	v_add_co_ci_u32_e64 v12, s0, s13, v9, s0
	s_cbranch_vccnz .LBB150_2198
; %bb.2192:
	v_cmp_lt_i16_e32 vcc_lo, 25, v17
	s_mov_b32 s1, 0
	s_cbranch_vccz .LBB150_2199
; %bb.2193:
	v_cmp_lt_i16_e32 vcc_lo, 28, v17
	s_cbranch_vccz .LBB150_2200
; %bb.2194:
	v_cmp_lt_i16_e32 vcc_lo, 43, v17
	;; [unrolled: 3-line block ×3, first 2 shown]
	s_cbranch_vccz .LBB150_2204
; %bb.2196:
	v_cmp_eq_u16_e32 vcc_lo, 46, v17
	s_mov_b32 s16, 0
	s_cbranch_vccz .LBB150_2209
; %bb.2197:
	global_load_b32 v9, v[11:12], off
	s_mov_b32 s0, 0
	s_mov_b32 s11, -1
	s_waitcnt vmcnt(0)
	v_lshlrev_b32_e32 v9, 16, v9
	s_delay_alu instid0(VALU_DEP_1) | instskip(NEXT) | instid1(VALU_DEP_1)
	v_trunc_f32_e32 v9, v9
	v_mul_f32_e64 v10, 0x2f800000, |v9|
	s_delay_alu instid0(VALU_DEP_1) | instskip(NEXT) | instid1(VALU_DEP_1)
	v_floor_f32_e32 v10, v10
	v_fma_f32 v10, 0xcf800000, v10, |v9|
	v_ashrrev_i32_e32 v9, 31, v9
	s_delay_alu instid0(VALU_DEP_2) | instskip(NEXT) | instid1(VALU_DEP_1)
	v_cvt_u32_f32_e32 v10, v10
	v_xor_b32_e32 v10, v10, v9
	s_delay_alu instid0(VALU_DEP_1)
	v_sub_nc_u32_e32 v9, v10, v9
	s_branch .LBB150_2211
.LBB150_2198:
	s_mov_b32 s0, -1
	s_mov_b32 s11, 0
                                        ; implicit-def: $vgpr9
	s_branch .LBB150_2273
.LBB150_2199:
	s_mov_b32 s16, -1
	s_mov_b32 s11, 0
	s_mov_b32 s0, 0
                                        ; implicit-def: $vgpr9
	s_branch .LBB150_2238
.LBB150_2200:
	s_mov_b32 s16, -1
	s_mov_b32 s11, 0
	s_mov_b32 s0, 0
                                        ; implicit-def: $vgpr9
	s_branch .LBB150_2221
.LBB150_2201:
	s_mov_b32 s16, -1
	s_mov_b32 s11, 0
	s_mov_b32 s0, 0
                                        ; implicit-def: $vgpr9
	s_branch .LBB150_2216
.LBB150_2202:
	s_cbranch_execnz .LBB150_2205
; %bb.2203:
	s_or_b32 s15, s15, exec_lo
                                        ; implicit-def: $vgpr7_vgpr8
	s_cbranch_execz .LBB150_2139
	s_branch .LBB150_2140
.LBB150_2204:
	s_mov_b32 s16, -1
	s_mov_b32 s11, 0
	s_mov_b32 s0, 0
	s_branch .LBB150_2210
.LBB150_2205:
	s_trap 2
	s_sendmsg_rtn_b32 s0, sendmsg(MSG_RTN_GET_DOORBELL)
	s_mov_b32 ttmp2, m0
	s_waitcnt lgkmcnt(0)
	s_and_b32 s0, s0, 0x3ff
	s_delay_alu instid0(SALU_CYCLE_1) | instskip(NEXT) | instid1(SALU_CYCLE_1)
	s_bitset1_b32 s0, 10
	s_mov_b32 m0, s0
	s_sendmsg sendmsg(MSG_INTERRUPT)
	s_mov_b32 m0, ttmp2
.LBB150_2206:                           ; =>This Inner Loop Header: Depth=1
	s_sethalt 5
	s_branch .LBB150_2206
.LBB150_2207:
	s_or_saveexec_b32 s31, s31
                                        ; implicit-def: $sgpr33
	s_delay_alu instid0(SALU_CYCLE_1)
	s_xor_b32 exec_lo, exec_lo, s31
	s_cbranch_execz .LBB150_1071
.LBB150_2208:
	v_add_f32_e64 v3, 0x42800000, |v2|
	s_and_not1_b32 s30, s30, exec_lo
	s_mov_b32 s33, 0
	s_delay_alu instid0(VALU_DEP_1) | instskip(NEXT) | instid1(VALU_DEP_1)
	v_and_b32_e32 v3, 0xff, v3
	v_cmp_ne_u32_e32 vcc_lo, 0, v3
	s_and_b32 s34, vcc_lo, exec_lo
	s_delay_alu instid0(SALU_CYCLE_1)
	s_or_b32 s30, s30, s34
	s_or_b32 exec_lo, exec_lo, s31
	v_mov_b32_e32 v7, s33
	s_and_saveexec_b32 s31, s30
	s_cbranch_execnz .LBB150_1072
	s_branch .LBB150_1073
.LBB150_2209:
	s_mov_b32 s0, -1
	s_mov_b32 s11, 0
.LBB150_2210:
                                        ; implicit-def: $vgpr9
.LBB150_2211:
	s_and_b32 vcc_lo, exec_lo, s16
	s_cbranch_vccz .LBB150_2215
; %bb.2212:
	v_cmp_eq_u16_e32 vcc_lo, 44, v17
	s_cbranch_vccz .LBB150_2214
; %bb.2213:
	global_load_u8 v9, v[11:12], off
	s_mov_b32 s0, 0
	s_mov_b32 s11, -1
	s_waitcnt vmcnt(0)
	v_lshlrev_b32_e32 v10, 23, v9
	v_cmp_ne_u32_e32 vcc_lo, 0, v9
	s_delay_alu instid0(VALU_DEP_2) | instskip(NEXT) | instid1(VALU_DEP_1)
	v_trunc_f32_e32 v10, v10
	v_mul_f32_e64 v13, 0x2f800000, |v10|
	s_delay_alu instid0(VALU_DEP_1) | instskip(NEXT) | instid1(VALU_DEP_1)
	v_floor_f32_e32 v13, v13
	v_fma_f32 v13, 0xcf800000, v13, |v10|
	v_ashrrev_i32_e32 v10, 31, v10
	s_delay_alu instid0(VALU_DEP_2) | instskip(NEXT) | instid1(VALU_DEP_1)
	v_cvt_u32_f32_e32 v13, v13
	v_xor_b32_e32 v13, v13, v10
	s_delay_alu instid0(VALU_DEP_1) | instskip(NEXT) | instid1(VALU_DEP_1)
	v_sub_nc_u32_e32 v10, v13, v10
	v_cndmask_b32_e32 v9, 0, v10, vcc_lo
	s_branch .LBB150_2215
.LBB150_2214:
	s_mov_b32 s0, -1
                                        ; implicit-def: $vgpr9
.LBB150_2215:
	s_mov_b32 s16, 0
.LBB150_2216:
	s_delay_alu instid0(SALU_CYCLE_1)
	s_and_b32 vcc_lo, exec_lo, s16
	s_cbranch_vccz .LBB150_2220
; %bb.2217:
	v_cmp_eq_u16_e32 vcc_lo, 29, v17
	s_cbranch_vccz .LBB150_2219
; %bb.2218:
	global_load_b64 v[9:10], v[11:12], off
	s_mov_b32 s0, 0
	s_mov_b32 s11, -1
	s_branch .LBB150_2220
.LBB150_2219:
	s_mov_b32 s0, -1
                                        ; implicit-def: $vgpr9
.LBB150_2220:
	s_mov_b32 s16, 0
.LBB150_2221:
	s_delay_alu instid0(SALU_CYCLE_1)
	s_and_b32 vcc_lo, exec_lo, s16
	s_cbranch_vccz .LBB150_2237
; %bb.2222:
	v_cmp_gt_i16_e32 vcc_lo, 27, v17
	s_cbranch_vccnz .LBB150_2225
; %bb.2223:
	v_cmp_lt_i16_e32 vcc_lo, 27, v17
	s_cbranch_vccz .LBB150_2226
; %bb.2224:
	global_load_b32 v9, v[11:12], off
	s_mov_b32 s11, 0
	s_branch .LBB150_2227
.LBB150_2225:
	s_mov_b32 s11, -1
                                        ; implicit-def: $vgpr9
	s_branch .LBB150_2230
.LBB150_2226:
	s_mov_b32 s11, -1
                                        ; implicit-def: $vgpr9
.LBB150_2227:
	s_delay_alu instid0(SALU_CYCLE_1)
	s_and_not1_b32 vcc_lo, exec_lo, s11
	s_cbranch_vccnz .LBB150_2229
; %bb.2228:
	global_load_u16 v9, v[11:12], off
.LBB150_2229:
	s_mov_b32 s11, 0
.LBB150_2230:
	s_delay_alu instid0(SALU_CYCLE_1)
	s_and_not1_b32 vcc_lo, exec_lo, s11
	s_cbranch_vccnz .LBB150_2236
; %bb.2231:
	global_load_u8 v10, v[11:12], off
	s_mov_b32 s16, 0
	s_mov_b32 s11, exec_lo
                                        ; implicit-def: $sgpr19
	s_waitcnt vmcnt(0)
	v_cmpx_lt_i16_e32 0x7f, v10
	s_xor_b32 s11, exec_lo, s11
	s_cbranch_execz .LBB150_2248
; %bb.2232:
	v_cmp_ne_u16_e32 vcc_lo, 0x80, v10
	s_mov_b32 s19, 0
	s_and_b32 s16, vcc_lo, exec_lo
	s_or_saveexec_b32 s11, s11
	v_mov_b32_e32 v9, s19
	s_xor_b32 exec_lo, exec_lo, s11
	s_cbranch_execnz .LBB150_2249
.LBB150_2233:
	s_or_b32 exec_lo, exec_lo, s11
	s_and_saveexec_b32 s11, s16
	s_cbranch_execz .LBB150_2235
.LBB150_2234:
	v_and_b32_e32 v9, 0xffff, v10
	s_delay_alu instid0(VALU_DEP_1) | instskip(NEXT) | instid1(VALU_DEP_1)
	v_and_b32_e32 v13, 7, v9
	v_clz_i32_u32_e32 v18, v13
	s_delay_alu instid0(VALU_DEP_1) | instskip(NEXT) | instid1(VALU_DEP_1)
	v_min_u32_e32 v18, 32, v18
	v_subrev_nc_u32_e32 v19, 28, v18
	v_sub_nc_u32_e32 v18, 29, v18
	s_delay_alu instid0(VALU_DEP_2) | instskip(SKIP_1) | instid1(VALU_DEP_2)
	v_lshlrev_b32_e32 v19, v19, v9
	v_bfe_u32 v9, v9, 3, 4
	v_and_b32_e32 v19, 7, v19
	s_delay_alu instid0(VALU_DEP_2) | instskip(NEXT) | instid1(VALU_DEP_2)
	v_cmp_eq_u32_e32 vcc_lo, 0, v9
	v_dual_cndmask_b32 v13, v13, v19 :: v_dual_lshlrev_b32 v10, 24, v10
	v_cndmask_b32_e32 v9, v9, v18, vcc_lo
	s_delay_alu instid0(VALU_DEP_2) | instskip(NEXT) | instid1(VALU_DEP_3)
	v_and_b32_e32 v10, 0x80000000, v10
	v_lshlrev_b32_e32 v13, 20, v13
	s_delay_alu instid0(VALU_DEP_3) | instskip(NEXT) | instid1(VALU_DEP_1)
	v_lshl_add_u32 v9, v9, 23, 0x3b800000
	v_or3_b32 v9, v10, v9, v13
	s_delay_alu instid0(VALU_DEP_1) | instskip(NEXT) | instid1(VALU_DEP_1)
	v_trunc_f32_e32 v9, v9
	v_mul_f32_e64 v10, 0x2f800000, |v9|
	s_delay_alu instid0(VALU_DEP_1) | instskip(NEXT) | instid1(VALU_DEP_1)
	v_floor_f32_e32 v10, v10
	v_fma_f32 v10, 0xcf800000, v10, |v9|
	v_ashrrev_i32_e32 v9, 31, v9
	s_delay_alu instid0(VALU_DEP_2) | instskip(NEXT) | instid1(VALU_DEP_1)
	v_cvt_u32_f32_e32 v10, v10
	v_xor_b32_e32 v10, v10, v9
	s_delay_alu instid0(VALU_DEP_1)
	v_sub_nc_u32_e32 v9, v10, v9
.LBB150_2235:
	s_or_b32 exec_lo, exec_lo, s11
.LBB150_2236:
	s_mov_b32 s11, -1
.LBB150_2237:
	s_mov_b32 s16, 0
.LBB150_2238:
	s_delay_alu instid0(SALU_CYCLE_1)
	s_and_b32 vcc_lo, exec_lo, s16
	s_cbranch_vccz .LBB150_2269
; %bb.2239:
	v_cmp_lt_i16_e32 vcc_lo, 22, v17
	s_cbranch_vccz .LBB150_2247
; %bb.2240:
	v_cmp_gt_i16_e32 vcc_lo, 24, v17
	s_cbranch_vccnz .LBB150_2250
; %bb.2241:
	v_cmp_lt_i16_e32 vcc_lo, 24, v17
	s_cbranch_vccz .LBB150_2251
; %bb.2242:
	global_load_u8 v10, v[11:12], off
	s_mov_b32 s11, 0
	s_mov_b32 s1, exec_lo
                                        ; implicit-def: $sgpr16
	s_waitcnt vmcnt(0)
	v_cmpx_lt_i16_e32 0x7f, v10
	s_xor_b32 s1, exec_lo, s1
	s_cbranch_execz .LBB150_2263
; %bb.2243:
	v_cmp_ne_u16_e32 vcc_lo, 0x80, v10
	s_mov_b32 s16, 0
	s_and_b32 s11, vcc_lo, exec_lo
	s_or_saveexec_b32 s1, s1
	v_mov_b32_e32 v9, s16
	s_xor_b32 exec_lo, exec_lo, s1
	s_cbranch_execnz .LBB150_2264
.LBB150_2244:
	s_or_b32 exec_lo, exec_lo, s1
	s_and_saveexec_b32 s1, s11
	s_cbranch_execz .LBB150_2246
.LBB150_2245:
	v_and_b32_e32 v9, 0xffff, v10
	s_delay_alu instid0(VALU_DEP_1) | instskip(NEXT) | instid1(VALU_DEP_1)
	v_and_b32_e32 v13, 3, v9
	v_clz_i32_u32_e32 v18, v13
	s_delay_alu instid0(VALU_DEP_1) | instskip(NEXT) | instid1(VALU_DEP_1)
	v_min_u32_e32 v18, 32, v18
	v_subrev_nc_u32_e32 v19, 29, v18
	v_sub_nc_u32_e32 v18, 30, v18
	s_delay_alu instid0(VALU_DEP_2) | instskip(SKIP_1) | instid1(VALU_DEP_2)
	v_lshlrev_b32_e32 v19, v19, v9
	v_bfe_u32 v9, v9, 2, 5
	v_and_b32_e32 v19, 3, v19
	s_delay_alu instid0(VALU_DEP_2) | instskip(NEXT) | instid1(VALU_DEP_2)
	v_cmp_eq_u32_e32 vcc_lo, 0, v9
	v_dual_cndmask_b32 v13, v13, v19 :: v_dual_lshlrev_b32 v10, 24, v10
	v_cndmask_b32_e32 v9, v9, v18, vcc_lo
	s_delay_alu instid0(VALU_DEP_2) | instskip(NEXT) | instid1(VALU_DEP_3)
	v_and_b32_e32 v10, 0x80000000, v10
	v_lshlrev_b32_e32 v13, 21, v13
	s_delay_alu instid0(VALU_DEP_3) | instskip(NEXT) | instid1(VALU_DEP_1)
	v_lshl_add_u32 v9, v9, 23, 0x37800000
	v_or3_b32 v9, v10, v9, v13
	s_delay_alu instid0(VALU_DEP_1) | instskip(NEXT) | instid1(VALU_DEP_1)
	v_trunc_f32_e32 v9, v9
	v_mul_f32_e64 v10, 0x2f800000, |v9|
	s_delay_alu instid0(VALU_DEP_1) | instskip(NEXT) | instid1(VALU_DEP_1)
	v_floor_f32_e32 v10, v10
	v_fma_f32 v10, 0xcf800000, v10, |v9|
	v_ashrrev_i32_e32 v9, 31, v9
	s_delay_alu instid0(VALU_DEP_2) | instskip(NEXT) | instid1(VALU_DEP_1)
	v_cvt_u32_f32_e32 v10, v10
	v_xor_b32_e32 v10, v10, v9
	s_delay_alu instid0(VALU_DEP_1)
	v_sub_nc_u32_e32 v9, v10, v9
.LBB150_2246:
	s_or_b32 exec_lo, exec_lo, s1
	s_mov_b32 s1, 0
	s_branch .LBB150_2252
.LBB150_2247:
	s_mov_b32 s1, -1
                                        ; implicit-def: $vgpr9
	s_branch .LBB150_2258
.LBB150_2248:
	s_or_saveexec_b32 s11, s11
	v_mov_b32_e32 v9, s19
	s_xor_b32 exec_lo, exec_lo, s11
	s_cbranch_execz .LBB150_2233
.LBB150_2249:
	v_cmp_ne_u16_e32 vcc_lo, 0, v10
	v_mov_b32_e32 v9, 0
	s_and_not1_b32 s16, s16, exec_lo
	s_and_b32 s19, vcc_lo, exec_lo
	s_delay_alu instid0(SALU_CYCLE_1)
	s_or_b32 s16, s16, s19
	s_or_b32 exec_lo, exec_lo, s11
	s_and_saveexec_b32 s11, s16
	s_cbranch_execnz .LBB150_2234
	s_branch .LBB150_2235
.LBB150_2250:
	s_mov_b32 s1, -1
                                        ; implicit-def: $vgpr9
	s_branch .LBB150_2255
.LBB150_2251:
	s_mov_b32 s1, -1
                                        ; implicit-def: $vgpr9
.LBB150_2252:
	s_delay_alu instid0(SALU_CYCLE_1)
	s_and_b32 vcc_lo, exec_lo, s1
	s_cbranch_vccz .LBB150_2254
; %bb.2253:
	global_load_u8 v9, v[11:12], off
	s_waitcnt vmcnt(0)
	v_lshlrev_b32_e32 v9, 24, v9
	s_delay_alu instid0(VALU_DEP_1) | instskip(NEXT) | instid1(VALU_DEP_1)
	v_and_b32_e32 v10, 0x7f000000, v9
	v_clz_i32_u32_e32 v13, v10
	v_cmp_ne_u32_e32 vcc_lo, 0, v10
	v_add_nc_u32_e32 v19, 0x1000000, v10
	s_delay_alu instid0(VALU_DEP_3) | instskip(NEXT) | instid1(VALU_DEP_1)
	v_min_u32_e32 v13, 32, v13
	v_sub_nc_u32_e64 v13, v13, 4 clamp
	s_delay_alu instid0(VALU_DEP_1) | instskip(SKIP_1) | instid1(VALU_DEP_2)
	v_lshlrev_b32_e32 v18, v13, v10
	v_lshlrev_b32_e32 v13, 23, v13
	v_lshrrev_b32_e32 v18, 4, v18
	s_delay_alu instid0(VALU_DEP_1) | instskip(SKIP_1) | instid1(VALU_DEP_2)
	v_sub_nc_u32_e32 v13, v18, v13
	v_ashrrev_i32_e32 v18, 8, v19
	v_add_nc_u32_e32 v13, 0x3c000000, v13
	s_delay_alu instid0(VALU_DEP_1) | instskip(NEXT) | instid1(VALU_DEP_1)
	v_and_or_b32 v13, 0x7f800000, v18, v13
	v_cndmask_b32_e32 v10, 0, v13, vcc_lo
	s_delay_alu instid0(VALU_DEP_1) | instskip(NEXT) | instid1(VALU_DEP_1)
	v_and_or_b32 v9, 0x80000000, v9, v10
	v_trunc_f32_e32 v9, v9
	s_delay_alu instid0(VALU_DEP_1) | instskip(NEXT) | instid1(VALU_DEP_1)
	v_mul_f32_e64 v10, 0x2f800000, |v9|
	v_floor_f32_e32 v10, v10
	s_delay_alu instid0(VALU_DEP_1) | instskip(SKIP_1) | instid1(VALU_DEP_2)
	v_fma_f32 v10, 0xcf800000, v10, |v9|
	v_ashrrev_i32_e32 v9, 31, v9
	v_cvt_u32_f32_e32 v10, v10
	s_delay_alu instid0(VALU_DEP_1) | instskip(NEXT) | instid1(VALU_DEP_1)
	v_xor_b32_e32 v10, v10, v9
	v_sub_nc_u32_e32 v9, v10, v9
.LBB150_2254:
	s_mov_b32 s1, 0
.LBB150_2255:
	s_delay_alu instid0(SALU_CYCLE_1)
	s_and_not1_b32 vcc_lo, exec_lo, s1
	s_cbranch_vccnz .LBB150_2257
; %bb.2256:
	global_load_u8 v9, v[11:12], off
	s_waitcnt vmcnt(0)
	v_lshlrev_b32_e32 v10, 25, v9
	v_lshlrev_b16 v9, 8, v9
	s_delay_alu instid0(VALU_DEP_2) | instskip(NEXT) | instid1(VALU_DEP_2)
	v_lshrrev_b32_e32 v13, 4, v10
	v_and_or_b32 v18, 0x7f00, v9, 0.5
	v_cmp_gt_u32_e32 vcc_lo, 0x8000000, v10
	v_bfe_i32 v9, v9, 0, 16
	s_delay_alu instid0(VALU_DEP_4) | instskip(NEXT) | instid1(VALU_DEP_1)
	v_or_b32_e32 v13, 0x70000000, v13
	v_dual_add_f32 v18, -0.5, v18 :: v_dual_mul_f32 v13, 0x7800000, v13
	s_delay_alu instid0(VALU_DEP_1) | instskip(NEXT) | instid1(VALU_DEP_1)
	v_cndmask_b32_e32 v10, v13, v18, vcc_lo
	v_and_or_b32 v9, 0x80000000, v9, v10
	s_delay_alu instid0(VALU_DEP_1) | instskip(NEXT) | instid1(VALU_DEP_1)
	v_trunc_f32_e32 v9, v9
	v_mul_f32_e64 v10, 0x2f800000, |v9|
	s_delay_alu instid0(VALU_DEP_1) | instskip(NEXT) | instid1(VALU_DEP_1)
	v_floor_f32_e32 v10, v10
	v_fma_f32 v10, 0xcf800000, v10, |v9|
	v_ashrrev_i32_e32 v9, 31, v9
	s_delay_alu instid0(VALU_DEP_2) | instskip(NEXT) | instid1(VALU_DEP_1)
	v_cvt_u32_f32_e32 v10, v10
	v_xor_b32_e32 v10, v10, v9
	s_delay_alu instid0(VALU_DEP_1)
	v_sub_nc_u32_e32 v9, v10, v9
.LBB150_2257:
	s_mov_b32 s1, 0
	s_mov_b32 s11, -1
.LBB150_2258:
	s_and_not1_b32 vcc_lo, exec_lo, s1
	s_mov_b32 s1, 0
	s_cbranch_vccnz .LBB150_2269
; %bb.2259:
	v_cmp_lt_i16_e32 vcc_lo, 14, v17
	s_cbranch_vccz .LBB150_2262
; %bb.2260:
	v_cmp_eq_u16_e32 vcc_lo, 15, v17
	s_cbranch_vccz .LBB150_2265
; %bb.2261:
	global_load_u16 v9, v[11:12], off
	s_mov_b32 s0, 0
	s_mov_b32 s11, -1
	s_waitcnt vmcnt(0)
	v_lshlrev_b32_e32 v9, 16, v9
	s_delay_alu instid0(VALU_DEP_1) | instskip(NEXT) | instid1(VALU_DEP_1)
	v_trunc_f32_e32 v9, v9
	v_mul_f32_e64 v10, 0x2f800000, |v9|
	s_delay_alu instid0(VALU_DEP_1) | instskip(NEXT) | instid1(VALU_DEP_1)
	v_floor_f32_e32 v10, v10
	v_fma_f32 v10, 0xcf800000, v10, |v9|
	v_ashrrev_i32_e32 v9, 31, v9
	s_delay_alu instid0(VALU_DEP_2) | instskip(NEXT) | instid1(VALU_DEP_1)
	v_cvt_u32_f32_e32 v10, v10
	v_xor_b32_e32 v10, v10, v9
	s_delay_alu instid0(VALU_DEP_1)
	v_sub_nc_u32_e32 v9, v10, v9
	s_branch .LBB150_2267
.LBB150_2262:
	s_mov_b32 s1, -1
	s_branch .LBB150_2266
.LBB150_2263:
	s_or_saveexec_b32 s1, s1
	v_mov_b32_e32 v9, s16
	s_xor_b32 exec_lo, exec_lo, s1
	s_cbranch_execz .LBB150_2244
.LBB150_2264:
	v_cmp_ne_u16_e32 vcc_lo, 0, v10
	v_mov_b32_e32 v9, 0
	s_and_not1_b32 s11, s11, exec_lo
	s_and_b32 s16, vcc_lo, exec_lo
	s_delay_alu instid0(SALU_CYCLE_1)
	s_or_b32 s11, s11, s16
	s_or_b32 exec_lo, exec_lo, s1
	s_and_saveexec_b32 s1, s11
	s_cbranch_execnz .LBB150_2245
	s_branch .LBB150_2246
.LBB150_2265:
	s_mov_b32 s0, -1
.LBB150_2266:
                                        ; implicit-def: $vgpr9
.LBB150_2267:
	s_and_b32 vcc_lo, exec_lo, s1
	s_mov_b32 s1, 0
	s_cbranch_vccz .LBB150_2269
; %bb.2268:
	v_cmp_ne_u16_e64 s0, 11, v17
	s_mov_b32 s1, -1
                                        ; implicit-def: $vgpr9
.LBB150_2269:
	s_delay_alu instid0(VALU_DEP_1)
	s_and_b32 vcc_lo, exec_lo, s0
	s_cbranch_vccnz .LBB150_2334
; %bb.2270:
	s_and_not1_b32 vcc_lo, exec_lo, s1
	s_cbranch_vccnz .LBB150_2272
.LBB150_2271:
	global_load_u8 v9, v[11:12], off
	s_mov_b32 s11, -1
	s_waitcnt vmcnt(0)
	v_cmp_ne_u16_e32 vcc_lo, 0, v9
	v_cndmask_b32_e64 v9, 0, 1, vcc_lo
.LBB150_2272:
	s_mov_b32 s0, 0
.LBB150_2273:
	s_delay_alu instid0(SALU_CYCLE_1)
	s_and_b32 vcc_lo, exec_lo, s0
	s_cbranch_vccz .LBB150_2322
; %bb.2274:
	v_cmp_gt_i16_e32 vcc_lo, 5, v17
	s_cbranch_vccnz .LBB150_2279
; %bb.2275:
	v_cmp_gt_i16_e32 vcc_lo, 8, v17
	s_cbranch_vccnz .LBB150_2280
	;; [unrolled: 3-line block ×3, first 2 shown]
; %bb.2277:
	v_cmp_lt_i16_e32 vcc_lo, 9, v17
	s_cbranch_vccz .LBB150_2282
; %bb.2278:
	global_load_b64 v[9:10], v[11:12], off
	s_mov_b32 s0, 0
	s_waitcnt vmcnt(0)
	v_trunc_f64_e32 v[9:10], v[9:10]
	s_delay_alu instid0(VALU_DEP_1) | instskip(NEXT) | instid1(VALU_DEP_1)
	v_ldexp_f64 v[18:19], v[9:10], 0xffffffe0
	v_floor_f64_e32 v[18:19], v[18:19]
	s_delay_alu instid0(VALU_DEP_1) | instskip(NEXT) | instid1(VALU_DEP_1)
	v_fma_f64 v[9:10], 0xc1f00000, v[18:19], v[9:10]
	v_cvt_u32_f64_e32 v9, v[9:10]
	s_branch .LBB150_2283
.LBB150_2279:
	s_mov_b32 s0, -1
                                        ; implicit-def: $vgpr9
	s_branch .LBB150_2301
.LBB150_2280:
	s_mov_b32 s0, -1
                                        ; implicit-def: $vgpr9
	s_branch .LBB150_2289
.LBB150_2281:
	s_mov_b32 s0, -1
                                        ; implicit-def: $vgpr9
	s_branch .LBB150_2286
.LBB150_2282:
	s_mov_b32 s0, -1
                                        ; implicit-def: $vgpr9
.LBB150_2283:
	s_delay_alu instid0(SALU_CYCLE_1)
	s_and_not1_b32 vcc_lo, exec_lo, s0
	s_cbranch_vccnz .LBB150_2285
; %bb.2284:
	global_load_b32 v9, v[11:12], off
	s_waitcnt vmcnt(0)
	v_trunc_f32_e32 v9, v9
	s_delay_alu instid0(VALU_DEP_1) | instskip(NEXT) | instid1(VALU_DEP_1)
	v_mul_f32_e64 v10, 0x2f800000, |v9|
	v_floor_f32_e32 v10, v10
	s_delay_alu instid0(VALU_DEP_1) | instskip(SKIP_1) | instid1(VALU_DEP_2)
	v_fma_f32 v10, 0xcf800000, v10, |v9|
	v_ashrrev_i32_e32 v9, 31, v9
	v_cvt_u32_f32_e32 v10, v10
	s_delay_alu instid0(VALU_DEP_1) | instskip(NEXT) | instid1(VALU_DEP_1)
	v_xor_b32_e32 v10, v10, v9
	v_sub_nc_u32_e32 v9, v10, v9
.LBB150_2285:
	s_mov_b32 s0, 0
.LBB150_2286:
	s_delay_alu instid0(SALU_CYCLE_1)
	s_and_not1_b32 vcc_lo, exec_lo, s0
	s_cbranch_vccnz .LBB150_2288
; %bb.2287:
	global_load_b32 v9, v[11:12], off
	s_waitcnt vmcnt(0)
	v_cvt_f32_f16_e32 v9, v9
	s_delay_alu instid0(VALU_DEP_1)
	v_cvt_i32_f32_e32 v9, v9
.LBB150_2288:
	s_mov_b32 s0, 0
.LBB150_2289:
	s_delay_alu instid0(SALU_CYCLE_1)
	s_and_not1_b32 vcc_lo, exec_lo, s0
	s_cbranch_vccnz .LBB150_2300
; %bb.2290:
	v_cmp_gt_i16_e32 vcc_lo, 6, v17
	s_cbranch_vccnz .LBB150_2293
; %bb.2291:
	v_cmp_lt_i16_e32 vcc_lo, 6, v17
	s_cbranch_vccz .LBB150_2294
; %bb.2292:
	global_load_b64 v[9:10], v[11:12], off
	s_mov_b32 s0, 0
	s_waitcnt vmcnt(0)
	v_trunc_f64_e32 v[9:10], v[9:10]
	s_delay_alu instid0(VALU_DEP_1) | instskip(NEXT) | instid1(VALU_DEP_1)
	v_ldexp_f64 v[18:19], v[9:10], 0xffffffe0
	v_floor_f64_e32 v[18:19], v[18:19]
	s_delay_alu instid0(VALU_DEP_1) | instskip(NEXT) | instid1(VALU_DEP_1)
	v_fma_f64 v[9:10], 0xc1f00000, v[18:19], v[9:10]
	v_cvt_u32_f64_e32 v9, v[9:10]
	s_branch .LBB150_2295
.LBB150_2293:
	s_mov_b32 s0, -1
                                        ; implicit-def: $vgpr9
	s_branch .LBB150_2298
.LBB150_2294:
	s_mov_b32 s0, -1
                                        ; implicit-def: $vgpr9
.LBB150_2295:
	s_delay_alu instid0(SALU_CYCLE_1)
	s_and_not1_b32 vcc_lo, exec_lo, s0
	s_cbranch_vccnz .LBB150_2297
; %bb.2296:
	global_load_b32 v9, v[11:12], off
	s_waitcnt vmcnt(0)
	v_trunc_f32_e32 v9, v9
	s_delay_alu instid0(VALU_DEP_1) | instskip(NEXT) | instid1(VALU_DEP_1)
	v_mul_f32_e64 v10, 0x2f800000, |v9|
	v_floor_f32_e32 v10, v10
	s_delay_alu instid0(VALU_DEP_1) | instskip(SKIP_1) | instid1(VALU_DEP_2)
	v_fma_f32 v10, 0xcf800000, v10, |v9|
	v_ashrrev_i32_e32 v9, 31, v9
	v_cvt_u32_f32_e32 v10, v10
	s_delay_alu instid0(VALU_DEP_1) | instskip(NEXT) | instid1(VALU_DEP_1)
	v_xor_b32_e32 v10, v10, v9
	v_sub_nc_u32_e32 v9, v10, v9
.LBB150_2297:
	s_mov_b32 s0, 0
.LBB150_2298:
	s_delay_alu instid0(SALU_CYCLE_1)
	s_and_not1_b32 vcc_lo, exec_lo, s0
	s_cbranch_vccnz .LBB150_2300
; %bb.2299:
	global_load_u16 v9, v[11:12], off
	s_waitcnt vmcnt(0)
	v_cvt_f32_f16_e32 v9, v9
	s_delay_alu instid0(VALU_DEP_1)
	v_cvt_i32_f32_e32 v9, v9
.LBB150_2300:
	s_mov_b32 s0, 0
.LBB150_2301:
	s_delay_alu instid0(SALU_CYCLE_1)
	s_and_not1_b32 vcc_lo, exec_lo, s0
	s_cbranch_vccnz .LBB150_2321
; %bb.2302:
	v_cmp_gt_i16_e32 vcc_lo, 2, v17
	s_cbranch_vccnz .LBB150_2306
; %bb.2303:
	v_cmp_gt_i16_e32 vcc_lo, 3, v17
	s_cbranch_vccnz .LBB150_2307
; %bb.2304:
	v_cmp_lt_i16_e32 vcc_lo, 3, v17
	s_cbranch_vccz .LBB150_2308
; %bb.2305:
	global_load_b64 v[9:10], v[11:12], off
	s_mov_b32 s0, 0
	s_branch .LBB150_2309
.LBB150_2306:
	s_mov_b32 s0, -1
                                        ; implicit-def: $vgpr9
	s_branch .LBB150_2315
.LBB150_2307:
	s_mov_b32 s0, -1
                                        ; implicit-def: $vgpr9
	s_branch .LBB150_2312
.LBB150_2308:
	s_mov_b32 s0, -1
                                        ; implicit-def: $vgpr9
.LBB150_2309:
	s_delay_alu instid0(SALU_CYCLE_1)
	s_and_not1_b32 vcc_lo, exec_lo, s0
	s_cbranch_vccnz .LBB150_2311
; %bb.2310:
	global_load_b32 v9, v[11:12], off
.LBB150_2311:
	s_mov_b32 s0, 0
.LBB150_2312:
	s_delay_alu instid0(SALU_CYCLE_1)
	s_and_not1_b32 vcc_lo, exec_lo, s0
	s_cbranch_vccnz .LBB150_2314
; %bb.2313:
	global_load_u16 v9, v[11:12], off
.LBB150_2314:
	s_mov_b32 s0, 0
.LBB150_2315:
	s_delay_alu instid0(SALU_CYCLE_1)
	s_and_not1_b32 vcc_lo, exec_lo, s0
	s_cbranch_vccnz .LBB150_2321
; %bb.2316:
	v_cmp_lt_i16_e32 vcc_lo, 0, v17
	s_mov_b32 s0, 0
	s_cbranch_vccz .LBB150_2318
; %bb.2317:
	global_load_u8 v9, v[11:12], off
	s_branch .LBB150_2319
.LBB150_2318:
	s_mov_b32 s0, -1
                                        ; implicit-def: $vgpr9
.LBB150_2319:
	s_delay_alu instid0(SALU_CYCLE_1)
	s_and_not1_b32 vcc_lo, exec_lo, s0
	s_cbranch_vccnz .LBB150_2321
; %bb.2320:
	global_load_u8 v9, v[11:12], off
.LBB150_2321:
	s_mov_b32 s11, -1
.LBB150_2322:
	s_delay_alu instid0(SALU_CYCLE_1)
	s_and_not1_b32 vcc_lo, exec_lo, s11
	s_cbranch_vccnz .LBB150_3020
; %bb.2323:
	v_add_nc_u32_e32 v3, s9, v3
	v_cmp_gt_i16_e32 vcc_lo, 11, v14
	s_waitcnt vmcnt(0)
	s_delay_alu instid0(VALU_DEP_2) | instskip(SKIP_1) | instid1(VALU_DEP_1)
	v_ashrrev_i32_e32 v10, 31, v3
	v_add_co_u32 v12, s0, s6, v3
	v_add_co_ci_u32_e64 v13, s0, s7, v10, s0
	s_cbranch_vccnz .LBB150_2330
; %bb.2324:
	v_cmp_lt_i16_e32 vcc_lo, 25, v14
	s_mov_b32 s7, 0
	s_cbranch_vccz .LBB150_2331
; %bb.2325:
	v_cmp_lt_i16_e32 vcc_lo, 28, v14
	s_cbranch_vccz .LBB150_2332
; %bb.2326:
	v_cmp_lt_i16_e32 vcc_lo, 43, v14
	s_cbranch_vccz .LBB150_2333
; %bb.2327:
	v_cmp_lt_i16_e32 vcc_lo, 45, v14
	s_cbranch_vccz .LBB150_2336
; %bb.2328:
	v_cmp_eq_u16_e32 vcc_lo, 46, v14
	s_mov_b32 s1, 0
	s_cbranch_vccz .LBB150_2339
; %bb.2329:
	global_load_b32 v3, v[12:13], off
	s_mov_b32 s6, 0
	s_mov_b32 s0, -1
	s_waitcnt vmcnt(0)
	v_lshlrev_b32_e32 v3, 16, v3
	s_delay_alu instid0(VALU_DEP_1)
	v_cvt_f64_f32_e32 v[10:11], v3
	s_branch .LBB150_2341
.LBB150_2330:
	s_mov_b32 s1, -1
	s_mov_b32 s0, 0
                                        ; implicit-def: $vgpr10_vgpr11
	s_branch .LBB150_2407
.LBB150_2331:
	s_mov_b32 s1, -1
	s_mov_b32 s0, 0
	s_mov_b32 s6, 0
                                        ; implicit-def: $vgpr10_vgpr11
	s_branch .LBB150_2372
.LBB150_2332:
	s_mov_b32 s1, -1
	s_mov_b32 s0, 0
	s_mov_b32 s6, 0
                                        ; implicit-def: $vgpr10_vgpr11
	s_branch .LBB150_2351
.LBB150_2333:
	s_mov_b32 s1, -1
	s_mov_b32 s0, 0
	s_mov_b32 s6, 0
                                        ; implicit-def: $vgpr10_vgpr11
	s_branch .LBB150_2346
.LBB150_2334:
	s_cbranch_execnz .LBB150_2337
; %bb.2335:
	s_or_b32 s15, s15, exec_lo
                                        ; implicit-def: $vgpr9
	s_cbranch_execz .LBB150_2271
	s_branch .LBB150_2272
.LBB150_2336:
	s_mov_b32 s1, -1
	s_mov_b32 s0, 0
	s_mov_b32 s6, 0
	s_branch .LBB150_2340
.LBB150_2337:
	s_trap 2
	s_sendmsg_rtn_b32 s0, sendmsg(MSG_RTN_GET_DOORBELL)
	s_mov_b32 ttmp2, m0
	s_waitcnt lgkmcnt(0)
	s_and_b32 s0, s0, 0x3ff
	s_delay_alu instid0(SALU_CYCLE_1) | instskip(NEXT) | instid1(SALU_CYCLE_1)
	s_bitset1_b32 s0, 10
	s_mov_b32 m0, s0
	s_sendmsg sendmsg(MSG_INTERRUPT)
	s_mov_b32 m0, ttmp2
.LBB150_2338:                           ; =>This Inner Loop Header: Depth=1
	s_sethalt 5
	s_branch .LBB150_2338
.LBB150_2339:
	s_mov_b32 s6, -1
	s_mov_b32 s0, 0
.LBB150_2340:
                                        ; implicit-def: $vgpr10_vgpr11
.LBB150_2341:
	s_and_b32 vcc_lo, exec_lo, s1
	s_cbranch_vccz .LBB150_2345
; %bb.2342:
	v_cmp_eq_u16_e32 vcc_lo, 44, v14
	s_cbranch_vccz .LBB150_2344
; %bb.2343:
	global_load_u8 v3, v[12:13], off
	s_mov_b32 s6, 0
	s_mov_b32 s0, -1
	s_waitcnt vmcnt(0)
	v_lshlrev_b32_e32 v10, 23, v3
	v_cmp_ne_u32_e32 vcc_lo, 0xff, v3
	s_delay_alu instid0(VALU_DEP_2) | instskip(NEXT) | instid1(VALU_DEP_1)
	v_cvt_f64_f32_e32 v[10:11], v10
	v_cndmask_b32_e32 v10, 0x20000000, v10, vcc_lo
	s_delay_alu instid0(VALU_DEP_2) | instskip(SKIP_1) | instid1(VALU_DEP_2)
	v_cndmask_b32_e32 v11, 0x7ff80000, v11, vcc_lo
	v_cmp_ne_u32_e32 vcc_lo, 0, v3
	v_cndmask_b32_e32 v11, 0x38000000, v11, vcc_lo
	s_delay_alu instid0(VALU_DEP_4)
	v_cndmask_b32_e32 v10, 0, v10, vcc_lo
	s_branch .LBB150_2345
.LBB150_2344:
	s_mov_b32 s6, -1
                                        ; implicit-def: $vgpr10_vgpr11
.LBB150_2345:
	s_mov_b32 s1, 0
.LBB150_2346:
	s_delay_alu instid0(SALU_CYCLE_1)
	s_and_b32 vcc_lo, exec_lo, s1
	s_cbranch_vccz .LBB150_2350
; %bb.2347:
	v_cmp_eq_u16_e32 vcc_lo, 29, v14
	s_cbranch_vccz .LBB150_2349
; %bb.2348:
	global_load_b64 v[10:11], v[12:13], off
	s_mov_b32 s6, 0
	s_mov_b32 s0, -1
	s_mov_b32 s1, 0
	s_waitcnt vmcnt(0)
	v_cvt_f64_u32_e32 v[18:19], v11
	v_cvt_f64_u32_e32 v[10:11], v10
	s_delay_alu instid0(VALU_DEP_2) | instskip(NEXT) | instid1(VALU_DEP_1)
	v_ldexp_f64 v[18:19], v[18:19], 32
	v_add_f64 v[10:11], v[18:19], v[10:11]
	s_branch .LBB150_2351
.LBB150_2349:
	s_mov_b32 s6, -1
                                        ; implicit-def: $vgpr10_vgpr11
.LBB150_2350:
	s_mov_b32 s1, 0
.LBB150_2351:
	s_delay_alu instid0(SALU_CYCLE_1)
	s_and_b32 vcc_lo, exec_lo, s1
	s_cbranch_vccz .LBB150_2371
; %bb.2352:
	v_cmp_gt_i16_e32 vcc_lo, 27, v14
	s_cbranch_vccnz .LBB150_2355
; %bb.2353:
	v_cmp_lt_i16_e32 vcc_lo, 27, v14
	s_cbranch_vccz .LBB150_2356
; %bb.2354:
	global_load_b32 v3, v[12:13], off
	s_mov_b32 s0, 0
	s_waitcnt vmcnt(0)
	v_cvt_f64_u32_e32 v[10:11], v3
	s_branch .LBB150_2357
.LBB150_2355:
	s_mov_b32 s0, -1
                                        ; implicit-def: $vgpr10_vgpr11
	s_branch .LBB150_2360
.LBB150_2356:
	s_mov_b32 s0, -1
                                        ; implicit-def: $vgpr10_vgpr11
.LBB150_2357:
	s_delay_alu instid0(SALU_CYCLE_1)
	s_and_not1_b32 vcc_lo, exec_lo, s0
	s_cbranch_vccnz .LBB150_2359
; %bb.2358:
	global_load_u16 v3, v[12:13], off
	s_waitcnt vmcnt(0)
	v_cvt_f64_u32_e32 v[10:11], v3
.LBB150_2359:
	s_mov_b32 s0, 0
.LBB150_2360:
	s_delay_alu instid0(SALU_CYCLE_1)
	s_and_not1_b32 vcc_lo, exec_lo, s0
	s_cbranch_vccnz .LBB150_2370
; %bb.2361:
	global_load_u8 v3, v[12:13], off
	s_mov_b32 s9, 0
	s_mov_b32 s11, exec_lo
                                        ; implicit-def: $sgpr0_sgpr1
	s_waitcnt vmcnt(0)
	v_cmpx_lt_i16_e32 0x7f, v3
	s_xor_b32 s11, exec_lo, s11
	s_cbranch_execz .LBB150_2365
; %bb.2362:
	s_mov_b32 s16, -1
	s_mov_b32 s9, exec_lo
                                        ; implicit-def: $sgpr0_sgpr1
	v_cmpx_eq_u16_e32 0x80, v3
; %bb.2363:
	s_mov_b32 s1, 0x7ff80000
	s_brev_b32 s0, 4
	s_xor_b32 s16, exec_lo, -1
; %bb.2364:
	s_or_b32 exec_lo, exec_lo, s9
	s_delay_alu instid0(SALU_CYCLE_1)
	s_and_b32 s9, s16, exec_lo
.LBB150_2365:
	s_or_saveexec_b32 s11, s11
	v_dual_mov_b32 v11, s1 :: v_dual_mov_b32 v10, s0
	s_xor_b32 exec_lo, exec_lo, s11
; %bb.2366:
	v_cmp_ne_u16_e32 vcc_lo, 0, v3
	v_mov_b32_e32 v10, 0
	v_mov_b32_e32 v11, 0
	s_and_not1_b32 s0, s9, exec_lo
	s_and_b32 s1, vcc_lo, exec_lo
	s_delay_alu instid0(SALU_CYCLE_1)
	s_or_b32 s9, s0, s1
; %bb.2367:
	s_or_b32 exec_lo, exec_lo, s11
	s_and_saveexec_b32 s0, s9
	s_cbranch_execz .LBB150_2369
; %bb.2368:
	v_and_b32_e32 v10, 0xffff, v3
	v_lshlrev_b32_e32 v3, 24, v3
	s_delay_alu instid0(VALU_DEP_2) | instskip(NEXT) | instid1(VALU_DEP_2)
	v_and_b32_e32 v11, 7, v10
	v_and_b32_e32 v3, 0x80000000, v3
	s_delay_alu instid0(VALU_DEP_2) | instskip(NEXT) | instid1(VALU_DEP_1)
	v_clz_i32_u32_e32 v18, v11
	v_min_u32_e32 v18, 32, v18
	s_delay_alu instid0(VALU_DEP_1) | instskip(SKIP_1) | instid1(VALU_DEP_2)
	v_subrev_nc_u32_e32 v19, 28, v18
	v_sub_nc_u32_e32 v18, 29, v18
	v_lshlrev_b32_e32 v19, v19, v10
	v_bfe_u32 v10, v10, 3, 4
	s_delay_alu instid0(VALU_DEP_1) | instskip(NEXT) | instid1(VALU_DEP_3)
	v_cmp_eq_u32_e32 vcc_lo, 0, v10
	v_dual_cndmask_b32 v10, v10, v18 :: v_dual_and_b32 v19, 7, v19
	s_delay_alu instid0(VALU_DEP_1) | instskip(NEXT) | instid1(VALU_DEP_2)
	v_cndmask_b32_e32 v11, v11, v19, vcc_lo
	v_lshl_add_u32 v10, v10, 23, 0x3b800000
	s_delay_alu instid0(VALU_DEP_2) | instskip(NEXT) | instid1(VALU_DEP_1)
	v_lshlrev_b32_e32 v11, 20, v11
	v_or3_b32 v3, v3, v10, v11
	s_delay_alu instid0(VALU_DEP_1)
	v_cvt_f64_f32_e32 v[10:11], v3
.LBB150_2369:
	s_or_b32 exec_lo, exec_lo, s0
.LBB150_2370:
	s_mov_b32 s0, -1
.LBB150_2371:
	s_mov_b32 s1, 0
.LBB150_2372:
	s_delay_alu instid0(SALU_CYCLE_1)
	s_and_b32 vcc_lo, exec_lo, s1
	s_cbranch_vccz .LBB150_2403
; %bb.2373:
	v_cmp_lt_i16_e32 vcc_lo, 22, v14
	s_cbranch_vccz .LBB150_2385
; %bb.2374:
	v_cmp_gt_i16_e32 vcc_lo, 24, v14
	s_cbranch_vccnz .LBB150_2386
; %bb.2375:
	v_cmp_lt_i16_e32 vcc_lo, 24, v14
	s_cbranch_vccz .LBB150_2387
; %bb.2376:
	global_load_u8 v3, v[12:13], off
	s_mov_b32 s9, exec_lo
                                        ; implicit-def: $sgpr0_sgpr1
	s_waitcnt vmcnt(0)
	v_cmpx_lt_i16_e32 0x7f, v3
	s_xor_b32 s9, exec_lo, s9
	s_cbranch_execz .LBB150_2380
; %bb.2377:
	s_mov_b32 s11, -1
	s_mov_b32 s7, exec_lo
                                        ; implicit-def: $sgpr0_sgpr1
	v_cmpx_eq_u16_e32 0x80, v3
; %bb.2378:
	s_mov_b32 s1, 0x7ff80000
	s_brev_b32 s0, 4
	s_xor_b32 s11, exec_lo, -1
; %bb.2379:
	s_or_b32 exec_lo, exec_lo, s7
	s_delay_alu instid0(SALU_CYCLE_1)
	s_and_b32 s7, s11, exec_lo
.LBB150_2380:
	s_or_saveexec_b32 s9, s9
	v_dual_mov_b32 v11, s1 :: v_dual_mov_b32 v10, s0
	s_xor_b32 exec_lo, exec_lo, s9
; %bb.2381:
	v_cmp_ne_u16_e32 vcc_lo, 0, v3
	v_mov_b32_e32 v10, 0
	v_mov_b32_e32 v11, 0
	s_and_not1_b32 s0, s7, exec_lo
	s_and_b32 s1, vcc_lo, exec_lo
	s_delay_alu instid0(SALU_CYCLE_1)
	s_or_b32 s7, s0, s1
; %bb.2382:
	s_or_b32 exec_lo, exec_lo, s9
	s_and_saveexec_b32 s0, s7
	s_cbranch_execz .LBB150_2384
; %bb.2383:
	v_and_b32_e32 v10, 0xffff, v3
	v_lshlrev_b32_e32 v3, 24, v3
	s_delay_alu instid0(VALU_DEP_2) | instskip(NEXT) | instid1(VALU_DEP_2)
	v_and_b32_e32 v11, 3, v10
	v_and_b32_e32 v3, 0x80000000, v3
	s_delay_alu instid0(VALU_DEP_2) | instskip(NEXT) | instid1(VALU_DEP_1)
	v_clz_i32_u32_e32 v18, v11
	v_min_u32_e32 v18, 32, v18
	s_delay_alu instid0(VALU_DEP_1) | instskip(SKIP_1) | instid1(VALU_DEP_2)
	v_subrev_nc_u32_e32 v19, 29, v18
	v_sub_nc_u32_e32 v18, 30, v18
	v_lshlrev_b32_e32 v19, v19, v10
	v_bfe_u32 v10, v10, 2, 5
	s_delay_alu instid0(VALU_DEP_1) | instskip(NEXT) | instid1(VALU_DEP_3)
	v_cmp_eq_u32_e32 vcc_lo, 0, v10
	v_dual_cndmask_b32 v10, v10, v18 :: v_dual_and_b32 v19, 3, v19
	s_delay_alu instid0(VALU_DEP_1) | instskip(NEXT) | instid1(VALU_DEP_2)
	v_cndmask_b32_e32 v11, v11, v19, vcc_lo
	v_lshl_add_u32 v10, v10, 23, 0x37800000
	s_delay_alu instid0(VALU_DEP_2) | instskip(NEXT) | instid1(VALU_DEP_1)
	v_lshlrev_b32_e32 v11, 21, v11
	v_or3_b32 v3, v3, v10, v11
	s_delay_alu instid0(VALU_DEP_1)
	v_cvt_f64_f32_e32 v[10:11], v3
.LBB150_2384:
	s_or_b32 exec_lo, exec_lo, s0
	s_mov_b32 s0, 0
	s_branch .LBB150_2388
.LBB150_2385:
	s_mov_b32 s1, -1
                                        ; implicit-def: $vgpr10_vgpr11
	s_branch .LBB150_2394
.LBB150_2386:
	s_mov_b32 s0, -1
                                        ; implicit-def: $vgpr10_vgpr11
	s_branch .LBB150_2391
.LBB150_2387:
	s_mov_b32 s0, -1
                                        ; implicit-def: $vgpr10_vgpr11
.LBB150_2388:
	s_delay_alu instid0(SALU_CYCLE_1)
	s_and_b32 vcc_lo, exec_lo, s0
	s_cbranch_vccz .LBB150_2390
; %bb.2389:
	global_load_u8 v3, v[12:13], off
	s_waitcnt vmcnt(0)
	v_lshlrev_b32_e32 v3, 24, v3
	s_delay_alu instid0(VALU_DEP_1) | instskip(NEXT) | instid1(VALU_DEP_1)
	v_and_b32_e32 v10, 0x7f000000, v3
	v_clz_i32_u32_e32 v11, v10
	v_cmp_ne_u32_e32 vcc_lo, 0, v10
	v_add_nc_u32_e32 v19, 0x1000000, v10
	s_delay_alu instid0(VALU_DEP_3) | instskip(NEXT) | instid1(VALU_DEP_1)
	v_min_u32_e32 v11, 32, v11
	v_sub_nc_u32_e64 v11, v11, 4 clamp
	s_delay_alu instid0(VALU_DEP_1) | instskip(SKIP_1) | instid1(VALU_DEP_2)
	v_lshlrev_b32_e32 v18, v11, v10
	v_lshlrev_b32_e32 v11, 23, v11
	v_lshrrev_b32_e32 v18, 4, v18
	s_delay_alu instid0(VALU_DEP_1) | instskip(SKIP_1) | instid1(VALU_DEP_2)
	v_sub_nc_u32_e32 v11, v18, v11
	v_ashrrev_i32_e32 v18, 8, v19
	v_add_nc_u32_e32 v11, 0x3c000000, v11
	s_delay_alu instid0(VALU_DEP_1) | instskip(NEXT) | instid1(VALU_DEP_1)
	v_and_or_b32 v11, 0x7f800000, v18, v11
	v_cndmask_b32_e32 v10, 0, v11, vcc_lo
	s_delay_alu instid0(VALU_DEP_1) | instskip(NEXT) | instid1(VALU_DEP_1)
	v_and_or_b32 v3, 0x80000000, v3, v10
	v_cvt_f64_f32_e32 v[10:11], v3
.LBB150_2390:
	s_mov_b32 s0, 0
.LBB150_2391:
	s_delay_alu instid0(SALU_CYCLE_1)
	s_and_not1_b32 vcc_lo, exec_lo, s0
	s_cbranch_vccnz .LBB150_2393
; %bb.2392:
	global_load_u8 v3, v[12:13], off
	s_waitcnt vmcnt(0)
	v_lshlrev_b32_e32 v10, 25, v3
	v_lshlrev_b16 v3, 8, v3
	s_delay_alu instid0(VALU_DEP_2) | instskip(NEXT) | instid1(VALU_DEP_2)
	v_lshrrev_b32_e32 v11, 4, v10
	v_and_or_b32 v18, 0x7f00, v3, 0.5
	v_cmp_gt_u32_e32 vcc_lo, 0x8000000, v10
	v_bfe_i32 v3, v3, 0, 16
	s_delay_alu instid0(VALU_DEP_4) | instskip(NEXT) | instid1(VALU_DEP_1)
	v_or_b32_e32 v11, 0x70000000, v11
	v_dual_add_f32 v18, -0.5, v18 :: v_dual_mul_f32 v11, 0x7800000, v11
	s_delay_alu instid0(VALU_DEP_1) | instskip(NEXT) | instid1(VALU_DEP_1)
	v_cndmask_b32_e32 v10, v11, v18, vcc_lo
	v_and_or_b32 v3, 0x80000000, v3, v10
	s_delay_alu instid0(VALU_DEP_1)
	v_cvt_f64_f32_e32 v[10:11], v3
.LBB150_2393:
	s_mov_b32 s1, 0
	s_mov_b32 s0, -1
.LBB150_2394:
	s_and_not1_b32 vcc_lo, exec_lo, s1
	s_mov_b32 s7, 0
	s_cbranch_vccnz .LBB150_2403
; %bb.2395:
	v_cmp_lt_i16_e32 vcc_lo, 14, v14
	s_cbranch_vccz .LBB150_2398
; %bb.2396:
	v_cmp_eq_u16_e32 vcc_lo, 15, v14
	s_cbranch_vccz .LBB150_2399
; %bb.2397:
	global_load_u16 v3, v[12:13], off
	s_mov_b32 s6, 0
	s_mov_b32 s0, -1
	s_waitcnt vmcnt(0)
	v_lshlrev_b32_e32 v3, 16, v3
	s_delay_alu instid0(VALU_DEP_1)
	v_cvt_f64_f32_e32 v[10:11], v3
	s_branch .LBB150_2400
.LBB150_2398:
	s_mov_b32 s1, -1
                                        ; implicit-def: $vgpr10_vgpr11
	s_branch .LBB150_2401
.LBB150_2399:
	s_mov_b32 s6, -1
                                        ; implicit-def: $vgpr10_vgpr11
.LBB150_2400:
	s_mov_b32 s1, 0
.LBB150_2401:
	s_delay_alu instid0(SALU_CYCLE_1)
	s_and_b32 vcc_lo, exec_lo, s1
	s_cbranch_vccz .LBB150_2403
; %bb.2402:
	v_cmp_ne_u16_e64 s6, 11, v14
	s_mov_b32 s7, -1
                                        ; implicit-def: $vgpr10_vgpr11
.LBB150_2403:
	s_delay_alu instid0(VALU_DEP_1)
	s_and_b32 vcc_lo, exec_lo, s6
	s_cbranch_vccnz .LBB150_2468
; %bb.2404:
	s_and_not1_b32 vcc_lo, exec_lo, s7
	s_cbranch_vccnz .LBB150_2406
.LBB150_2405:
	global_load_u8 v3, v[12:13], off
	v_mov_b32_e32 v10, 0
	s_mov_b32 s0, -1
	s_waitcnt vmcnt(0)
	v_cmp_ne_u16_e32 vcc_lo, 0, v3
	v_cndmask_b32_e64 v11, 0, 0x3ff00000, vcc_lo
.LBB150_2406:
	s_mov_b32 s1, 0
.LBB150_2407:
	s_delay_alu instid0(SALU_CYCLE_1)
	s_and_b32 vcc_lo, exec_lo, s1
	s_cbranch_vccz .LBB150_2456
; %bb.2408:
	v_cmp_gt_i16_e32 vcc_lo, 5, v14
	s_cbranch_vccnz .LBB150_2413
; %bb.2409:
	v_cmp_gt_i16_e32 vcc_lo, 8, v14
	s_cbranch_vccnz .LBB150_2414
	;; [unrolled: 3-line block ×3, first 2 shown]
; %bb.2411:
	v_cmp_lt_i16_e32 vcc_lo, 9, v14
	s_cbranch_vccz .LBB150_2416
; %bb.2412:
	global_load_b64 v[10:11], v[12:13], off
	s_mov_b32 s0, 0
	s_branch .LBB150_2417
.LBB150_2413:
	s_mov_b32 s0, -1
                                        ; implicit-def: $vgpr10_vgpr11
	s_branch .LBB150_2435
.LBB150_2414:
	s_mov_b32 s0, -1
                                        ; implicit-def: $vgpr10_vgpr11
	s_branch .LBB150_2423
.LBB150_2415:
	s_mov_b32 s0, -1
                                        ; implicit-def: $vgpr10_vgpr11
	s_branch .LBB150_2420
.LBB150_2416:
	s_mov_b32 s0, -1
                                        ; implicit-def: $vgpr10_vgpr11
.LBB150_2417:
	s_delay_alu instid0(SALU_CYCLE_1)
	s_and_not1_b32 vcc_lo, exec_lo, s0
	s_cbranch_vccnz .LBB150_2419
; %bb.2418:
	global_load_b32 v3, v[12:13], off
	s_waitcnt vmcnt(0)
	v_cvt_f64_f32_e32 v[10:11], v3
.LBB150_2419:
	s_mov_b32 s0, 0
.LBB150_2420:
	s_delay_alu instid0(SALU_CYCLE_1)
	s_and_not1_b32 vcc_lo, exec_lo, s0
	s_cbranch_vccnz .LBB150_2422
; %bb.2421:
	global_load_b32 v3, v[12:13], off
	s_waitcnt vmcnt(0)
	v_cvt_f32_f16_e32 v3, v3
	s_delay_alu instid0(VALU_DEP_1)
	v_cvt_f64_f32_e32 v[10:11], v3
.LBB150_2422:
	s_mov_b32 s0, 0
.LBB150_2423:
	s_delay_alu instid0(SALU_CYCLE_1)
	s_and_not1_b32 vcc_lo, exec_lo, s0
	s_cbranch_vccnz .LBB150_2434
; %bb.2424:
	v_cmp_gt_i16_e32 vcc_lo, 6, v14
	s_cbranch_vccnz .LBB150_2427
; %bb.2425:
	v_cmp_lt_i16_e32 vcc_lo, 6, v14
	s_cbranch_vccz .LBB150_2428
; %bb.2426:
	global_load_b64 v[10:11], v[12:13], off
	s_mov_b32 s0, 0
	s_branch .LBB150_2429
.LBB150_2427:
	s_mov_b32 s0, -1
                                        ; implicit-def: $vgpr10_vgpr11
	s_branch .LBB150_2432
.LBB150_2428:
	s_mov_b32 s0, -1
                                        ; implicit-def: $vgpr10_vgpr11
.LBB150_2429:
	s_delay_alu instid0(SALU_CYCLE_1)
	s_and_not1_b32 vcc_lo, exec_lo, s0
	s_cbranch_vccnz .LBB150_2431
; %bb.2430:
	global_load_b32 v3, v[12:13], off
	s_waitcnt vmcnt(0)
	v_cvt_f64_f32_e32 v[10:11], v3
.LBB150_2431:
	s_mov_b32 s0, 0
.LBB150_2432:
	s_delay_alu instid0(SALU_CYCLE_1)
	s_and_not1_b32 vcc_lo, exec_lo, s0
	s_cbranch_vccnz .LBB150_2434
; %bb.2433:
	global_load_u16 v3, v[12:13], off
	s_waitcnt vmcnt(0)
	v_cvt_f32_f16_e32 v3, v3
	s_delay_alu instid0(VALU_DEP_1)
	v_cvt_f64_f32_e32 v[10:11], v3
.LBB150_2434:
	s_mov_b32 s0, 0
.LBB150_2435:
	s_delay_alu instid0(SALU_CYCLE_1)
	s_and_not1_b32 vcc_lo, exec_lo, s0
	s_cbranch_vccnz .LBB150_2455
; %bb.2436:
	v_cmp_gt_i16_e32 vcc_lo, 2, v14
	s_cbranch_vccnz .LBB150_2440
; %bb.2437:
	v_cmp_gt_i16_e32 vcc_lo, 3, v14
	s_cbranch_vccnz .LBB150_2441
; %bb.2438:
	v_cmp_lt_i16_e32 vcc_lo, 3, v14
	s_cbranch_vccz .LBB150_2442
; %bb.2439:
	global_load_b64 v[10:11], v[12:13], off
	s_mov_b32 s0, 0
	s_waitcnt vmcnt(0)
	v_cvt_f64_i32_e32 v[18:19], v11
	v_cvt_f64_u32_e32 v[10:11], v10
	s_delay_alu instid0(VALU_DEP_2) | instskip(NEXT) | instid1(VALU_DEP_1)
	v_ldexp_f64 v[18:19], v[18:19], 32
	v_add_f64 v[10:11], v[18:19], v[10:11]
	s_branch .LBB150_2443
.LBB150_2440:
	s_mov_b32 s0, -1
                                        ; implicit-def: $vgpr10_vgpr11
	s_branch .LBB150_2449
.LBB150_2441:
	s_mov_b32 s0, -1
                                        ; implicit-def: $vgpr10_vgpr11
	s_branch .LBB150_2446
.LBB150_2442:
	s_mov_b32 s0, -1
                                        ; implicit-def: $vgpr10_vgpr11
.LBB150_2443:
	s_delay_alu instid0(SALU_CYCLE_1)
	s_and_not1_b32 vcc_lo, exec_lo, s0
	s_cbranch_vccnz .LBB150_2445
; %bb.2444:
	global_load_b32 v3, v[12:13], off
	s_waitcnt vmcnt(0)
	v_cvt_f64_i32_e32 v[10:11], v3
.LBB150_2445:
	s_mov_b32 s0, 0
.LBB150_2446:
	s_delay_alu instid0(SALU_CYCLE_1)
	s_and_not1_b32 vcc_lo, exec_lo, s0
	s_cbranch_vccnz .LBB150_2448
; %bb.2447:
	global_load_i16 v3, v[12:13], off
	s_waitcnt vmcnt(0)
	v_cvt_f64_i32_e32 v[10:11], v3
.LBB150_2448:
	s_mov_b32 s0, 0
.LBB150_2449:
	s_delay_alu instid0(SALU_CYCLE_1)
	s_and_not1_b32 vcc_lo, exec_lo, s0
	s_cbranch_vccnz .LBB150_2455
; %bb.2450:
	v_cmp_lt_i16_e32 vcc_lo, 0, v14
	s_mov_b32 s0, 0
	s_cbranch_vccz .LBB150_2452
; %bb.2451:
	global_load_i8 v3, v[12:13], off
	s_waitcnt vmcnt(0)
	v_cvt_f64_i32_e32 v[10:11], v3
	s_branch .LBB150_2453
.LBB150_2452:
	s_mov_b32 s0, -1
                                        ; implicit-def: $vgpr10_vgpr11
.LBB150_2453:
	s_delay_alu instid0(SALU_CYCLE_1)
	s_and_not1_b32 vcc_lo, exec_lo, s0
	s_cbranch_vccnz .LBB150_2455
; %bb.2454:
	global_load_u8 v3, v[12:13], off
	s_waitcnt vmcnt(0)
	v_cvt_f64_u32_e32 v[10:11], v3
.LBB150_2455:
	s_mov_b32 s0, -1
.LBB150_2456:
	s_delay_alu instid0(SALU_CYCLE_1)
	s_and_not1_b32 vcc_lo, exec_lo, s0
	s_cbranch_vccnz .LBB150_3020
; %bb.2457:
	v_add_nc_u32_e32 v3, s10, v15
	v_cmp_gt_i16_e32 vcc_lo, 11, v17
	s_delay_alu instid0(VALU_DEP_2) | instskip(SKIP_1) | instid1(VALU_DEP_1)
	v_ashrrev_i32_e32 v12, 31, v3
	v_add_co_u32 v14, s0, s12, v3
	v_add_co_ci_u32_e64 v15, s0, s13, v12, s0
	s_cbranch_vccnz .LBB150_2464
; %bb.2458:
	v_cmp_lt_i16_e32 vcc_lo, 25, v17
	s_mov_b32 s1, 0
	s_cbranch_vccz .LBB150_2465
; %bb.2459:
	v_cmp_lt_i16_e32 vcc_lo, 28, v17
	s_cbranch_vccz .LBB150_2466
; %bb.2460:
	v_cmp_lt_i16_e32 vcc_lo, 43, v17
	;; [unrolled: 3-line block ×3, first 2 shown]
	s_cbranch_vccz .LBB150_2470
; %bb.2462:
	v_cmp_eq_u16_e32 vcc_lo, 46, v17
	s_mov_b32 s7, 0
	s_cbranch_vccz .LBB150_2473
; %bb.2463:
	global_load_b32 v3, v[14:15], off
	s_mov_b32 s0, 0
	s_mov_b32 s6, -1
	s_waitcnt vmcnt(0)
	v_lshlrev_b32_e32 v3, 16, v3
	s_delay_alu instid0(VALU_DEP_1) | instskip(NEXT) | instid1(VALU_DEP_1)
	v_trunc_f32_e32 v3, v3
	v_mul_f32_e64 v12, 0x2f800000, |v3|
	s_delay_alu instid0(VALU_DEP_1) | instskip(NEXT) | instid1(VALU_DEP_1)
	v_floor_f32_e32 v12, v12
	v_fma_f32 v12, 0xcf800000, v12, |v3|
	v_ashrrev_i32_e32 v3, 31, v3
	s_delay_alu instid0(VALU_DEP_2) | instskip(NEXT) | instid1(VALU_DEP_1)
	v_cvt_u32_f32_e32 v12, v12
	v_xor_b32_e32 v12, v12, v3
	s_delay_alu instid0(VALU_DEP_1)
	v_sub_nc_u32_e32 v12, v12, v3
	s_branch .LBB150_2475
.LBB150_2464:
	s_mov_b32 s0, -1
	s_mov_b32 s6, 0
                                        ; implicit-def: $vgpr12
	s_branch .LBB150_2537
.LBB150_2465:
	s_mov_b32 s7, -1
	s_mov_b32 s6, 0
	s_mov_b32 s0, 0
                                        ; implicit-def: $vgpr12
	s_branch .LBB150_2502
.LBB150_2466:
	s_mov_b32 s7, -1
	s_mov_b32 s6, 0
	s_mov_b32 s0, 0
                                        ; implicit-def: $vgpr12
	s_branch .LBB150_2485
.LBB150_2467:
	s_mov_b32 s7, -1
	s_mov_b32 s6, 0
	s_mov_b32 s0, 0
                                        ; implicit-def: $vgpr12
	s_branch .LBB150_2480
.LBB150_2468:
	s_cbranch_execnz .LBB150_2471
; %bb.2469:
	s_or_b32 s15, s15, exec_lo
                                        ; implicit-def: $vgpr10_vgpr11
	s_cbranch_execz .LBB150_2405
	s_branch .LBB150_2406
.LBB150_2470:
	s_mov_b32 s7, -1
	s_mov_b32 s6, 0
	s_mov_b32 s0, 0
	s_branch .LBB150_2474
.LBB150_2471:
	s_trap 2
	s_sendmsg_rtn_b32 s0, sendmsg(MSG_RTN_GET_DOORBELL)
	s_mov_b32 ttmp2, m0
	s_waitcnt lgkmcnt(0)
	s_and_b32 s0, s0, 0x3ff
	s_delay_alu instid0(SALU_CYCLE_1) | instskip(NEXT) | instid1(SALU_CYCLE_1)
	s_bitset1_b32 s0, 10
	s_mov_b32 m0, s0
	s_sendmsg sendmsg(MSG_INTERRUPT)
	s_mov_b32 m0, ttmp2
.LBB150_2472:                           ; =>This Inner Loop Header: Depth=1
	s_sethalt 5
	s_branch .LBB150_2472
.LBB150_2473:
	s_mov_b32 s0, -1
	s_mov_b32 s6, 0
.LBB150_2474:
                                        ; implicit-def: $vgpr12
.LBB150_2475:
	s_and_b32 vcc_lo, exec_lo, s7
	s_cbranch_vccz .LBB150_2479
; %bb.2476:
	v_cmp_eq_u16_e32 vcc_lo, 44, v17
	s_cbranch_vccz .LBB150_2478
; %bb.2477:
	global_load_u8 v3, v[14:15], off
	s_mov_b32 s0, 0
	s_mov_b32 s6, -1
	s_waitcnt vmcnt(0)
	v_lshlrev_b32_e32 v12, 23, v3
	v_cmp_ne_u32_e32 vcc_lo, 0, v3
	s_delay_alu instid0(VALU_DEP_2) | instskip(NEXT) | instid1(VALU_DEP_1)
	v_trunc_f32_e32 v12, v12
	v_mul_f32_e64 v13, 0x2f800000, |v12|
	s_delay_alu instid0(VALU_DEP_1) | instskip(NEXT) | instid1(VALU_DEP_1)
	v_floor_f32_e32 v13, v13
	v_fma_f32 v13, 0xcf800000, v13, |v12|
	v_ashrrev_i32_e32 v12, 31, v12
	s_delay_alu instid0(VALU_DEP_2) | instskip(NEXT) | instid1(VALU_DEP_1)
	v_cvt_u32_f32_e32 v13, v13
	v_xor_b32_e32 v13, v13, v12
	s_delay_alu instid0(VALU_DEP_1) | instskip(NEXT) | instid1(VALU_DEP_1)
	v_sub_nc_u32_e32 v12, v13, v12
	v_cndmask_b32_e32 v12, 0, v12, vcc_lo
	s_branch .LBB150_2479
.LBB150_2478:
	s_mov_b32 s0, -1
                                        ; implicit-def: $vgpr12
.LBB150_2479:
	s_mov_b32 s7, 0
.LBB150_2480:
	s_delay_alu instid0(SALU_CYCLE_1)
	s_and_b32 vcc_lo, exec_lo, s7
	s_cbranch_vccz .LBB150_2484
; %bb.2481:
	v_cmp_eq_u16_e32 vcc_lo, 29, v17
	s_cbranch_vccz .LBB150_2483
; %bb.2482:
	global_load_b64 v[12:13], v[14:15], off
	s_mov_b32 s0, 0
	s_mov_b32 s6, -1
	s_branch .LBB150_2484
.LBB150_2483:
	s_mov_b32 s0, -1
                                        ; implicit-def: $vgpr12
.LBB150_2484:
	s_mov_b32 s7, 0
.LBB150_2485:
	s_delay_alu instid0(SALU_CYCLE_1)
	s_and_b32 vcc_lo, exec_lo, s7
	s_cbranch_vccz .LBB150_2501
; %bb.2486:
	v_cmp_gt_i16_e32 vcc_lo, 27, v17
	s_cbranch_vccnz .LBB150_2489
; %bb.2487:
	v_cmp_lt_i16_e32 vcc_lo, 27, v17
	s_cbranch_vccz .LBB150_2490
; %bb.2488:
	global_load_b32 v12, v[14:15], off
	s_mov_b32 s6, 0
	s_branch .LBB150_2491
.LBB150_2489:
	s_mov_b32 s6, -1
                                        ; implicit-def: $vgpr12
	s_branch .LBB150_2494
.LBB150_2490:
	s_mov_b32 s6, -1
                                        ; implicit-def: $vgpr12
.LBB150_2491:
	s_delay_alu instid0(SALU_CYCLE_1)
	s_and_not1_b32 vcc_lo, exec_lo, s6
	s_cbranch_vccnz .LBB150_2493
; %bb.2492:
	global_load_u16 v12, v[14:15], off
.LBB150_2493:
	s_mov_b32 s6, 0
.LBB150_2494:
	s_delay_alu instid0(SALU_CYCLE_1)
	s_and_not1_b32 vcc_lo, exec_lo, s6
	s_cbranch_vccnz .LBB150_2500
; %bb.2495:
	global_load_u8 v3, v[14:15], off
	s_mov_b32 s7, 0
	s_mov_b32 s6, exec_lo
                                        ; implicit-def: $sgpr9
	s_waitcnt vmcnt(0)
	v_cmpx_lt_i16_e32 0x7f, v3
	s_xor_b32 s6, exec_lo, s6
	s_cbranch_execz .LBB150_2512
; %bb.2496:
	v_cmp_ne_u16_e32 vcc_lo, 0x80, v3
	s_mov_b32 s9, 0
	s_and_b32 s7, vcc_lo, exec_lo
	s_or_saveexec_b32 s6, s6
	v_mov_b32_e32 v12, s9
	s_xor_b32 exec_lo, exec_lo, s6
	s_cbranch_execnz .LBB150_2513
.LBB150_2497:
	s_or_b32 exec_lo, exec_lo, s6
	s_and_saveexec_b32 s6, s7
	s_cbranch_execz .LBB150_2499
.LBB150_2498:
	v_and_b32_e32 v12, 0xffff, v3
	v_lshlrev_b32_e32 v3, 24, v3
	s_delay_alu instid0(VALU_DEP_2) | instskip(NEXT) | instid1(VALU_DEP_2)
	v_and_b32_e32 v13, 7, v12
	v_and_b32_e32 v3, 0x80000000, v3
	s_delay_alu instid0(VALU_DEP_2) | instskip(NEXT) | instid1(VALU_DEP_1)
	v_clz_i32_u32_e32 v18, v13
	v_min_u32_e32 v18, 32, v18
	s_delay_alu instid0(VALU_DEP_1) | instskip(SKIP_1) | instid1(VALU_DEP_2)
	v_subrev_nc_u32_e32 v19, 28, v18
	v_sub_nc_u32_e32 v18, 29, v18
	v_lshlrev_b32_e32 v19, v19, v12
	v_bfe_u32 v12, v12, 3, 4
	s_delay_alu instid0(VALU_DEP_2) | instskip(NEXT) | instid1(VALU_DEP_2)
	v_and_b32_e32 v19, 7, v19
	v_cmp_eq_u32_e32 vcc_lo, 0, v12
	s_delay_alu instid0(VALU_DEP_2) | instskip(NEXT) | instid1(VALU_DEP_1)
	v_dual_cndmask_b32 v12, v12, v18 :: v_dual_cndmask_b32 v13, v13, v19
	v_lshl_add_u32 v12, v12, 23, 0x3b800000
	s_delay_alu instid0(VALU_DEP_2) | instskip(NEXT) | instid1(VALU_DEP_1)
	v_lshlrev_b32_e32 v13, 20, v13
	v_or3_b32 v3, v3, v12, v13
	s_delay_alu instid0(VALU_DEP_1) | instskip(NEXT) | instid1(VALU_DEP_1)
	v_trunc_f32_e32 v3, v3
	v_mul_f32_e64 v12, 0x2f800000, |v3|
	s_delay_alu instid0(VALU_DEP_1) | instskip(NEXT) | instid1(VALU_DEP_1)
	v_floor_f32_e32 v12, v12
	v_fma_f32 v12, 0xcf800000, v12, |v3|
	v_ashrrev_i32_e32 v3, 31, v3
	s_delay_alu instid0(VALU_DEP_2) | instskip(NEXT) | instid1(VALU_DEP_1)
	v_cvt_u32_f32_e32 v12, v12
	v_xor_b32_e32 v12, v12, v3
	s_delay_alu instid0(VALU_DEP_1)
	v_sub_nc_u32_e32 v12, v12, v3
.LBB150_2499:
	s_or_b32 exec_lo, exec_lo, s6
.LBB150_2500:
	s_mov_b32 s6, -1
.LBB150_2501:
	s_mov_b32 s7, 0
.LBB150_2502:
	s_delay_alu instid0(SALU_CYCLE_1)
	s_and_b32 vcc_lo, exec_lo, s7
	s_cbranch_vccz .LBB150_2533
; %bb.2503:
	v_cmp_lt_i16_e32 vcc_lo, 22, v17
	s_cbranch_vccz .LBB150_2511
; %bb.2504:
	v_cmp_gt_i16_e32 vcc_lo, 24, v17
	s_cbranch_vccnz .LBB150_2514
; %bb.2505:
	v_cmp_lt_i16_e32 vcc_lo, 24, v17
	s_cbranch_vccz .LBB150_2515
; %bb.2506:
	global_load_u8 v3, v[14:15], off
	s_mov_b32 s6, 0
	s_mov_b32 s1, exec_lo
                                        ; implicit-def: $sgpr7
	s_waitcnt vmcnt(0)
	v_cmpx_lt_i16_e32 0x7f, v3
	s_xor_b32 s1, exec_lo, s1
	s_cbranch_execz .LBB150_2527
; %bb.2507:
	v_cmp_ne_u16_e32 vcc_lo, 0x80, v3
	s_mov_b32 s7, 0
	s_and_b32 s6, vcc_lo, exec_lo
	s_or_saveexec_b32 s1, s1
	v_mov_b32_e32 v12, s7
	s_xor_b32 exec_lo, exec_lo, s1
	s_cbranch_execnz .LBB150_2528
.LBB150_2508:
	s_or_b32 exec_lo, exec_lo, s1
	s_and_saveexec_b32 s1, s6
	s_cbranch_execz .LBB150_2510
.LBB150_2509:
	v_and_b32_e32 v12, 0xffff, v3
	v_lshlrev_b32_e32 v3, 24, v3
	s_delay_alu instid0(VALU_DEP_2) | instskip(NEXT) | instid1(VALU_DEP_2)
	v_and_b32_e32 v13, 3, v12
	v_and_b32_e32 v3, 0x80000000, v3
	s_delay_alu instid0(VALU_DEP_2) | instskip(NEXT) | instid1(VALU_DEP_1)
	v_clz_i32_u32_e32 v18, v13
	v_min_u32_e32 v18, 32, v18
	s_delay_alu instid0(VALU_DEP_1) | instskip(SKIP_1) | instid1(VALU_DEP_2)
	v_subrev_nc_u32_e32 v19, 29, v18
	v_sub_nc_u32_e32 v18, 30, v18
	v_lshlrev_b32_e32 v19, v19, v12
	v_bfe_u32 v12, v12, 2, 5
	s_delay_alu instid0(VALU_DEP_2) | instskip(NEXT) | instid1(VALU_DEP_2)
	v_and_b32_e32 v19, 3, v19
	v_cmp_eq_u32_e32 vcc_lo, 0, v12
	s_delay_alu instid0(VALU_DEP_2) | instskip(NEXT) | instid1(VALU_DEP_1)
	v_dual_cndmask_b32 v12, v12, v18 :: v_dual_cndmask_b32 v13, v13, v19
	v_lshl_add_u32 v12, v12, 23, 0x37800000
	s_delay_alu instid0(VALU_DEP_2) | instskip(NEXT) | instid1(VALU_DEP_1)
	v_lshlrev_b32_e32 v13, 21, v13
	v_or3_b32 v3, v3, v12, v13
	s_delay_alu instid0(VALU_DEP_1) | instskip(NEXT) | instid1(VALU_DEP_1)
	v_trunc_f32_e32 v3, v3
	v_mul_f32_e64 v12, 0x2f800000, |v3|
	s_delay_alu instid0(VALU_DEP_1) | instskip(NEXT) | instid1(VALU_DEP_1)
	v_floor_f32_e32 v12, v12
	v_fma_f32 v12, 0xcf800000, v12, |v3|
	v_ashrrev_i32_e32 v3, 31, v3
	s_delay_alu instid0(VALU_DEP_2) | instskip(NEXT) | instid1(VALU_DEP_1)
	v_cvt_u32_f32_e32 v12, v12
	v_xor_b32_e32 v12, v12, v3
	s_delay_alu instid0(VALU_DEP_1)
	v_sub_nc_u32_e32 v12, v12, v3
.LBB150_2510:
	s_or_b32 exec_lo, exec_lo, s1
	s_mov_b32 s1, 0
	s_branch .LBB150_2516
.LBB150_2511:
	s_mov_b32 s1, -1
                                        ; implicit-def: $vgpr12
	s_branch .LBB150_2522
.LBB150_2512:
	s_or_saveexec_b32 s6, s6
	v_mov_b32_e32 v12, s9
	s_xor_b32 exec_lo, exec_lo, s6
	s_cbranch_execz .LBB150_2497
.LBB150_2513:
	v_cmp_ne_u16_e32 vcc_lo, 0, v3
	v_mov_b32_e32 v12, 0
	s_and_not1_b32 s7, s7, exec_lo
	s_and_b32 s9, vcc_lo, exec_lo
	s_delay_alu instid0(SALU_CYCLE_1)
	s_or_b32 s7, s7, s9
	s_or_b32 exec_lo, exec_lo, s6
	s_and_saveexec_b32 s6, s7
	s_cbranch_execnz .LBB150_2498
	s_branch .LBB150_2499
.LBB150_2514:
	s_mov_b32 s1, -1
                                        ; implicit-def: $vgpr12
	s_branch .LBB150_2519
.LBB150_2515:
	s_mov_b32 s1, -1
                                        ; implicit-def: $vgpr12
.LBB150_2516:
	s_delay_alu instid0(SALU_CYCLE_1)
	s_and_b32 vcc_lo, exec_lo, s1
	s_cbranch_vccz .LBB150_2518
; %bb.2517:
	global_load_u8 v3, v[14:15], off
	s_waitcnt vmcnt(0)
	v_lshlrev_b32_e32 v3, 24, v3
	s_delay_alu instid0(VALU_DEP_1) | instskip(NEXT) | instid1(VALU_DEP_1)
	v_and_b32_e32 v12, 0x7f000000, v3
	v_clz_i32_u32_e32 v13, v12
	v_add_nc_u32_e32 v19, 0x1000000, v12
	v_cmp_ne_u32_e32 vcc_lo, 0, v12
	s_delay_alu instid0(VALU_DEP_3) | instskip(NEXT) | instid1(VALU_DEP_1)
	v_min_u32_e32 v13, 32, v13
	v_sub_nc_u32_e64 v13, v13, 4 clamp
	s_delay_alu instid0(VALU_DEP_1) | instskip(SKIP_1) | instid1(VALU_DEP_2)
	v_lshlrev_b32_e32 v18, v13, v12
	v_lshlrev_b32_e32 v13, 23, v13
	v_lshrrev_b32_e32 v18, 4, v18
	s_delay_alu instid0(VALU_DEP_1) | instskip(SKIP_1) | instid1(VALU_DEP_2)
	v_sub_nc_u32_e32 v13, v18, v13
	v_ashrrev_i32_e32 v18, 8, v19
	v_add_nc_u32_e32 v13, 0x3c000000, v13
	s_delay_alu instid0(VALU_DEP_1) | instskip(NEXT) | instid1(VALU_DEP_1)
	v_and_or_b32 v13, 0x7f800000, v18, v13
	v_cndmask_b32_e32 v12, 0, v13, vcc_lo
	s_delay_alu instid0(VALU_DEP_1) | instskip(NEXT) | instid1(VALU_DEP_1)
	v_and_or_b32 v3, 0x80000000, v3, v12
	v_trunc_f32_e32 v3, v3
	s_delay_alu instid0(VALU_DEP_1) | instskip(NEXT) | instid1(VALU_DEP_1)
	v_mul_f32_e64 v12, 0x2f800000, |v3|
	v_floor_f32_e32 v12, v12
	s_delay_alu instid0(VALU_DEP_1) | instskip(SKIP_1) | instid1(VALU_DEP_2)
	v_fma_f32 v12, 0xcf800000, v12, |v3|
	v_ashrrev_i32_e32 v3, 31, v3
	v_cvt_u32_f32_e32 v12, v12
	s_delay_alu instid0(VALU_DEP_1) | instskip(NEXT) | instid1(VALU_DEP_1)
	v_xor_b32_e32 v12, v12, v3
	v_sub_nc_u32_e32 v12, v12, v3
.LBB150_2518:
	s_mov_b32 s1, 0
.LBB150_2519:
	s_delay_alu instid0(SALU_CYCLE_1)
	s_and_not1_b32 vcc_lo, exec_lo, s1
	s_cbranch_vccnz .LBB150_2521
; %bb.2520:
	global_load_u8 v3, v[14:15], off
	s_waitcnt vmcnt(0)
	v_lshlrev_b32_e32 v12, 25, v3
	v_lshlrev_b16 v3, 8, v3
	s_delay_alu instid0(VALU_DEP_2) | instskip(NEXT) | instid1(VALU_DEP_2)
	v_lshrrev_b32_e32 v13, 4, v12
	v_and_or_b32 v18, 0x7f00, v3, 0.5
	v_bfe_i32 v3, v3, 0, 16
	s_delay_alu instid0(VALU_DEP_3) | instskip(NEXT) | instid1(VALU_DEP_1)
	v_or_b32_e32 v13, 0x70000000, v13
	v_dual_add_f32 v18, -0.5, v18 :: v_dual_mul_f32 v13, 0x7800000, v13
	v_cmp_gt_u32_e32 vcc_lo, 0x8000000, v12
	s_delay_alu instid0(VALU_DEP_2) | instskip(NEXT) | instid1(VALU_DEP_1)
	v_cndmask_b32_e32 v12, v13, v18, vcc_lo
	v_and_or_b32 v3, 0x80000000, v3, v12
	s_delay_alu instid0(VALU_DEP_1) | instskip(NEXT) | instid1(VALU_DEP_1)
	v_trunc_f32_e32 v3, v3
	v_mul_f32_e64 v12, 0x2f800000, |v3|
	s_delay_alu instid0(VALU_DEP_1) | instskip(NEXT) | instid1(VALU_DEP_1)
	v_floor_f32_e32 v12, v12
	v_fma_f32 v12, 0xcf800000, v12, |v3|
	v_ashrrev_i32_e32 v3, 31, v3
	s_delay_alu instid0(VALU_DEP_2) | instskip(NEXT) | instid1(VALU_DEP_1)
	v_cvt_u32_f32_e32 v12, v12
	v_xor_b32_e32 v12, v12, v3
	s_delay_alu instid0(VALU_DEP_1)
	v_sub_nc_u32_e32 v12, v12, v3
.LBB150_2521:
	s_mov_b32 s1, 0
	s_mov_b32 s6, -1
.LBB150_2522:
	s_and_not1_b32 vcc_lo, exec_lo, s1
	s_mov_b32 s1, 0
	s_cbranch_vccnz .LBB150_2533
; %bb.2523:
	v_cmp_lt_i16_e32 vcc_lo, 14, v17
	s_cbranch_vccz .LBB150_2526
; %bb.2524:
	v_cmp_eq_u16_e32 vcc_lo, 15, v17
	s_cbranch_vccz .LBB150_2529
; %bb.2525:
	global_load_u16 v3, v[14:15], off
	s_mov_b32 s0, 0
	s_mov_b32 s6, -1
	s_waitcnt vmcnt(0)
	v_lshlrev_b32_e32 v3, 16, v3
	s_delay_alu instid0(VALU_DEP_1) | instskip(NEXT) | instid1(VALU_DEP_1)
	v_trunc_f32_e32 v3, v3
	v_mul_f32_e64 v12, 0x2f800000, |v3|
	s_delay_alu instid0(VALU_DEP_1) | instskip(NEXT) | instid1(VALU_DEP_1)
	v_floor_f32_e32 v12, v12
	v_fma_f32 v12, 0xcf800000, v12, |v3|
	v_ashrrev_i32_e32 v3, 31, v3
	s_delay_alu instid0(VALU_DEP_2) | instskip(NEXT) | instid1(VALU_DEP_1)
	v_cvt_u32_f32_e32 v12, v12
	v_xor_b32_e32 v12, v12, v3
	s_delay_alu instid0(VALU_DEP_1)
	v_sub_nc_u32_e32 v12, v12, v3
	s_branch .LBB150_2531
.LBB150_2526:
	s_mov_b32 s1, -1
	s_branch .LBB150_2530
.LBB150_2527:
	s_or_saveexec_b32 s1, s1
	v_mov_b32_e32 v12, s7
	s_xor_b32 exec_lo, exec_lo, s1
	s_cbranch_execz .LBB150_2508
.LBB150_2528:
	v_cmp_ne_u16_e32 vcc_lo, 0, v3
	v_mov_b32_e32 v12, 0
	s_and_not1_b32 s6, s6, exec_lo
	s_and_b32 s7, vcc_lo, exec_lo
	s_delay_alu instid0(SALU_CYCLE_1)
	s_or_b32 s6, s6, s7
	s_or_b32 exec_lo, exec_lo, s1
	s_and_saveexec_b32 s1, s6
	s_cbranch_execnz .LBB150_2509
	s_branch .LBB150_2510
.LBB150_2529:
	s_mov_b32 s0, -1
.LBB150_2530:
                                        ; implicit-def: $vgpr12
.LBB150_2531:
	s_and_b32 vcc_lo, exec_lo, s1
	s_mov_b32 s1, 0
	s_cbranch_vccz .LBB150_2533
; %bb.2532:
	v_cmp_ne_u16_e64 s0, 11, v17
	s_mov_b32 s1, -1
                                        ; implicit-def: $vgpr12
.LBB150_2533:
	s_delay_alu instid0(VALU_DEP_1)
	s_and_b32 vcc_lo, exec_lo, s0
	s_cbranch_vccnz .LBB150_3066
; %bb.2534:
	s_and_not1_b32 vcc_lo, exec_lo, s1
	s_cbranch_vccnz .LBB150_2536
.LBB150_2535:
	global_load_u8 v3, v[14:15], off
	s_mov_b32 s6, -1
	s_waitcnt vmcnt(0)
	v_cmp_ne_u16_e32 vcc_lo, 0, v3
	v_cndmask_b32_e64 v12, 0, 1, vcc_lo
.LBB150_2536:
	s_mov_b32 s0, 0
.LBB150_2537:
	s_delay_alu instid0(SALU_CYCLE_1)
	s_and_b32 vcc_lo, exec_lo, s0
	s_cbranch_vccz .LBB150_2586
; %bb.2538:
	v_cmp_gt_i16_e32 vcc_lo, 5, v17
	s_cbranch_vccnz .LBB150_2543
; %bb.2539:
	v_cmp_gt_i16_e32 vcc_lo, 8, v17
	s_cbranch_vccnz .LBB150_2544
	;; [unrolled: 3-line block ×3, first 2 shown]
; %bb.2541:
	v_cmp_lt_i16_e32 vcc_lo, 9, v17
	s_cbranch_vccz .LBB150_2546
; %bb.2542:
	global_load_b64 v[12:13], v[14:15], off
	s_mov_b32 s0, 0
	s_waitcnt vmcnt(0)
	v_trunc_f64_e32 v[12:13], v[12:13]
	s_delay_alu instid0(VALU_DEP_1) | instskip(NEXT) | instid1(VALU_DEP_1)
	v_ldexp_f64 v[18:19], v[12:13], 0xffffffe0
	v_floor_f64_e32 v[18:19], v[18:19]
	s_delay_alu instid0(VALU_DEP_1) | instskip(NEXT) | instid1(VALU_DEP_1)
	v_fma_f64 v[12:13], 0xc1f00000, v[18:19], v[12:13]
	v_cvt_u32_f64_e32 v12, v[12:13]
	s_branch .LBB150_2547
.LBB150_2543:
	s_mov_b32 s0, -1
                                        ; implicit-def: $vgpr12
	s_branch .LBB150_2565
.LBB150_2544:
	s_mov_b32 s0, -1
                                        ; implicit-def: $vgpr12
	s_branch .LBB150_2553
.LBB150_2545:
	s_mov_b32 s0, -1
                                        ; implicit-def: $vgpr12
	s_branch .LBB150_2550
.LBB150_2546:
	s_mov_b32 s0, -1
                                        ; implicit-def: $vgpr12
.LBB150_2547:
	s_delay_alu instid0(SALU_CYCLE_1)
	s_and_not1_b32 vcc_lo, exec_lo, s0
	s_cbranch_vccnz .LBB150_2549
; %bb.2548:
	global_load_b32 v3, v[14:15], off
	s_waitcnt vmcnt(0)
	v_trunc_f32_e32 v3, v3
	s_delay_alu instid0(VALU_DEP_1) | instskip(NEXT) | instid1(VALU_DEP_1)
	v_mul_f32_e64 v12, 0x2f800000, |v3|
	v_floor_f32_e32 v12, v12
	s_delay_alu instid0(VALU_DEP_1) | instskip(SKIP_1) | instid1(VALU_DEP_2)
	v_fma_f32 v12, 0xcf800000, v12, |v3|
	v_ashrrev_i32_e32 v3, 31, v3
	v_cvt_u32_f32_e32 v12, v12
	s_delay_alu instid0(VALU_DEP_1) | instskip(NEXT) | instid1(VALU_DEP_1)
	v_xor_b32_e32 v12, v12, v3
	v_sub_nc_u32_e32 v12, v12, v3
.LBB150_2549:
	s_mov_b32 s0, 0
.LBB150_2550:
	s_delay_alu instid0(SALU_CYCLE_1)
	s_and_not1_b32 vcc_lo, exec_lo, s0
	s_cbranch_vccnz .LBB150_2552
; %bb.2551:
	global_load_b32 v3, v[14:15], off
	s_waitcnt vmcnt(0)
	v_cvt_f32_f16_e32 v3, v3
	s_delay_alu instid0(VALU_DEP_1)
	v_cvt_i32_f32_e32 v12, v3
.LBB150_2552:
	s_mov_b32 s0, 0
.LBB150_2553:
	s_delay_alu instid0(SALU_CYCLE_1)
	s_and_not1_b32 vcc_lo, exec_lo, s0
	s_cbranch_vccnz .LBB150_2564
; %bb.2554:
	v_cmp_gt_i16_e32 vcc_lo, 6, v17
	s_cbranch_vccnz .LBB150_2557
; %bb.2555:
	v_cmp_lt_i16_e32 vcc_lo, 6, v17
	s_cbranch_vccz .LBB150_2558
; %bb.2556:
	global_load_b64 v[12:13], v[14:15], off
	s_mov_b32 s0, 0
	s_waitcnt vmcnt(0)
	v_trunc_f64_e32 v[12:13], v[12:13]
	s_delay_alu instid0(VALU_DEP_1) | instskip(NEXT) | instid1(VALU_DEP_1)
	v_ldexp_f64 v[18:19], v[12:13], 0xffffffe0
	v_floor_f64_e32 v[18:19], v[18:19]
	s_delay_alu instid0(VALU_DEP_1) | instskip(NEXT) | instid1(VALU_DEP_1)
	v_fma_f64 v[12:13], 0xc1f00000, v[18:19], v[12:13]
	v_cvt_u32_f64_e32 v12, v[12:13]
	s_branch .LBB150_2559
.LBB150_2557:
	s_mov_b32 s0, -1
                                        ; implicit-def: $vgpr12
	s_branch .LBB150_2562
.LBB150_2558:
	s_mov_b32 s0, -1
                                        ; implicit-def: $vgpr12
.LBB150_2559:
	s_delay_alu instid0(SALU_CYCLE_1)
	s_and_not1_b32 vcc_lo, exec_lo, s0
	s_cbranch_vccnz .LBB150_2561
; %bb.2560:
	global_load_b32 v3, v[14:15], off
	s_waitcnt vmcnt(0)
	v_trunc_f32_e32 v3, v3
	s_delay_alu instid0(VALU_DEP_1) | instskip(NEXT) | instid1(VALU_DEP_1)
	v_mul_f32_e64 v12, 0x2f800000, |v3|
	v_floor_f32_e32 v12, v12
	s_delay_alu instid0(VALU_DEP_1) | instskip(SKIP_1) | instid1(VALU_DEP_2)
	v_fma_f32 v12, 0xcf800000, v12, |v3|
	v_ashrrev_i32_e32 v3, 31, v3
	v_cvt_u32_f32_e32 v12, v12
	s_delay_alu instid0(VALU_DEP_1) | instskip(NEXT) | instid1(VALU_DEP_1)
	v_xor_b32_e32 v12, v12, v3
	v_sub_nc_u32_e32 v12, v12, v3
.LBB150_2561:
	s_mov_b32 s0, 0
.LBB150_2562:
	s_delay_alu instid0(SALU_CYCLE_1)
	s_and_not1_b32 vcc_lo, exec_lo, s0
	s_cbranch_vccnz .LBB150_2564
; %bb.2563:
	global_load_u16 v3, v[14:15], off
	s_waitcnt vmcnt(0)
	v_cvt_f32_f16_e32 v3, v3
	s_delay_alu instid0(VALU_DEP_1)
	v_cvt_i32_f32_e32 v12, v3
.LBB150_2564:
	s_mov_b32 s0, 0
.LBB150_2565:
	s_delay_alu instid0(SALU_CYCLE_1)
	s_and_not1_b32 vcc_lo, exec_lo, s0
	s_cbranch_vccnz .LBB150_2585
; %bb.2566:
	v_cmp_gt_i16_e32 vcc_lo, 2, v17
	s_cbranch_vccnz .LBB150_2570
; %bb.2567:
	v_cmp_gt_i16_e32 vcc_lo, 3, v17
	s_cbranch_vccnz .LBB150_2571
; %bb.2568:
	v_cmp_lt_i16_e32 vcc_lo, 3, v17
	s_cbranch_vccz .LBB150_2572
; %bb.2569:
	global_load_b64 v[12:13], v[14:15], off
	s_mov_b32 s0, 0
	s_branch .LBB150_2573
.LBB150_2570:
	s_mov_b32 s0, -1
                                        ; implicit-def: $vgpr12
	s_branch .LBB150_2579
.LBB150_2571:
	s_mov_b32 s0, -1
                                        ; implicit-def: $vgpr12
	s_branch .LBB150_2576
.LBB150_2572:
	s_mov_b32 s0, -1
                                        ; implicit-def: $vgpr12
.LBB150_2573:
	s_delay_alu instid0(SALU_CYCLE_1)
	s_and_not1_b32 vcc_lo, exec_lo, s0
	s_cbranch_vccnz .LBB150_2575
; %bb.2574:
	global_load_b32 v12, v[14:15], off
.LBB150_2575:
	s_mov_b32 s0, 0
.LBB150_2576:
	s_delay_alu instid0(SALU_CYCLE_1)
	s_and_not1_b32 vcc_lo, exec_lo, s0
	s_cbranch_vccnz .LBB150_2578
; %bb.2577:
	global_load_u16 v12, v[14:15], off
.LBB150_2578:
	s_mov_b32 s0, 0
.LBB150_2579:
	s_delay_alu instid0(SALU_CYCLE_1)
	s_and_not1_b32 vcc_lo, exec_lo, s0
	s_cbranch_vccnz .LBB150_2585
; %bb.2580:
	v_cmp_lt_i16_e32 vcc_lo, 0, v17
	s_mov_b32 s0, 0
	s_cbranch_vccz .LBB150_2582
; %bb.2581:
	global_load_u8 v12, v[14:15], off
	s_branch .LBB150_2583
.LBB150_2582:
	s_mov_b32 s0, -1
                                        ; implicit-def: $vgpr12
.LBB150_2583:
	s_delay_alu instid0(SALU_CYCLE_1)
	s_and_not1_b32 vcc_lo, exec_lo, s0
	s_cbranch_vccnz .LBB150_2585
; %bb.2584:
	global_load_u8 v12, v[14:15], off
.LBB150_2585:
	s_mov_b32 s6, -1
.LBB150_2586:
	s_delay_alu instid0(SALU_CYCLE_1)
	s_and_not1_b32 vcc_lo, exec_lo, s6
	s_cbranch_vccnz .LBB150_3020
; %bb.2587:
	v_and_b32_e32 v2, 0xff, v2
	v_mul_lo_u32 v16, s8, v16
	v_and_b32_e64 v15, 0xff, s14
	s_delay_alu instid0(VALU_DEP_3) | instskip(NEXT) | instid1(VALU_DEP_2)
	v_and_b32_e32 v2, 0xffff, v2
	v_cmp_gt_i16_e32 vcc_lo, 11, v15
	s_waitcnt vmcnt(0)
	s_delay_alu instid0(VALU_DEP_4) | instskip(NEXT) | instid1(VALU_DEP_3)
	v_add_co_u32 v13, s0, s4, v16
	v_cvt_f64_u32_e32 v[2:3], v2
	s_and_b32 vcc_lo, exec_lo, vcc_lo
	s_delay_alu instid0(VALU_DEP_1) | instskip(SKIP_1) | instid1(VALU_DEP_1)
	v_mul_f64 v[0:1], v[0:1], v[2:3]
	v_ashrrev_i32_e32 v2, 31, v16
	v_add_co_ci_u32_e64 v14, s0, s5, v2, s0
	s_delay_alu instid0(VALU_DEP_3)
	v_mul_f64 v[0:1], s[2:3], v[0:1]
	s_cbranch_vccnz .LBB150_2665
; %bb.2588:
	v_cmp_lt_i16_e32 vcc_lo, 25, v15
	s_mov_b32 s7, -1
	s_mov_b32 s1, 0
	s_mov_b32 s6, 0
	;; [unrolled: 1-line block ×3, first 2 shown]
	s_cbranch_vccz .LBB150_2621
; %bb.2589:
	v_cmp_lt_i16_e32 vcc_lo, 28, v15
	s_cbranch_vccz .LBB150_2604
; %bb.2590:
	v_cmp_lt_i16_e32 vcc_lo, 43, v15
	;; [unrolled: 3-line block ×3, first 2 shown]
	s_cbranch_vccz .LBB150_2594
; %bb.2592:
	v_cmp_eq_u16_e32 vcc_lo, 46, v15
	s_mov_b32 s0, -1
	s_mov_b32 s7, 0
	s_cbranch_vccz .LBB150_2594
; %bb.2593:
	v_cvt_f32_f64_e32 v2, v[0:1]
	s_mov_b32 s0, 0
	s_mov_b32 s6, -1
	s_delay_alu instid0(VALU_DEP_1) | instskip(SKIP_1) | instid1(VALU_DEP_2)
	v_bfe_u32 v3, v2, 16, 1
	v_cmp_o_f32_e32 vcc_lo, v2, v2
	v_add3_u32 v3, v2, v3, 0x7fff
	s_delay_alu instid0(VALU_DEP_1) | instskip(NEXT) | instid1(VALU_DEP_1)
	v_lshrrev_b32_e32 v3, 16, v3
	v_cndmask_b32_e32 v2, 0x7fc0, v3, vcc_lo
	global_store_b32 v[13:14], v2, off
.LBB150_2594:
	s_and_b32 vcc_lo, exec_lo, s7
	s_cbranch_vccz .LBB150_2599
; %bb.2595:
	v_cmp_eq_u16_e32 vcc_lo, 44, v15
	s_mov_b32 s0, -1
	s_cbranch_vccz .LBB150_2599
; %bb.2596:
	v_cvt_f32_f64_e32 v2, v[0:1]
	v_mov_b32_e32 v3, 0xff
	s_mov_b32 s6, exec_lo
	s_delay_alu instid0(VALU_DEP_2) | instskip(NEXT) | instid1(VALU_DEP_1)
	v_bfe_u32 v17, v2, 23, 8
	v_cmpx_ne_u32_e32 0xff, v17
; %bb.2597:
	v_and_b32_e32 v3, 0x400000, v2
	v_and_or_b32 v17, 0x3fffff, v2, v17
	v_lshrrev_b32_e32 v2, 23, v2
	s_delay_alu instid0(VALU_DEP_3) | instskip(NEXT) | instid1(VALU_DEP_3)
	v_cmp_ne_u32_e32 vcc_lo, 0, v3
	v_cmp_ne_u32_e64 s0, 0, v17
	s_delay_alu instid0(VALU_DEP_1) | instskip(NEXT) | instid1(SALU_CYCLE_1)
	s_and_b32 s0, vcc_lo, s0
	v_cndmask_b32_e64 v3, 0, 1, s0
	s_delay_alu instid0(VALU_DEP_1)
	v_add_nc_u32_e32 v3, v2, v3
; %bb.2598:
	s_or_b32 exec_lo, exec_lo, s6
	s_mov_b32 s0, 0
	s_mov_b32 s6, -1
	global_store_b8 v[13:14], v3, off
.LBB150_2599:
	s_mov_b32 s7, 0
.LBB150_2600:
	s_delay_alu instid0(SALU_CYCLE_1)
	s_and_b32 vcc_lo, exec_lo, s7
	s_cbranch_vccz .LBB150_2603
; %bb.2601:
	v_cmp_eq_u16_e32 vcc_lo, 29, v15
	s_mov_b32 s0, -1
	s_cbranch_vccz .LBB150_2603
; %bb.2602:
	v_trunc_f64_e32 v[2:3], v[0:1]
	s_mov_b32 s0, 0
	s_mov_b32 s6, -1
	s_delay_alu instid0(VALU_DEP_1) | instskip(NEXT) | instid1(VALU_DEP_1)
	v_ldexp_f64 v[17:18], v[2:3], 0xffffffe0
	v_floor_f64_e32 v[17:18], v[17:18]
	s_delay_alu instid0(VALU_DEP_1) | instskip(SKIP_1) | instid1(VALU_DEP_2)
	v_fma_f64 v[2:3], 0xc1f00000, v[17:18], v[2:3]
	v_cvt_u32_f64_e32 v18, v[17:18]
	v_cvt_u32_f64_e32 v17, v[2:3]
	global_store_b64 v[13:14], v[17:18], off
.LBB150_2603:
	s_mov_b32 s7, 0
.LBB150_2604:
	s_delay_alu instid0(SALU_CYCLE_1)
	s_and_b32 vcc_lo, exec_lo, s7
	s_cbranch_vccz .LBB150_2620
; %bb.2605:
	v_cmp_gt_i16_e32 vcc_lo, 27, v15
	s_mov_b32 s6, -1
	s_cbranch_vccnz .LBB150_2611
; %bb.2606:
	s_delay_alu instid0(VALU_DEP_4)
	v_cvt_u32_f64_e32 v2, v[0:1]
	v_cmp_lt_i16_e32 vcc_lo, 27, v15
	s_cbranch_vccz .LBB150_2608
; %bb.2607:
	s_mov_b32 s6, 0
	global_store_b32 v[13:14], v2, off
.LBB150_2608:
	s_and_not1_b32 vcc_lo, exec_lo, s6
	s_cbranch_vccnz .LBB150_2610
; %bb.2609:
	global_store_b16 v[13:14], v2, off
.LBB150_2610:
	s_mov_b32 s6, 0
.LBB150_2611:
	s_delay_alu instid0(SALU_CYCLE_1)
	s_and_not1_b32 vcc_lo, exec_lo, s6
	s_cbranch_vccnz .LBB150_2619
; %bb.2612:
	s_delay_alu instid0(VALU_DEP_4) | instskip(SKIP_2) | instid1(VALU_DEP_2)
	v_cvt_f32_f64_e32 v2, v[0:1]
	v_mov_b32_e32 v17, 0x80
	s_mov_b32 s6, exec_lo
	v_and_b32_e32 v3, 0x7fffffff, v2
	s_delay_alu instid0(VALU_DEP_1)
	v_cmpx_gt_u32_e32 0x43800000, v3
	s_cbranch_execz .LBB150_2618
; %bb.2613:
	v_cmp_lt_u32_e32 vcc_lo, 0x3bffffff, v3
	s_mov_b32 s7, 0
                                        ; implicit-def: $vgpr3
	s_and_saveexec_b32 s9, vcc_lo
	s_delay_alu instid0(SALU_CYCLE_1)
	s_xor_b32 s9, exec_lo, s9
	s_cbranch_execz .LBB150_3068
; %bb.2614:
	v_bfe_u32 v3, v2, 20, 1
	s_mov_b32 s7, exec_lo
	s_delay_alu instid0(VALU_DEP_1) | instskip(NEXT) | instid1(VALU_DEP_1)
	v_add3_u32 v3, v2, v3, 0x487ffff
	v_lshrrev_b32_e32 v3, 20, v3
	s_or_saveexec_b32 s9, s9
                                        ; implicit-def: $sgpr10
	s_delay_alu instid0(SALU_CYCLE_1)
	s_xor_b32 exec_lo, exec_lo, s9
	s_cbranch_execnz .LBB150_3069
.LBB150_2615:
	s_or_b32 exec_lo, exec_lo, s9
	v_mov_b32_e32 v17, s10
	s_and_saveexec_b32 s9, s7
.LBB150_2616:
	v_lshrrev_b32_e32 v2, 24, v2
	s_delay_alu instid0(VALU_DEP_1)
	v_and_or_b32 v17, 0x80, v2, v3
.LBB150_2617:
	s_or_b32 exec_lo, exec_lo, s9
.LBB150_2618:
	s_delay_alu instid0(SALU_CYCLE_1)
	s_or_b32 exec_lo, exec_lo, s6
	global_store_b8 v[13:14], v17, off
.LBB150_2619:
	s_mov_b32 s6, -1
.LBB150_2620:
	s_mov_b32 s7, 0
.LBB150_2621:
	s_delay_alu instid0(SALU_CYCLE_1)
	s_and_b32 vcc_lo, exec_lo, s7
	s_cbranch_vccz .LBB150_2661
; %bb.2622:
	v_cmp_lt_i16_e32 vcc_lo, 22, v15
	s_mov_b32 s1, -1
	s_cbranch_vccz .LBB150_2654
; %bb.2623:
	v_cmp_gt_i16_e32 vcc_lo, 24, v15
	s_cbranch_vccnz .LBB150_2643
; %bb.2624:
	v_cmp_lt_i16_e32 vcc_lo, 24, v15
	s_cbranch_vccz .LBB150_2632
; %bb.2625:
	v_cvt_f32_f64_e32 v2, v[0:1]
	v_mov_b32_e32 v17, 0x80
	s_mov_b32 s1, exec_lo
	s_delay_alu instid0(VALU_DEP_2) | instskip(NEXT) | instid1(VALU_DEP_1)
	v_and_b32_e32 v3, 0x7fffffff, v2
	v_cmpx_gt_u32_e32 0x47800000, v3
	s_cbranch_execz .LBB150_2631
; %bb.2626:
	v_cmp_lt_u32_e32 vcc_lo, 0x37ffffff, v3
	s_mov_b32 s6, 0
                                        ; implicit-def: $vgpr3
	s_and_saveexec_b32 s7, vcc_lo
	s_delay_alu instid0(SALU_CYCLE_1)
	s_xor_b32 s7, exec_lo, s7
	s_cbranch_execz .LBB150_3074
; %bb.2627:
	v_bfe_u32 v3, v2, 21, 1
	s_mov_b32 s6, exec_lo
	s_delay_alu instid0(VALU_DEP_1) | instskip(NEXT) | instid1(VALU_DEP_1)
	v_add3_u32 v3, v2, v3, 0x88fffff
	v_lshrrev_b32_e32 v3, 21, v3
	s_or_saveexec_b32 s7, s7
                                        ; implicit-def: $sgpr9
	s_delay_alu instid0(SALU_CYCLE_1)
	s_xor_b32 exec_lo, exec_lo, s7
	s_cbranch_execnz .LBB150_3075
.LBB150_2628:
	s_or_b32 exec_lo, exec_lo, s7
	v_mov_b32_e32 v17, s9
	s_and_saveexec_b32 s7, s6
.LBB150_2629:
	v_lshrrev_b32_e32 v2, 24, v2
	s_delay_alu instid0(VALU_DEP_1)
	v_and_or_b32 v17, 0x80, v2, v3
.LBB150_2630:
	s_or_b32 exec_lo, exec_lo, s7
.LBB150_2631:
	s_delay_alu instid0(SALU_CYCLE_1)
	s_or_b32 exec_lo, exec_lo, s1
	s_mov_b32 s1, 0
	global_store_b8 v[13:14], v17, off
.LBB150_2632:
	s_and_b32 vcc_lo, exec_lo, s1
	s_cbranch_vccz .LBB150_2642
; %bb.2633:
	v_cvt_f32_f64_e32 v2, v[0:1]
	s_mov_b32 s1, exec_lo
                                        ; implicit-def: $vgpr3
	s_delay_alu instid0(VALU_DEP_1) | instskip(NEXT) | instid1(VALU_DEP_1)
	v_and_b32_e32 v17, 0x7fffffff, v2
	v_cmpx_gt_u32_e32 0x43f00000, v17
	s_xor_b32 s1, exec_lo, s1
	s_cbranch_execz .LBB150_2639
; %bb.2634:
	s_mov_b32 s6, exec_lo
                                        ; implicit-def: $vgpr3
	v_cmpx_lt_u32_e32 0x3c7fffff, v17
	s_xor_b32 s6, exec_lo, s6
; %bb.2635:
	v_bfe_u32 v3, v2, 20, 1
	s_delay_alu instid0(VALU_DEP_1) | instskip(NEXT) | instid1(VALU_DEP_1)
	v_add3_u32 v3, v2, v3, 0x407ffff
	v_and_b32_e32 v17, 0xff00000, v3
	v_lshrrev_b32_e32 v3, 20, v3
	s_delay_alu instid0(VALU_DEP_2) | instskip(NEXT) | instid1(VALU_DEP_2)
	v_cmp_ne_u32_e32 vcc_lo, 0x7f00000, v17
	v_cndmask_b32_e32 v3, 0x7e, v3, vcc_lo
; %bb.2636:
	s_and_not1_saveexec_b32 s6, s6
; %bb.2637:
	v_add_f32_e64 v3, 0x46800000, |v2|
; %bb.2638:
	s_or_b32 exec_lo, exec_lo, s6
                                        ; implicit-def: $vgpr17
.LBB150_2639:
	s_and_not1_saveexec_b32 s1, s1
; %bb.2640:
	v_mov_b32_e32 v3, 0x7f
	v_cmp_lt_u32_e32 vcc_lo, 0x7f800000, v17
	s_delay_alu instid0(VALU_DEP_2)
	v_cndmask_b32_e32 v3, 0x7e, v3, vcc_lo
; %bb.2641:
	s_or_b32 exec_lo, exec_lo, s1
	v_lshrrev_b32_e32 v2, 24, v2
	s_delay_alu instid0(VALU_DEP_1)
	v_and_or_b32 v2, 0x80, v2, v3
	global_store_b8 v[13:14], v2, off
.LBB150_2642:
	s_mov_b32 s1, 0
.LBB150_2643:
	s_delay_alu instid0(SALU_CYCLE_1)
	s_and_not1_b32 vcc_lo, exec_lo, s1
	s_cbranch_vccnz .LBB150_2653
; %bb.2644:
	s_delay_alu instid0(VALU_DEP_4) | instskip(SKIP_1) | instid1(VALU_DEP_1)
	v_cvt_f32_f64_e32 v2, v[0:1]
	s_mov_b32 s1, exec_lo
                                        ; implicit-def: $vgpr3
	v_and_b32_e32 v17, 0x7fffffff, v2
	s_delay_alu instid0(VALU_DEP_1)
	v_cmpx_gt_u32_e32 0x47800000, v17
	s_xor_b32 s1, exec_lo, s1
	s_cbranch_execz .LBB150_2650
; %bb.2645:
	s_mov_b32 s6, exec_lo
                                        ; implicit-def: $vgpr3
	v_cmpx_lt_u32_e32 0x387fffff, v17
	s_xor_b32 s6, exec_lo, s6
; %bb.2646:
	v_bfe_u32 v3, v2, 21, 1
	s_delay_alu instid0(VALU_DEP_1) | instskip(NEXT) | instid1(VALU_DEP_1)
	v_add3_u32 v3, v2, v3, 0x80fffff
	v_lshrrev_b32_e32 v3, 21, v3
; %bb.2647:
	s_and_not1_saveexec_b32 s6, s6
; %bb.2648:
	v_add_f32_e64 v3, 0x43000000, |v2|
; %bb.2649:
	s_or_b32 exec_lo, exec_lo, s6
                                        ; implicit-def: $vgpr17
.LBB150_2650:
	s_and_not1_saveexec_b32 s1, s1
; %bb.2651:
	v_mov_b32_e32 v3, 0x7f
	v_cmp_lt_u32_e32 vcc_lo, 0x7f800000, v17
	s_delay_alu instid0(VALU_DEP_2)
	v_cndmask_b32_e32 v3, 0x7c, v3, vcc_lo
; %bb.2652:
	s_or_b32 exec_lo, exec_lo, s1
	v_lshrrev_b32_e32 v2, 24, v2
	s_delay_alu instid0(VALU_DEP_1)
	v_and_or_b32 v2, 0x80, v2, v3
	global_store_b8 v[13:14], v2, off
.LBB150_2653:
	s_mov_b32 s1, 0
	s_mov_b32 s6, -1
.LBB150_2654:
	s_and_not1_b32 vcc_lo, exec_lo, s1
	s_mov_b32 s1, 0
	s_cbranch_vccnz .LBB150_2661
; %bb.2655:
	v_cmp_lt_i16_e32 vcc_lo, 14, v15
	s_mov_b32 s1, -1
	s_cbranch_vccz .LBB150_2659
; %bb.2656:
	v_cmp_eq_u16_e32 vcc_lo, 15, v15
	s_mov_b32 s0, -1
	s_cbranch_vccz .LBB150_2658
; %bb.2657:
	v_cvt_f32_f64_e32 v2, v[0:1]
	s_mov_b32 s0, 0
	s_mov_b32 s6, -1
	s_delay_alu instid0(VALU_DEP_1) | instskip(SKIP_1) | instid1(VALU_DEP_2)
	v_bfe_u32 v3, v2, 16, 1
	v_cmp_o_f32_e32 vcc_lo, v2, v2
	v_add3_u32 v3, v2, v3, 0x7fff
	s_delay_alu instid0(VALU_DEP_1) | instskip(NEXT) | instid1(VALU_DEP_1)
	v_lshrrev_b32_e32 v3, 16, v3
	v_cndmask_b32_e32 v2, 0x7fc0, v3, vcc_lo
	global_store_b16 v[13:14], v2, off
.LBB150_2658:
	s_mov_b32 s1, 0
.LBB150_2659:
	s_delay_alu instid0(SALU_CYCLE_1)
	s_and_b32 vcc_lo, exec_lo, s1
	s_mov_b32 s1, 0
	s_cbranch_vccz .LBB150_2661
; %bb.2660:
	v_cmp_ne_u16_e64 s0, 11, v15
	s_mov_b32 s1, -1
.LBB150_2661:
	s_delay_alu instid0(VALU_DEP_1)
	s_and_b32 vcc_lo, exec_lo, s0
	s_cbranch_vccnz .LBB150_3072
; %bb.2662:
	s_and_not1_b32 vcc_lo, exec_lo, s1
	s_cbranch_vccnz .LBB150_2664
.LBB150_2663:
	s_delay_alu instid0(VALU_DEP_2)
	v_cmp_neq_f64_e32 vcc_lo, 0, v[0:1]
	s_mov_b32 s6, -1
	v_cndmask_b32_e64 v2, 0, 1, vcc_lo
	global_store_b8 v[13:14], v2, off
.LBB150_2664:
	s_mov_b32 s0, 0
	s_branch .LBB150_2666
.LBB150_2665:
	s_mov_b32 s0, -1
	s_mov_b32 s6, 0
.LBB150_2666:
	s_and_b32 vcc_lo, exec_lo, s0
	s_cbranch_vccz .LBB150_2705
; %bb.2667:
	v_cmp_gt_i16_e32 vcc_lo, 5, v15
	s_mov_b32 s0, -1
	s_cbranch_vccnz .LBB150_2688
; %bb.2668:
	v_cmp_gt_i16_e32 vcc_lo, 8, v15
	s_cbranch_vccnz .LBB150_2678
; %bb.2669:
	v_cmp_gt_i16_e32 vcc_lo, 9, v15
	s_cbranch_vccnz .LBB150_2675
; %bb.2670:
	v_cmp_lt_i16_e32 vcc_lo, 9, v15
	s_cbranch_vccz .LBB150_2672
; %bb.2671:
	v_mov_b32_e32 v2, 0
	s_mov_b32 s0, 0
	s_delay_alu instid0(VALU_DEP_1)
	v_mov_b32_e32 v3, v2
	global_store_b128 v[13:14], v[0:3], off
.LBB150_2672:
	s_and_not1_b32 vcc_lo, exec_lo, s0
	s_cbranch_vccnz .LBB150_2674
; %bb.2673:
	v_cvt_f32_f64_e32 v2, v[0:1]
	v_mov_b32_e32 v3, 0
	global_store_b64 v[13:14], v[2:3], off
.LBB150_2674:
	s_mov_b32 s0, 0
.LBB150_2675:
	s_delay_alu instid0(SALU_CYCLE_1)
	s_and_not1_b32 vcc_lo, exec_lo, s0
	s_cbranch_vccnz .LBB150_2677
; %bb.2676:
	s_delay_alu instid0(VALU_DEP_4) | instskip(NEXT) | instid1(VALU_DEP_1)
	v_cvt_f32_f64_e32 v2, v[0:1]
	v_cvt_f16_f32_e32 v2, v2
	s_delay_alu instid0(VALU_DEP_1)
	v_and_b32_e32 v2, 0xffff, v2
	global_store_b32 v[13:14], v2, off
.LBB150_2677:
	s_mov_b32 s0, 0
.LBB150_2678:
	s_delay_alu instid0(SALU_CYCLE_1)
	s_and_not1_b32 vcc_lo, exec_lo, s0
	s_cbranch_vccnz .LBB150_2687
; %bb.2679:
	v_cmp_gt_i16_e32 vcc_lo, 6, v15
	s_mov_b32 s0, -1
	s_cbranch_vccnz .LBB150_2685
; %bb.2680:
	v_cmp_lt_i16_e32 vcc_lo, 6, v15
	s_cbranch_vccz .LBB150_2682
; %bb.2681:
	s_mov_b32 s0, 0
	global_store_b64 v[13:14], v[0:1], off
.LBB150_2682:
	s_and_not1_b32 vcc_lo, exec_lo, s0
	s_cbranch_vccnz .LBB150_2684
; %bb.2683:
	v_cvt_f32_f64_e32 v2, v[0:1]
	global_store_b32 v[13:14], v2, off
.LBB150_2684:
	s_mov_b32 s0, 0
.LBB150_2685:
	s_delay_alu instid0(SALU_CYCLE_1)
	s_and_not1_b32 vcc_lo, exec_lo, s0
	s_cbranch_vccnz .LBB150_2687
; %bb.2686:
	s_delay_alu instid0(VALU_DEP_4) | instskip(NEXT) | instid1(VALU_DEP_1)
	v_cvt_f32_f64_e32 v2, v[0:1]
	v_cvt_f16_f32_e32 v2, v2
	global_store_b16 v[13:14], v2, off
.LBB150_2687:
	s_mov_b32 s0, 0
.LBB150_2688:
	s_delay_alu instid0(SALU_CYCLE_1)
	s_and_not1_b32 vcc_lo, exec_lo, s0
	s_cbranch_vccnz .LBB150_2704
; %bb.2689:
	v_cmp_gt_i16_e32 vcc_lo, 2, v15
	s_mov_b32 s0, -1
	s_cbranch_vccnz .LBB150_2699
; %bb.2690:
	v_cmp_gt_i16_e32 vcc_lo, 3, v15
	s_cbranch_vccnz .LBB150_2696
; %bb.2691:
	v_cmp_lt_i16_e32 vcc_lo, 3, v15
	s_cbranch_vccz .LBB150_2693
; %bb.2692:
	v_trunc_f64_e32 v[2:3], v[0:1]
	s_mov_b32 s0, 0
	s_delay_alu instid0(VALU_DEP_1) | instskip(NEXT) | instid1(VALU_DEP_1)
	v_ldexp_f64 v[17:18], v[2:3], 0xffffffe0
	v_floor_f64_e32 v[17:18], v[17:18]
	s_delay_alu instid0(VALU_DEP_1) | instskip(SKIP_1) | instid1(VALU_DEP_2)
	v_fma_f64 v[2:3], 0xc1f00000, v[17:18], v[2:3]
	v_cvt_i32_f64_e32 v18, v[17:18]
	v_cvt_u32_f64_e32 v17, v[2:3]
	global_store_b64 v[13:14], v[17:18], off
.LBB150_2693:
	s_and_not1_b32 vcc_lo, exec_lo, s0
	s_cbranch_vccnz .LBB150_2695
; %bb.2694:
	v_cvt_i32_f64_e32 v2, v[0:1]
	global_store_b32 v[13:14], v2, off
.LBB150_2695:
	s_mov_b32 s0, 0
.LBB150_2696:
	s_delay_alu instid0(SALU_CYCLE_1)
	s_and_not1_b32 vcc_lo, exec_lo, s0
	s_cbranch_vccnz .LBB150_2698
; %bb.2697:
	s_delay_alu instid0(VALU_DEP_4)
	v_cvt_i32_f64_e32 v2, v[0:1]
	global_store_b16 v[13:14], v2, off
.LBB150_2698:
	s_mov_b32 s0, 0
.LBB150_2699:
	s_delay_alu instid0(SALU_CYCLE_1)
	s_and_not1_b32 vcc_lo, exec_lo, s0
	s_cbranch_vccnz .LBB150_2704
; %bb.2700:
	v_cmp_lt_i16_e32 vcc_lo, 0, v15
	s_mov_b32 s0, -1
	s_cbranch_vccz .LBB150_2702
; %bb.2701:
	s_delay_alu instid0(VALU_DEP_4)
	v_cvt_i32_f64_e32 v2, v[0:1]
	s_mov_b32 s0, 0
	global_store_b8 v[13:14], v2, off
.LBB150_2702:
	s_and_not1_b32 vcc_lo, exec_lo, s0
	s_cbranch_vccnz .LBB150_2704
; %bb.2703:
	s_delay_alu instid0(VALU_DEP_4) | instskip(NEXT) | instid1(VALU_DEP_1)
	v_trunc_f64_e32 v[0:1], v[0:1]
	v_ldexp_f64 v[2:3], v[0:1], 0xffffffe0
	s_delay_alu instid0(VALU_DEP_1) | instskip(NEXT) | instid1(VALU_DEP_1)
	v_floor_f64_e32 v[2:3], v[2:3]
	v_fma_f64 v[0:1], 0xc1f00000, v[2:3], v[0:1]
	s_delay_alu instid0(VALU_DEP_1)
	v_cvt_u32_f64_e32 v0, v[0:1]
	global_store_b8 v[13:14], v0, off
.LBB150_2704:
	s_mov_b32 s6, -1
.LBB150_2705:
	s_delay_alu instid0(SALU_CYCLE_1)
	s_and_not1_b32 vcc_lo, exec_lo, s6
	s_cbranch_vccnz .LBB150_3020
; %bb.2706:
	v_and_b32_e32 v0, 0xff, v6
	s_lshl_b32 s1, s8, 7
	v_cmp_gt_i16_e32 vcc_lo, 11, v15
	v_add_nc_u32_e32 v6, s1, v16
	s_delay_alu instid0(VALU_DEP_3) | instskip(SKIP_1) | instid1(VALU_DEP_2)
	v_and_b32_e32 v0, 0xffff, v0
	s_and_b32 vcc_lo, exec_lo, vcc_lo
	v_ashrrev_i32_e32 v2, 31, v6
	s_delay_alu instid0(VALU_DEP_2) | instskip(NEXT) | instid1(VALU_DEP_1)
	v_cvt_f64_u32_e32 v[0:1], v0
	v_mul_f64 v[0:1], v[4:5], v[0:1]
	v_add_co_u32 v4, s0, s4, v6
	s_delay_alu instid0(VALU_DEP_1) | instskip(NEXT) | instid1(VALU_DEP_3)
	v_add_co_ci_u32_e64 v5, s0, s5, v2, s0
	v_mul_f64 v[0:1], s[2:3], v[0:1]
	s_cbranch_vccnz .LBB150_2784
; %bb.2707:
	v_cmp_lt_i16_e32 vcc_lo, 25, v15
	s_mov_b32 s8, -1
	s_mov_b32 s6, 0
	s_mov_b32 s7, 0
	;; [unrolled: 1-line block ×3, first 2 shown]
	s_cbranch_vccz .LBB150_2740
; %bb.2708:
	v_cmp_lt_i16_e32 vcc_lo, 28, v15
	s_cbranch_vccz .LBB150_2723
; %bb.2709:
	v_cmp_lt_i16_e32 vcc_lo, 43, v15
	;; [unrolled: 3-line block ×3, first 2 shown]
	s_cbranch_vccz .LBB150_2713
; %bb.2711:
	v_cmp_eq_u16_e32 vcc_lo, 46, v15
	s_mov_b32 s0, -1
	s_mov_b32 s8, 0
	s_cbranch_vccz .LBB150_2713
; %bb.2712:
	v_cvt_f32_f64_e32 v2, v[0:1]
	s_mov_b32 s0, 0
	s_mov_b32 s7, -1
	s_delay_alu instid0(VALU_DEP_1) | instskip(SKIP_1) | instid1(VALU_DEP_2)
	v_bfe_u32 v3, v2, 16, 1
	v_cmp_o_f32_e32 vcc_lo, v2, v2
	v_add3_u32 v3, v2, v3, 0x7fff
	s_delay_alu instid0(VALU_DEP_1) | instskip(NEXT) | instid1(VALU_DEP_1)
	v_lshrrev_b32_e32 v3, 16, v3
	v_cndmask_b32_e32 v2, 0x7fc0, v3, vcc_lo
	global_store_b32 v[4:5], v2, off
.LBB150_2713:
	s_and_b32 vcc_lo, exec_lo, s8
	s_cbranch_vccz .LBB150_2718
; %bb.2714:
	v_cmp_eq_u16_e32 vcc_lo, 44, v15
	s_mov_b32 s0, -1
	s_cbranch_vccz .LBB150_2718
; %bb.2715:
	v_cvt_f32_f64_e32 v2, v[0:1]
	v_mov_b32_e32 v3, 0xff
	s_mov_b32 s7, exec_lo
	s_delay_alu instid0(VALU_DEP_2) | instskip(NEXT) | instid1(VALU_DEP_1)
	v_bfe_u32 v13, v2, 23, 8
	v_cmpx_ne_u32_e32 0xff, v13
; %bb.2716:
	v_and_b32_e32 v3, 0x400000, v2
	v_and_or_b32 v13, 0x3fffff, v2, v13
	v_lshrrev_b32_e32 v2, 23, v2
	s_delay_alu instid0(VALU_DEP_3) | instskip(NEXT) | instid1(VALU_DEP_3)
	v_cmp_ne_u32_e32 vcc_lo, 0, v3
	v_cmp_ne_u32_e64 s0, 0, v13
	s_delay_alu instid0(VALU_DEP_1) | instskip(NEXT) | instid1(SALU_CYCLE_1)
	s_and_b32 s0, vcc_lo, s0
	v_cndmask_b32_e64 v3, 0, 1, s0
	s_delay_alu instid0(VALU_DEP_1)
	v_add_nc_u32_e32 v3, v2, v3
; %bb.2717:
	s_or_b32 exec_lo, exec_lo, s7
	s_mov_b32 s0, 0
	s_mov_b32 s7, -1
	global_store_b8 v[4:5], v3, off
.LBB150_2718:
	s_mov_b32 s8, 0
.LBB150_2719:
	s_delay_alu instid0(SALU_CYCLE_1)
	s_and_b32 vcc_lo, exec_lo, s8
	s_cbranch_vccz .LBB150_2722
; %bb.2720:
	v_cmp_eq_u16_e32 vcc_lo, 29, v15
	s_mov_b32 s0, -1
	s_cbranch_vccz .LBB150_2722
; %bb.2721:
	v_trunc_f64_e32 v[2:3], v[0:1]
	s_mov_b32 s0, 0
	s_mov_b32 s7, -1
	s_delay_alu instid0(VALU_DEP_1) | instskip(NEXT) | instid1(VALU_DEP_1)
	v_ldexp_f64 v[13:14], v[2:3], 0xffffffe0
	v_floor_f64_e32 v[13:14], v[13:14]
	s_delay_alu instid0(VALU_DEP_1) | instskip(SKIP_1) | instid1(VALU_DEP_2)
	v_fma_f64 v[2:3], 0xc1f00000, v[13:14], v[2:3]
	v_cvt_u32_f64_e32 v14, v[13:14]
	v_cvt_u32_f64_e32 v13, v[2:3]
	global_store_b64 v[4:5], v[13:14], off
.LBB150_2722:
	s_mov_b32 s8, 0
.LBB150_2723:
	s_delay_alu instid0(SALU_CYCLE_1)
	s_and_b32 vcc_lo, exec_lo, s8
	s_cbranch_vccz .LBB150_2739
; %bb.2724:
	v_cmp_gt_i16_e32 vcc_lo, 27, v15
	s_mov_b32 s7, -1
	s_cbranch_vccnz .LBB150_2730
; %bb.2725:
	s_delay_alu instid0(VALU_DEP_4)
	v_cvt_u32_f64_e32 v2, v[0:1]
	v_cmp_lt_i16_e32 vcc_lo, 27, v15
	s_cbranch_vccz .LBB150_2727
; %bb.2726:
	s_mov_b32 s7, 0
	global_store_b32 v[4:5], v2, off
.LBB150_2727:
	s_and_not1_b32 vcc_lo, exec_lo, s7
	s_cbranch_vccnz .LBB150_2729
; %bb.2728:
	global_store_b16 v[4:5], v2, off
.LBB150_2729:
	s_mov_b32 s7, 0
.LBB150_2730:
	s_delay_alu instid0(SALU_CYCLE_1)
	s_and_not1_b32 vcc_lo, exec_lo, s7
	s_cbranch_vccnz .LBB150_2738
; %bb.2731:
	s_delay_alu instid0(VALU_DEP_4) | instskip(SKIP_2) | instid1(VALU_DEP_2)
	v_cvt_f32_f64_e32 v2, v[0:1]
	v_mov_b32_e32 v13, 0x80
	s_mov_b32 s7, exec_lo
	v_and_b32_e32 v3, 0x7fffffff, v2
	s_delay_alu instid0(VALU_DEP_1)
	v_cmpx_gt_u32_e32 0x43800000, v3
	s_cbranch_execz .LBB150_2737
; %bb.2732:
	v_cmp_lt_u32_e32 vcc_lo, 0x3bffffff, v3
	s_mov_b32 s8, 0
                                        ; implicit-def: $vgpr3
	s_and_saveexec_b32 s9, vcc_lo
	s_delay_alu instid0(SALU_CYCLE_1)
	s_xor_b32 s9, exec_lo, s9
	s_cbranch_execz .LBB150_3076
; %bb.2733:
	v_bfe_u32 v3, v2, 20, 1
	s_mov_b32 s8, exec_lo
	s_delay_alu instid0(VALU_DEP_1) | instskip(NEXT) | instid1(VALU_DEP_1)
	v_add3_u32 v3, v2, v3, 0x487ffff
	v_lshrrev_b32_e32 v3, 20, v3
	s_or_saveexec_b32 s9, s9
                                        ; implicit-def: $sgpr10
	s_delay_alu instid0(SALU_CYCLE_1)
	s_xor_b32 exec_lo, exec_lo, s9
	s_cbranch_execnz .LBB150_3077
.LBB150_2734:
	s_or_b32 exec_lo, exec_lo, s9
	v_mov_b32_e32 v13, s10
	s_and_saveexec_b32 s9, s8
.LBB150_2735:
	v_lshrrev_b32_e32 v2, 24, v2
	s_delay_alu instid0(VALU_DEP_1)
	v_and_or_b32 v13, 0x80, v2, v3
.LBB150_2736:
	s_or_b32 exec_lo, exec_lo, s9
.LBB150_2737:
	s_delay_alu instid0(SALU_CYCLE_1)
	s_or_b32 exec_lo, exec_lo, s7
	global_store_b8 v[4:5], v13, off
.LBB150_2738:
	s_mov_b32 s7, -1
.LBB150_2739:
	s_mov_b32 s8, 0
.LBB150_2740:
	s_delay_alu instid0(SALU_CYCLE_1)
	s_and_b32 vcc_lo, exec_lo, s8
	s_cbranch_vccz .LBB150_2780
; %bb.2741:
	v_cmp_lt_i16_e32 vcc_lo, 22, v15
	s_mov_b32 s6, -1
	s_cbranch_vccz .LBB150_2773
; %bb.2742:
	v_cmp_gt_i16_e32 vcc_lo, 24, v15
	s_cbranch_vccnz .LBB150_2762
; %bb.2743:
	v_cmp_lt_i16_e32 vcc_lo, 24, v15
	s_cbranch_vccz .LBB150_2751
; %bb.2744:
	v_cvt_f32_f64_e32 v2, v[0:1]
	v_mov_b32_e32 v13, 0x80
	s_mov_b32 s6, exec_lo
	s_delay_alu instid0(VALU_DEP_2) | instskip(NEXT) | instid1(VALU_DEP_1)
	v_and_b32_e32 v3, 0x7fffffff, v2
	v_cmpx_gt_u32_e32 0x47800000, v3
	s_cbranch_execz .LBB150_2750
; %bb.2745:
	v_cmp_lt_u32_e32 vcc_lo, 0x37ffffff, v3
	s_mov_b32 s7, 0
                                        ; implicit-def: $vgpr3
	s_and_saveexec_b32 s8, vcc_lo
	s_delay_alu instid0(SALU_CYCLE_1)
	s_xor_b32 s8, exec_lo, s8
	s_cbranch_execz .LBB150_3082
; %bb.2746:
	v_bfe_u32 v3, v2, 21, 1
	s_mov_b32 s7, exec_lo
	s_delay_alu instid0(VALU_DEP_1) | instskip(NEXT) | instid1(VALU_DEP_1)
	v_add3_u32 v3, v2, v3, 0x88fffff
	v_lshrrev_b32_e32 v3, 21, v3
	s_or_saveexec_b32 s8, s8
                                        ; implicit-def: $sgpr9
	s_delay_alu instid0(SALU_CYCLE_1)
	s_xor_b32 exec_lo, exec_lo, s8
	s_cbranch_execnz .LBB150_3083
.LBB150_2747:
	s_or_b32 exec_lo, exec_lo, s8
	v_mov_b32_e32 v13, s9
	s_and_saveexec_b32 s8, s7
.LBB150_2748:
	v_lshrrev_b32_e32 v2, 24, v2
	s_delay_alu instid0(VALU_DEP_1)
	v_and_or_b32 v13, 0x80, v2, v3
.LBB150_2749:
	s_or_b32 exec_lo, exec_lo, s8
.LBB150_2750:
	s_delay_alu instid0(SALU_CYCLE_1)
	s_or_b32 exec_lo, exec_lo, s6
	s_mov_b32 s6, 0
	global_store_b8 v[4:5], v13, off
.LBB150_2751:
	s_and_b32 vcc_lo, exec_lo, s6
	s_cbranch_vccz .LBB150_2761
; %bb.2752:
	v_cvt_f32_f64_e32 v2, v[0:1]
	s_mov_b32 s6, exec_lo
                                        ; implicit-def: $vgpr3
	s_delay_alu instid0(VALU_DEP_1) | instskip(NEXT) | instid1(VALU_DEP_1)
	v_and_b32_e32 v13, 0x7fffffff, v2
	v_cmpx_gt_u32_e32 0x43f00000, v13
	s_xor_b32 s6, exec_lo, s6
	s_cbranch_execz .LBB150_2758
; %bb.2753:
	s_mov_b32 s7, exec_lo
                                        ; implicit-def: $vgpr3
	v_cmpx_lt_u32_e32 0x3c7fffff, v13
	s_xor_b32 s7, exec_lo, s7
; %bb.2754:
	v_bfe_u32 v3, v2, 20, 1
	s_delay_alu instid0(VALU_DEP_1) | instskip(NEXT) | instid1(VALU_DEP_1)
	v_add3_u32 v3, v2, v3, 0x407ffff
	v_and_b32_e32 v13, 0xff00000, v3
	v_lshrrev_b32_e32 v3, 20, v3
	s_delay_alu instid0(VALU_DEP_2) | instskip(NEXT) | instid1(VALU_DEP_2)
	v_cmp_ne_u32_e32 vcc_lo, 0x7f00000, v13
	v_cndmask_b32_e32 v3, 0x7e, v3, vcc_lo
; %bb.2755:
	s_and_not1_saveexec_b32 s7, s7
; %bb.2756:
	v_add_f32_e64 v3, 0x46800000, |v2|
; %bb.2757:
	s_or_b32 exec_lo, exec_lo, s7
                                        ; implicit-def: $vgpr13
.LBB150_2758:
	s_and_not1_saveexec_b32 s6, s6
; %bb.2759:
	v_mov_b32_e32 v3, 0x7f
	v_cmp_lt_u32_e32 vcc_lo, 0x7f800000, v13
	s_delay_alu instid0(VALU_DEP_2)
	v_cndmask_b32_e32 v3, 0x7e, v3, vcc_lo
; %bb.2760:
	s_or_b32 exec_lo, exec_lo, s6
	v_lshrrev_b32_e32 v2, 24, v2
	s_delay_alu instid0(VALU_DEP_1)
	v_and_or_b32 v2, 0x80, v2, v3
	global_store_b8 v[4:5], v2, off
.LBB150_2761:
	s_mov_b32 s6, 0
.LBB150_2762:
	s_delay_alu instid0(SALU_CYCLE_1)
	s_and_not1_b32 vcc_lo, exec_lo, s6
	s_cbranch_vccnz .LBB150_2772
; %bb.2763:
	s_delay_alu instid0(VALU_DEP_4) | instskip(SKIP_1) | instid1(VALU_DEP_1)
	v_cvt_f32_f64_e32 v2, v[0:1]
	s_mov_b32 s6, exec_lo
                                        ; implicit-def: $vgpr3
	v_and_b32_e32 v13, 0x7fffffff, v2
	s_delay_alu instid0(VALU_DEP_1)
	v_cmpx_gt_u32_e32 0x47800000, v13
	s_xor_b32 s6, exec_lo, s6
	s_cbranch_execz .LBB150_2769
; %bb.2764:
	s_mov_b32 s7, exec_lo
                                        ; implicit-def: $vgpr3
	v_cmpx_lt_u32_e32 0x387fffff, v13
	s_xor_b32 s7, exec_lo, s7
; %bb.2765:
	v_bfe_u32 v3, v2, 21, 1
	s_delay_alu instid0(VALU_DEP_1) | instskip(NEXT) | instid1(VALU_DEP_1)
	v_add3_u32 v3, v2, v3, 0x80fffff
	v_lshrrev_b32_e32 v3, 21, v3
; %bb.2766:
	s_and_not1_saveexec_b32 s7, s7
; %bb.2767:
	v_add_f32_e64 v3, 0x43000000, |v2|
; %bb.2768:
	s_or_b32 exec_lo, exec_lo, s7
                                        ; implicit-def: $vgpr13
.LBB150_2769:
	s_and_not1_saveexec_b32 s6, s6
; %bb.2770:
	v_mov_b32_e32 v3, 0x7f
	v_cmp_lt_u32_e32 vcc_lo, 0x7f800000, v13
	s_delay_alu instid0(VALU_DEP_2)
	v_cndmask_b32_e32 v3, 0x7c, v3, vcc_lo
; %bb.2771:
	s_or_b32 exec_lo, exec_lo, s6
	v_lshrrev_b32_e32 v2, 24, v2
	s_delay_alu instid0(VALU_DEP_1)
	v_and_or_b32 v2, 0x80, v2, v3
	global_store_b8 v[4:5], v2, off
.LBB150_2772:
	s_mov_b32 s6, 0
	s_mov_b32 s7, -1
.LBB150_2773:
	s_and_not1_b32 vcc_lo, exec_lo, s6
	s_mov_b32 s6, 0
	s_cbranch_vccnz .LBB150_2780
; %bb.2774:
	v_cmp_lt_i16_e32 vcc_lo, 14, v15
	s_mov_b32 s6, -1
	s_cbranch_vccz .LBB150_2778
; %bb.2775:
	v_cmp_eq_u16_e32 vcc_lo, 15, v15
	s_mov_b32 s0, -1
	s_cbranch_vccz .LBB150_2777
; %bb.2776:
	v_cvt_f32_f64_e32 v2, v[0:1]
	s_mov_b32 s0, 0
	s_mov_b32 s7, -1
	s_delay_alu instid0(VALU_DEP_1) | instskip(SKIP_1) | instid1(VALU_DEP_2)
	v_bfe_u32 v3, v2, 16, 1
	v_cmp_o_f32_e32 vcc_lo, v2, v2
	v_add3_u32 v3, v2, v3, 0x7fff
	s_delay_alu instid0(VALU_DEP_1) | instskip(NEXT) | instid1(VALU_DEP_1)
	v_lshrrev_b32_e32 v3, 16, v3
	v_cndmask_b32_e32 v2, 0x7fc0, v3, vcc_lo
	global_store_b16 v[4:5], v2, off
.LBB150_2777:
	s_mov_b32 s6, 0
.LBB150_2778:
	s_delay_alu instid0(SALU_CYCLE_1)
	s_and_b32 vcc_lo, exec_lo, s6
	s_mov_b32 s6, 0
	s_cbranch_vccz .LBB150_2780
; %bb.2779:
	v_cmp_ne_u16_e64 s0, 11, v15
	s_mov_b32 s6, -1
.LBB150_2780:
	s_delay_alu instid0(VALU_DEP_1)
	s_and_b32 vcc_lo, exec_lo, s0
	s_cbranch_vccnz .LBB150_3080
; %bb.2781:
	s_and_not1_b32 vcc_lo, exec_lo, s6
	s_cbranch_vccnz .LBB150_2783
.LBB150_2782:
	s_delay_alu instid0(VALU_DEP_2)
	v_cmp_neq_f64_e32 vcc_lo, 0, v[0:1]
	s_mov_b32 s7, -1
	v_cndmask_b32_e64 v2, 0, 1, vcc_lo
	global_store_b8 v[4:5], v2, off
.LBB150_2783:
	s_mov_b32 s0, 0
	s_branch .LBB150_2785
.LBB150_2784:
	s_mov_b32 s0, -1
	s_mov_b32 s7, 0
.LBB150_2785:
	s_and_b32 vcc_lo, exec_lo, s0
	s_cbranch_vccz .LBB150_2824
; %bb.2786:
	v_cmp_gt_i16_e32 vcc_lo, 5, v15
	s_mov_b32 s0, -1
	s_cbranch_vccnz .LBB150_2807
; %bb.2787:
	v_cmp_gt_i16_e32 vcc_lo, 8, v15
	s_cbranch_vccnz .LBB150_2797
; %bb.2788:
	v_cmp_gt_i16_e32 vcc_lo, 9, v15
	s_cbranch_vccnz .LBB150_2794
; %bb.2789:
	v_cmp_lt_i16_e32 vcc_lo, 9, v15
	s_cbranch_vccz .LBB150_2791
; %bb.2790:
	v_mov_b32_e32 v2, 0
	s_mov_b32 s0, 0
	s_delay_alu instid0(VALU_DEP_1)
	v_mov_b32_e32 v3, v2
	global_store_b128 v[4:5], v[0:3], off
.LBB150_2791:
	s_and_not1_b32 vcc_lo, exec_lo, s0
	s_cbranch_vccnz .LBB150_2793
; %bb.2792:
	v_cvt_f32_f64_e32 v2, v[0:1]
	v_mov_b32_e32 v3, 0
	global_store_b64 v[4:5], v[2:3], off
.LBB150_2793:
	s_mov_b32 s0, 0
.LBB150_2794:
	s_delay_alu instid0(SALU_CYCLE_1)
	s_and_not1_b32 vcc_lo, exec_lo, s0
	s_cbranch_vccnz .LBB150_2796
; %bb.2795:
	s_delay_alu instid0(VALU_DEP_4) | instskip(NEXT) | instid1(VALU_DEP_1)
	v_cvt_f32_f64_e32 v2, v[0:1]
	v_cvt_f16_f32_e32 v2, v2
	s_delay_alu instid0(VALU_DEP_1)
	v_and_b32_e32 v2, 0xffff, v2
	global_store_b32 v[4:5], v2, off
.LBB150_2796:
	s_mov_b32 s0, 0
.LBB150_2797:
	s_delay_alu instid0(SALU_CYCLE_1)
	s_and_not1_b32 vcc_lo, exec_lo, s0
	s_cbranch_vccnz .LBB150_2806
; %bb.2798:
	v_cmp_gt_i16_e32 vcc_lo, 6, v15
	s_mov_b32 s0, -1
	s_cbranch_vccnz .LBB150_2804
; %bb.2799:
	v_cmp_lt_i16_e32 vcc_lo, 6, v15
	s_cbranch_vccz .LBB150_2801
; %bb.2800:
	s_mov_b32 s0, 0
	global_store_b64 v[4:5], v[0:1], off
.LBB150_2801:
	s_and_not1_b32 vcc_lo, exec_lo, s0
	s_cbranch_vccnz .LBB150_2803
; %bb.2802:
	v_cvt_f32_f64_e32 v2, v[0:1]
	global_store_b32 v[4:5], v2, off
.LBB150_2803:
	s_mov_b32 s0, 0
.LBB150_2804:
	s_delay_alu instid0(SALU_CYCLE_1)
	s_and_not1_b32 vcc_lo, exec_lo, s0
	s_cbranch_vccnz .LBB150_2806
; %bb.2805:
	s_delay_alu instid0(VALU_DEP_4) | instskip(NEXT) | instid1(VALU_DEP_1)
	v_cvt_f32_f64_e32 v2, v[0:1]
	v_cvt_f16_f32_e32 v2, v2
	global_store_b16 v[4:5], v2, off
.LBB150_2806:
	s_mov_b32 s0, 0
.LBB150_2807:
	s_delay_alu instid0(SALU_CYCLE_1)
	s_and_not1_b32 vcc_lo, exec_lo, s0
	s_cbranch_vccnz .LBB150_2823
; %bb.2808:
	v_cmp_gt_i16_e32 vcc_lo, 2, v15
	s_mov_b32 s0, -1
	s_cbranch_vccnz .LBB150_2818
; %bb.2809:
	v_cmp_gt_i16_e32 vcc_lo, 3, v15
	s_cbranch_vccnz .LBB150_2815
; %bb.2810:
	v_cmp_lt_i16_e32 vcc_lo, 3, v15
	s_cbranch_vccz .LBB150_2812
; %bb.2811:
	v_trunc_f64_e32 v[2:3], v[0:1]
	s_mov_b32 s0, 0
	s_delay_alu instid0(VALU_DEP_1) | instskip(NEXT) | instid1(VALU_DEP_1)
	v_ldexp_f64 v[13:14], v[2:3], 0xffffffe0
	v_floor_f64_e32 v[13:14], v[13:14]
	s_delay_alu instid0(VALU_DEP_1) | instskip(SKIP_1) | instid1(VALU_DEP_2)
	v_fma_f64 v[2:3], 0xc1f00000, v[13:14], v[2:3]
	v_cvt_i32_f64_e32 v14, v[13:14]
	v_cvt_u32_f64_e32 v13, v[2:3]
	global_store_b64 v[4:5], v[13:14], off
.LBB150_2812:
	s_and_not1_b32 vcc_lo, exec_lo, s0
	s_cbranch_vccnz .LBB150_2814
; %bb.2813:
	v_cvt_i32_f64_e32 v2, v[0:1]
	global_store_b32 v[4:5], v2, off
.LBB150_2814:
	s_mov_b32 s0, 0
.LBB150_2815:
	s_delay_alu instid0(SALU_CYCLE_1)
	s_and_not1_b32 vcc_lo, exec_lo, s0
	s_cbranch_vccnz .LBB150_2817
; %bb.2816:
	s_delay_alu instid0(VALU_DEP_4)
	v_cvt_i32_f64_e32 v2, v[0:1]
	global_store_b16 v[4:5], v2, off
.LBB150_2817:
	s_mov_b32 s0, 0
.LBB150_2818:
	s_delay_alu instid0(SALU_CYCLE_1)
	s_and_not1_b32 vcc_lo, exec_lo, s0
	s_cbranch_vccnz .LBB150_2823
; %bb.2819:
	v_cmp_lt_i16_e32 vcc_lo, 0, v15
	s_mov_b32 s0, -1
	s_cbranch_vccz .LBB150_2821
; %bb.2820:
	s_delay_alu instid0(VALU_DEP_4)
	v_cvt_i32_f64_e32 v2, v[0:1]
	s_mov_b32 s0, 0
	global_store_b8 v[4:5], v2, off
.LBB150_2821:
	s_and_not1_b32 vcc_lo, exec_lo, s0
	s_cbranch_vccnz .LBB150_2823
; %bb.2822:
	s_delay_alu instid0(VALU_DEP_4) | instskip(NEXT) | instid1(VALU_DEP_1)
	v_trunc_f64_e32 v[0:1], v[0:1]
	v_ldexp_f64 v[2:3], v[0:1], 0xffffffe0
	s_delay_alu instid0(VALU_DEP_1) | instskip(NEXT) | instid1(VALU_DEP_1)
	v_floor_f64_e32 v[2:3], v[2:3]
	v_fma_f64 v[0:1], 0xc1f00000, v[2:3], v[0:1]
	s_delay_alu instid0(VALU_DEP_1)
	v_cvt_u32_f64_e32 v0, v[0:1]
	global_store_b8 v[4:5], v0, off
.LBB150_2823:
	s_mov_b32 s7, -1
.LBB150_2824:
	s_delay_alu instid0(SALU_CYCLE_1)
	s_and_not1_b32 vcc_lo, exec_lo, s7
	s_cbranch_vccnz .LBB150_3020
; %bb.2825:
	v_and_b32_e32 v0, 0xff, v9
	v_add_nc_u32_e32 v6, s1, v6
	v_cmp_gt_i16_e32 vcc_lo, 11, v15
	s_delay_alu instid0(VALU_DEP_3) | instskip(NEXT) | instid1(VALU_DEP_3)
	v_and_b32_e32 v0, 0xffff, v0
	v_ashrrev_i32_e32 v2, 31, v6
	v_add_co_u32 v4, s0, s4, v6
	s_and_b32 vcc_lo, exec_lo, vcc_lo
	s_delay_alu instid0(VALU_DEP_3) | instskip(NEXT) | instid1(VALU_DEP_3)
	v_cvt_f64_u32_e32 v[0:1], v0
	v_add_co_ci_u32_e64 v5, s0, s5, v2, s0
	s_delay_alu instid0(VALU_DEP_2) | instskip(NEXT) | instid1(VALU_DEP_1)
	v_mul_f64 v[0:1], v[7:8], v[0:1]
	v_mul_f64 v[0:1], s[2:3], v[0:1]
	s_cbranch_vccnz .LBB150_2903
; %bb.2826:
	v_cmp_lt_i16_e32 vcc_lo, 25, v15
	s_mov_b32 s8, -1
	s_mov_b32 s6, 0
	s_mov_b32 s7, 0
	;; [unrolled: 1-line block ×3, first 2 shown]
	s_cbranch_vccz .LBB150_2859
; %bb.2827:
	v_cmp_lt_i16_e32 vcc_lo, 28, v15
	s_cbranch_vccz .LBB150_2842
; %bb.2828:
	v_cmp_lt_i16_e32 vcc_lo, 43, v15
	;; [unrolled: 3-line block ×3, first 2 shown]
	s_cbranch_vccz .LBB150_2832
; %bb.2830:
	v_cmp_eq_u16_e32 vcc_lo, 46, v15
	s_mov_b32 s0, -1
	s_mov_b32 s8, 0
	s_cbranch_vccz .LBB150_2832
; %bb.2831:
	v_cvt_f32_f64_e32 v2, v[0:1]
	s_mov_b32 s0, 0
	s_mov_b32 s7, -1
	s_delay_alu instid0(VALU_DEP_1) | instskip(SKIP_1) | instid1(VALU_DEP_2)
	v_bfe_u32 v3, v2, 16, 1
	v_cmp_o_f32_e32 vcc_lo, v2, v2
	v_add3_u32 v3, v2, v3, 0x7fff
	s_delay_alu instid0(VALU_DEP_1) | instskip(NEXT) | instid1(VALU_DEP_1)
	v_lshrrev_b32_e32 v3, 16, v3
	v_cndmask_b32_e32 v2, 0x7fc0, v3, vcc_lo
	global_store_b32 v[4:5], v2, off
.LBB150_2832:
	s_and_b32 vcc_lo, exec_lo, s8
	s_cbranch_vccz .LBB150_2837
; %bb.2833:
	v_cmp_eq_u16_e32 vcc_lo, 44, v15
	s_mov_b32 s0, -1
	s_cbranch_vccz .LBB150_2837
; %bb.2834:
	v_cvt_f32_f64_e32 v2, v[0:1]
	v_mov_b32_e32 v3, 0xff
	s_mov_b32 s7, exec_lo
	s_delay_alu instid0(VALU_DEP_2) | instskip(NEXT) | instid1(VALU_DEP_1)
	v_bfe_u32 v7, v2, 23, 8
	v_cmpx_ne_u32_e32 0xff, v7
; %bb.2835:
	v_and_b32_e32 v3, 0x400000, v2
	v_and_or_b32 v7, 0x3fffff, v2, v7
	v_lshrrev_b32_e32 v2, 23, v2
	s_delay_alu instid0(VALU_DEP_3) | instskip(NEXT) | instid1(VALU_DEP_3)
	v_cmp_ne_u32_e32 vcc_lo, 0, v3
	v_cmp_ne_u32_e64 s0, 0, v7
	s_delay_alu instid0(VALU_DEP_1) | instskip(NEXT) | instid1(SALU_CYCLE_1)
	s_and_b32 s0, vcc_lo, s0
	v_cndmask_b32_e64 v3, 0, 1, s0
	s_delay_alu instid0(VALU_DEP_1)
	v_add_nc_u32_e32 v3, v2, v3
; %bb.2836:
	s_or_b32 exec_lo, exec_lo, s7
	s_mov_b32 s0, 0
	s_mov_b32 s7, -1
	global_store_b8 v[4:5], v3, off
.LBB150_2837:
	s_mov_b32 s8, 0
.LBB150_2838:
	s_delay_alu instid0(SALU_CYCLE_1)
	s_and_b32 vcc_lo, exec_lo, s8
	s_cbranch_vccz .LBB150_2841
; %bb.2839:
	v_cmp_eq_u16_e32 vcc_lo, 29, v15
	s_mov_b32 s0, -1
	s_cbranch_vccz .LBB150_2841
; %bb.2840:
	v_trunc_f64_e32 v[2:3], v[0:1]
	s_mov_b32 s0, 0
	s_mov_b32 s7, -1
	s_delay_alu instid0(VALU_DEP_1) | instskip(NEXT) | instid1(VALU_DEP_1)
	v_ldexp_f64 v[7:8], v[2:3], 0xffffffe0
	v_floor_f64_e32 v[7:8], v[7:8]
	s_delay_alu instid0(VALU_DEP_1) | instskip(SKIP_1) | instid1(VALU_DEP_2)
	v_fma_f64 v[2:3], 0xc1f00000, v[7:8], v[2:3]
	v_cvt_u32_f64_e32 v8, v[7:8]
	v_cvt_u32_f64_e32 v7, v[2:3]
	global_store_b64 v[4:5], v[7:8], off
.LBB150_2841:
	s_mov_b32 s8, 0
.LBB150_2842:
	s_delay_alu instid0(SALU_CYCLE_1)
	s_and_b32 vcc_lo, exec_lo, s8
	s_cbranch_vccz .LBB150_2858
; %bb.2843:
	v_cmp_gt_i16_e32 vcc_lo, 27, v15
	s_mov_b32 s7, -1
	s_cbranch_vccnz .LBB150_2849
; %bb.2844:
	v_cmp_lt_i16_e32 vcc_lo, 27, v15
	s_cbranch_vccz .LBB150_2846
; %bb.2845:
	v_cvt_u32_f64_e32 v2, v[0:1]
	s_mov_b32 s7, 0
	global_store_b32 v[4:5], v2, off
.LBB150_2846:
	s_and_not1_b32 vcc_lo, exec_lo, s7
	s_cbranch_vccnz .LBB150_2848
; %bb.2847:
	v_cvt_u32_f64_e32 v2, v[0:1]
	global_store_b16 v[4:5], v2, off
.LBB150_2848:
	s_mov_b32 s7, 0
.LBB150_2849:
	s_delay_alu instid0(SALU_CYCLE_1)
	s_and_not1_b32 vcc_lo, exec_lo, s7
	s_cbranch_vccnz .LBB150_2857
; %bb.2850:
	s_delay_alu instid0(VALU_DEP_4) | instskip(SKIP_2) | instid1(VALU_DEP_2)
	v_cvt_f32_f64_e32 v2, v[0:1]
	v_mov_b32_e32 v7, 0x80
	s_mov_b32 s7, exec_lo
	v_and_b32_e32 v3, 0x7fffffff, v2
	s_delay_alu instid0(VALU_DEP_1)
	v_cmpx_gt_u32_e32 0x43800000, v3
	s_cbranch_execz .LBB150_2856
; %bb.2851:
	v_cmp_lt_u32_e32 vcc_lo, 0x3bffffff, v3
	s_mov_b32 s8, 0
                                        ; implicit-def: $vgpr3
	s_and_saveexec_b32 s9, vcc_lo
	s_delay_alu instid0(SALU_CYCLE_1)
	s_xor_b32 s9, exec_lo, s9
	s_cbranch_execz .LBB150_3084
; %bb.2852:
	v_bfe_u32 v3, v2, 20, 1
	s_mov_b32 s8, exec_lo
	s_delay_alu instid0(VALU_DEP_1) | instskip(NEXT) | instid1(VALU_DEP_1)
	v_add3_u32 v3, v2, v3, 0x487ffff
	v_lshrrev_b32_e32 v3, 20, v3
	s_or_saveexec_b32 s9, s9
                                        ; implicit-def: $sgpr10
	s_delay_alu instid0(SALU_CYCLE_1)
	s_xor_b32 exec_lo, exec_lo, s9
	s_cbranch_execnz .LBB150_3085
.LBB150_2853:
	s_or_b32 exec_lo, exec_lo, s9
	v_mov_b32_e32 v7, s10
	s_and_saveexec_b32 s9, s8
.LBB150_2854:
	v_lshrrev_b32_e32 v2, 24, v2
	s_delay_alu instid0(VALU_DEP_1)
	v_and_or_b32 v7, 0x80, v2, v3
.LBB150_2855:
	s_or_b32 exec_lo, exec_lo, s9
.LBB150_2856:
	s_delay_alu instid0(SALU_CYCLE_1)
	s_or_b32 exec_lo, exec_lo, s7
	global_store_b8 v[4:5], v7, off
.LBB150_2857:
	s_mov_b32 s7, -1
.LBB150_2858:
	s_mov_b32 s8, 0
.LBB150_2859:
	s_delay_alu instid0(SALU_CYCLE_1)
	s_and_b32 vcc_lo, exec_lo, s8
	s_cbranch_vccz .LBB150_2899
; %bb.2860:
	v_cmp_lt_i16_e32 vcc_lo, 22, v15
	s_mov_b32 s6, -1
	s_cbranch_vccz .LBB150_2892
; %bb.2861:
	v_cmp_gt_i16_e32 vcc_lo, 24, v15
	s_cbranch_vccnz .LBB150_2881
; %bb.2862:
	v_cmp_lt_i16_e32 vcc_lo, 24, v15
	s_cbranch_vccz .LBB150_2870
; %bb.2863:
	v_cvt_f32_f64_e32 v2, v[0:1]
	v_mov_b32_e32 v7, 0x80
	s_mov_b32 s6, exec_lo
	s_delay_alu instid0(VALU_DEP_2) | instskip(NEXT) | instid1(VALU_DEP_1)
	v_and_b32_e32 v3, 0x7fffffff, v2
	v_cmpx_gt_u32_e32 0x47800000, v3
	s_cbranch_execz .LBB150_2869
; %bb.2864:
	v_cmp_lt_u32_e32 vcc_lo, 0x37ffffff, v3
	s_mov_b32 s7, 0
                                        ; implicit-def: $vgpr3
	s_and_saveexec_b32 s8, vcc_lo
	s_delay_alu instid0(SALU_CYCLE_1)
	s_xor_b32 s8, exec_lo, s8
	s_cbranch_execz .LBB150_3090
; %bb.2865:
	v_bfe_u32 v3, v2, 21, 1
	s_mov_b32 s7, exec_lo
	s_delay_alu instid0(VALU_DEP_1) | instskip(NEXT) | instid1(VALU_DEP_1)
	v_add3_u32 v3, v2, v3, 0x88fffff
	v_lshrrev_b32_e32 v3, 21, v3
	s_or_saveexec_b32 s8, s8
                                        ; implicit-def: $sgpr9
	s_delay_alu instid0(SALU_CYCLE_1)
	s_xor_b32 exec_lo, exec_lo, s8
	s_cbranch_execnz .LBB150_3091
.LBB150_2866:
	s_or_b32 exec_lo, exec_lo, s8
	v_mov_b32_e32 v7, s9
	s_and_saveexec_b32 s8, s7
.LBB150_2867:
	v_lshrrev_b32_e32 v2, 24, v2
	s_delay_alu instid0(VALU_DEP_1)
	v_and_or_b32 v7, 0x80, v2, v3
.LBB150_2868:
	s_or_b32 exec_lo, exec_lo, s8
.LBB150_2869:
	s_delay_alu instid0(SALU_CYCLE_1)
	s_or_b32 exec_lo, exec_lo, s6
	s_mov_b32 s6, 0
	global_store_b8 v[4:5], v7, off
.LBB150_2870:
	s_and_b32 vcc_lo, exec_lo, s6
	s_cbranch_vccz .LBB150_2880
; %bb.2871:
	v_cvt_f32_f64_e32 v2, v[0:1]
	s_mov_b32 s6, exec_lo
                                        ; implicit-def: $vgpr3
	s_delay_alu instid0(VALU_DEP_1) | instskip(NEXT) | instid1(VALU_DEP_1)
	v_and_b32_e32 v7, 0x7fffffff, v2
	v_cmpx_gt_u32_e32 0x43f00000, v7
	s_xor_b32 s6, exec_lo, s6
	s_cbranch_execz .LBB150_2877
; %bb.2872:
	s_mov_b32 s7, exec_lo
                                        ; implicit-def: $vgpr3
	v_cmpx_lt_u32_e32 0x3c7fffff, v7
	s_xor_b32 s7, exec_lo, s7
; %bb.2873:
	v_bfe_u32 v3, v2, 20, 1
	s_delay_alu instid0(VALU_DEP_1) | instskip(NEXT) | instid1(VALU_DEP_1)
	v_add3_u32 v3, v2, v3, 0x407ffff
	v_and_b32_e32 v7, 0xff00000, v3
	v_lshrrev_b32_e32 v3, 20, v3
	s_delay_alu instid0(VALU_DEP_2) | instskip(NEXT) | instid1(VALU_DEP_2)
	v_cmp_ne_u32_e32 vcc_lo, 0x7f00000, v7
	v_cndmask_b32_e32 v3, 0x7e, v3, vcc_lo
; %bb.2874:
	s_and_not1_saveexec_b32 s7, s7
; %bb.2875:
	v_add_f32_e64 v3, 0x46800000, |v2|
; %bb.2876:
	s_or_b32 exec_lo, exec_lo, s7
                                        ; implicit-def: $vgpr7
.LBB150_2877:
	s_and_not1_saveexec_b32 s6, s6
; %bb.2878:
	v_mov_b32_e32 v3, 0x7f
	v_cmp_lt_u32_e32 vcc_lo, 0x7f800000, v7
	s_delay_alu instid0(VALU_DEP_2)
	v_cndmask_b32_e32 v3, 0x7e, v3, vcc_lo
; %bb.2879:
	s_or_b32 exec_lo, exec_lo, s6
	v_lshrrev_b32_e32 v2, 24, v2
	s_delay_alu instid0(VALU_DEP_1)
	v_and_or_b32 v2, 0x80, v2, v3
	global_store_b8 v[4:5], v2, off
.LBB150_2880:
	s_mov_b32 s6, 0
.LBB150_2881:
	s_delay_alu instid0(SALU_CYCLE_1)
	s_and_not1_b32 vcc_lo, exec_lo, s6
	s_cbranch_vccnz .LBB150_2891
; %bb.2882:
	s_delay_alu instid0(VALU_DEP_4) | instskip(SKIP_1) | instid1(VALU_DEP_1)
	v_cvt_f32_f64_e32 v2, v[0:1]
	s_mov_b32 s6, exec_lo
                                        ; implicit-def: $vgpr3
	v_and_b32_e32 v7, 0x7fffffff, v2
	s_delay_alu instid0(VALU_DEP_1)
	v_cmpx_gt_u32_e32 0x47800000, v7
	s_xor_b32 s6, exec_lo, s6
	s_cbranch_execz .LBB150_2888
; %bb.2883:
	s_mov_b32 s7, exec_lo
                                        ; implicit-def: $vgpr3
	v_cmpx_lt_u32_e32 0x387fffff, v7
	s_xor_b32 s7, exec_lo, s7
; %bb.2884:
	v_bfe_u32 v3, v2, 21, 1
	s_delay_alu instid0(VALU_DEP_1) | instskip(NEXT) | instid1(VALU_DEP_1)
	v_add3_u32 v3, v2, v3, 0x80fffff
	v_lshrrev_b32_e32 v3, 21, v3
; %bb.2885:
	s_and_not1_saveexec_b32 s7, s7
; %bb.2886:
	v_add_f32_e64 v3, 0x43000000, |v2|
; %bb.2887:
	s_or_b32 exec_lo, exec_lo, s7
                                        ; implicit-def: $vgpr7
.LBB150_2888:
	s_and_not1_saveexec_b32 s6, s6
; %bb.2889:
	v_mov_b32_e32 v3, 0x7f
	v_cmp_lt_u32_e32 vcc_lo, 0x7f800000, v7
	s_delay_alu instid0(VALU_DEP_2)
	v_cndmask_b32_e32 v3, 0x7c, v3, vcc_lo
; %bb.2890:
	s_or_b32 exec_lo, exec_lo, s6
	v_lshrrev_b32_e32 v2, 24, v2
	s_delay_alu instid0(VALU_DEP_1)
	v_and_or_b32 v2, 0x80, v2, v3
	global_store_b8 v[4:5], v2, off
.LBB150_2891:
	s_mov_b32 s6, 0
	s_mov_b32 s7, -1
.LBB150_2892:
	s_and_not1_b32 vcc_lo, exec_lo, s6
	s_mov_b32 s6, 0
	s_cbranch_vccnz .LBB150_2899
; %bb.2893:
	v_cmp_lt_i16_e32 vcc_lo, 14, v15
	s_mov_b32 s6, -1
	s_cbranch_vccz .LBB150_2897
; %bb.2894:
	v_cmp_eq_u16_e32 vcc_lo, 15, v15
	s_mov_b32 s0, -1
	s_cbranch_vccz .LBB150_2896
; %bb.2895:
	v_cvt_f32_f64_e32 v2, v[0:1]
	s_mov_b32 s0, 0
	s_mov_b32 s7, -1
	s_delay_alu instid0(VALU_DEP_1) | instskip(SKIP_1) | instid1(VALU_DEP_2)
	v_bfe_u32 v3, v2, 16, 1
	v_cmp_o_f32_e32 vcc_lo, v2, v2
	v_add3_u32 v3, v2, v3, 0x7fff
	s_delay_alu instid0(VALU_DEP_1) | instskip(NEXT) | instid1(VALU_DEP_1)
	v_lshrrev_b32_e32 v3, 16, v3
	v_cndmask_b32_e32 v2, 0x7fc0, v3, vcc_lo
	global_store_b16 v[4:5], v2, off
.LBB150_2896:
	s_mov_b32 s6, 0
.LBB150_2897:
	s_delay_alu instid0(SALU_CYCLE_1)
	s_and_b32 vcc_lo, exec_lo, s6
	s_mov_b32 s6, 0
	s_cbranch_vccz .LBB150_2899
; %bb.2898:
	v_cmp_ne_u16_e64 s0, 11, v15
	s_mov_b32 s6, -1
.LBB150_2899:
	s_delay_alu instid0(VALU_DEP_1)
	s_and_b32 vcc_lo, exec_lo, s0
	s_cbranch_vccnz .LBB150_3088
; %bb.2900:
	s_and_not1_b32 vcc_lo, exec_lo, s6
	s_cbranch_vccnz .LBB150_2902
.LBB150_2901:
	s_delay_alu instid0(VALU_DEP_2)
	v_cmp_neq_f64_e32 vcc_lo, 0, v[0:1]
	s_mov_b32 s7, -1
	v_cndmask_b32_e64 v2, 0, 1, vcc_lo
	global_store_b8 v[4:5], v2, off
.LBB150_2902:
	s_mov_b32 s0, 0
	s_branch .LBB150_2904
.LBB150_2903:
	s_mov_b32 s0, -1
	s_mov_b32 s7, 0
.LBB150_2904:
	s_and_b32 vcc_lo, exec_lo, s0
	s_cbranch_vccz .LBB150_2943
; %bb.2905:
	v_cmp_gt_i16_e32 vcc_lo, 5, v15
	s_mov_b32 s0, -1
	s_cbranch_vccnz .LBB150_2926
; %bb.2906:
	v_cmp_gt_i16_e32 vcc_lo, 8, v15
	s_cbranch_vccnz .LBB150_2916
; %bb.2907:
	v_cmp_gt_i16_e32 vcc_lo, 9, v15
	s_cbranch_vccnz .LBB150_2913
; %bb.2908:
	v_cmp_lt_i16_e32 vcc_lo, 9, v15
	s_cbranch_vccz .LBB150_2910
; %bb.2909:
	v_mov_b32_e32 v2, 0
	s_mov_b32 s0, 0
	s_delay_alu instid0(VALU_DEP_1)
	v_mov_b32_e32 v3, v2
	global_store_b128 v[4:5], v[0:3], off
.LBB150_2910:
	s_and_not1_b32 vcc_lo, exec_lo, s0
	s_cbranch_vccnz .LBB150_2912
; %bb.2911:
	v_cvt_f32_f64_e32 v2, v[0:1]
	v_mov_b32_e32 v3, 0
	global_store_b64 v[4:5], v[2:3], off
.LBB150_2912:
	s_mov_b32 s0, 0
.LBB150_2913:
	s_delay_alu instid0(SALU_CYCLE_1)
	s_and_not1_b32 vcc_lo, exec_lo, s0
	s_cbranch_vccnz .LBB150_2915
; %bb.2914:
	s_delay_alu instid0(VALU_DEP_4) | instskip(NEXT) | instid1(VALU_DEP_1)
	v_cvt_f32_f64_e32 v2, v[0:1]
	v_cvt_f16_f32_e32 v2, v2
	s_delay_alu instid0(VALU_DEP_1)
	v_and_b32_e32 v2, 0xffff, v2
	global_store_b32 v[4:5], v2, off
.LBB150_2915:
	s_mov_b32 s0, 0
.LBB150_2916:
	s_delay_alu instid0(SALU_CYCLE_1)
	s_and_not1_b32 vcc_lo, exec_lo, s0
	s_cbranch_vccnz .LBB150_2925
; %bb.2917:
	v_cmp_gt_i16_e32 vcc_lo, 6, v15
	s_mov_b32 s0, -1
	s_cbranch_vccnz .LBB150_2923
; %bb.2918:
	v_cmp_lt_i16_e32 vcc_lo, 6, v15
	s_cbranch_vccz .LBB150_2920
; %bb.2919:
	s_mov_b32 s0, 0
	global_store_b64 v[4:5], v[0:1], off
.LBB150_2920:
	s_and_not1_b32 vcc_lo, exec_lo, s0
	s_cbranch_vccnz .LBB150_2922
; %bb.2921:
	v_cvt_f32_f64_e32 v2, v[0:1]
	global_store_b32 v[4:5], v2, off
.LBB150_2922:
	s_mov_b32 s0, 0
.LBB150_2923:
	s_delay_alu instid0(SALU_CYCLE_1)
	s_and_not1_b32 vcc_lo, exec_lo, s0
	s_cbranch_vccnz .LBB150_2925
; %bb.2924:
	s_delay_alu instid0(VALU_DEP_4) | instskip(NEXT) | instid1(VALU_DEP_1)
	v_cvt_f32_f64_e32 v2, v[0:1]
	v_cvt_f16_f32_e32 v2, v2
	global_store_b16 v[4:5], v2, off
.LBB150_2925:
	s_mov_b32 s0, 0
.LBB150_2926:
	s_delay_alu instid0(SALU_CYCLE_1)
	s_and_not1_b32 vcc_lo, exec_lo, s0
	s_cbranch_vccnz .LBB150_2942
; %bb.2927:
	v_cmp_gt_i16_e32 vcc_lo, 2, v15
	s_mov_b32 s0, -1
	s_cbranch_vccnz .LBB150_2937
; %bb.2928:
	v_cmp_gt_i16_e32 vcc_lo, 3, v15
	s_cbranch_vccnz .LBB150_2934
; %bb.2929:
	v_cmp_lt_i16_e32 vcc_lo, 3, v15
	s_cbranch_vccz .LBB150_2931
; %bb.2930:
	v_trunc_f64_e32 v[2:3], v[0:1]
	s_mov_b32 s0, 0
	s_delay_alu instid0(VALU_DEP_1) | instskip(NEXT) | instid1(VALU_DEP_1)
	v_ldexp_f64 v[7:8], v[2:3], 0xffffffe0
	v_floor_f64_e32 v[7:8], v[7:8]
	s_delay_alu instid0(VALU_DEP_1) | instskip(SKIP_1) | instid1(VALU_DEP_2)
	v_fma_f64 v[2:3], 0xc1f00000, v[7:8], v[2:3]
	v_cvt_i32_f64_e32 v8, v[7:8]
	v_cvt_u32_f64_e32 v7, v[2:3]
	global_store_b64 v[4:5], v[7:8], off
.LBB150_2931:
	s_and_not1_b32 vcc_lo, exec_lo, s0
	s_cbranch_vccnz .LBB150_2933
; %bb.2932:
	v_cvt_i32_f64_e32 v2, v[0:1]
	global_store_b32 v[4:5], v2, off
.LBB150_2933:
	s_mov_b32 s0, 0
.LBB150_2934:
	s_delay_alu instid0(SALU_CYCLE_1)
	s_and_not1_b32 vcc_lo, exec_lo, s0
	s_cbranch_vccnz .LBB150_2936
; %bb.2935:
	s_delay_alu instid0(VALU_DEP_4)
	v_cvt_i32_f64_e32 v2, v[0:1]
	global_store_b16 v[4:5], v2, off
.LBB150_2936:
	s_mov_b32 s0, 0
.LBB150_2937:
	s_delay_alu instid0(SALU_CYCLE_1)
	s_and_not1_b32 vcc_lo, exec_lo, s0
	s_cbranch_vccnz .LBB150_2942
; %bb.2938:
	v_cmp_lt_i16_e32 vcc_lo, 0, v15
	s_mov_b32 s0, -1
	s_cbranch_vccz .LBB150_2940
; %bb.2939:
	s_delay_alu instid0(VALU_DEP_4)
	v_cvt_i32_f64_e32 v2, v[0:1]
	s_mov_b32 s0, 0
	global_store_b8 v[4:5], v2, off
.LBB150_2940:
	s_and_not1_b32 vcc_lo, exec_lo, s0
	s_cbranch_vccnz .LBB150_2942
; %bb.2941:
	s_delay_alu instid0(VALU_DEP_4) | instskip(NEXT) | instid1(VALU_DEP_1)
	v_trunc_f64_e32 v[0:1], v[0:1]
	v_ldexp_f64 v[2:3], v[0:1], 0xffffffe0
	s_delay_alu instid0(VALU_DEP_1) | instskip(NEXT) | instid1(VALU_DEP_1)
	v_floor_f64_e32 v[2:3], v[2:3]
	v_fma_f64 v[0:1], 0xc1f00000, v[2:3], v[0:1]
	s_delay_alu instid0(VALU_DEP_1)
	v_cvt_u32_f64_e32 v0, v[0:1]
	global_store_b8 v[4:5], v0, off
.LBB150_2942:
	s_mov_b32 s7, -1
.LBB150_2943:
	s_delay_alu instid0(SALU_CYCLE_1)
	s_and_not1_b32 vcc_lo, exec_lo, s7
	s_cbranch_vccnz .LBB150_3020
; %bb.2944:
	v_and_b32_e32 v0, 0xff, v12
	v_add_nc_u32_e32 v2, s1, v6
	v_cmp_gt_i16_e32 vcc_lo, 11, v15
	s_delay_alu instid0(VALU_DEP_3) | instskip(NEXT) | instid1(VALU_DEP_3)
	v_and_b32_e32 v0, 0xffff, v0
	v_ashrrev_i32_e32 v3, 31, v2
	v_add_co_u32 v4, s0, s4, v2
	s_and_b32 vcc_lo, exec_lo, vcc_lo
	s_delay_alu instid0(VALU_DEP_3) | instskip(NEXT) | instid1(VALU_DEP_3)
	v_cvt_f64_u32_e32 v[0:1], v0
	v_add_co_ci_u32_e64 v5, s0, s5, v3, s0
	s_delay_alu instid0(VALU_DEP_2) | instskip(NEXT) | instid1(VALU_DEP_1)
	v_mul_f64 v[0:1], v[10:11], v[0:1]
	v_mul_f64 v[0:1], s[2:3], v[0:1]
	s_cbranch_vccnz .LBB150_3065
; %bb.2945:
	v_cmp_lt_i16_e32 vcc_lo, 25, v15
	s_mov_b32 s2, -1
	s_mov_b32 s1, 0
	s_mov_b32 s0, 0
	s_cbranch_vccz .LBB150_2978
; %bb.2946:
	v_cmp_lt_i16_e32 vcc_lo, 28, v15
	s_cbranch_vccz .LBB150_2962
; %bb.2947:
	v_cmp_lt_i16_e32 vcc_lo, 43, v15
	;; [unrolled: 3-line block ×3, first 2 shown]
	s_cbranch_vccz .LBB150_2952
; %bb.2949:
	v_cmp_eq_u16_e32 vcc_lo, 46, v15
	s_mov_b32 s0, -1
	s_cbranch_vccz .LBB150_2951
; %bb.2950:
	v_cvt_f32_f64_e32 v2, v[0:1]
	s_mov_b32 s0, 0
	s_delay_alu instid0(VALU_DEP_1) | instskip(SKIP_1) | instid1(VALU_DEP_2)
	v_bfe_u32 v3, v2, 16, 1
	v_cmp_o_f32_e32 vcc_lo, v2, v2
	v_add3_u32 v3, v2, v3, 0x7fff
	s_delay_alu instid0(VALU_DEP_1) | instskip(NEXT) | instid1(VALU_DEP_1)
	v_lshrrev_b32_e32 v3, 16, v3
	v_cndmask_b32_e32 v2, 0x7fc0, v3, vcc_lo
	global_store_b32 v[4:5], v2, off
.LBB150_2951:
	s_mov_b32 s2, 0
.LBB150_2952:
	s_delay_alu instid0(SALU_CYCLE_1)
	s_and_b32 vcc_lo, exec_lo, s2
	s_cbranch_vccz .LBB150_2957
; %bb.2953:
	v_cmp_eq_u16_e32 vcc_lo, 44, v15
	s_mov_b32 s0, -1
	s_cbranch_vccz .LBB150_2957
; %bb.2954:
	v_cvt_f32_f64_e32 v2, v[0:1]
	v_mov_b32_e32 v3, 0xff
	s_mov_b32 s2, exec_lo
	s_delay_alu instid0(VALU_DEP_2) | instskip(NEXT) | instid1(VALU_DEP_1)
	v_bfe_u32 v6, v2, 23, 8
	v_cmpx_ne_u32_e32 0xff, v6
; %bb.2955:
	v_and_b32_e32 v3, 0x400000, v2
	v_and_or_b32 v6, 0x3fffff, v2, v6
	v_lshrrev_b32_e32 v2, 23, v2
	s_delay_alu instid0(VALU_DEP_3) | instskip(NEXT) | instid1(VALU_DEP_3)
	v_cmp_ne_u32_e32 vcc_lo, 0, v3
	v_cmp_ne_u32_e64 s0, 0, v6
	s_delay_alu instid0(VALU_DEP_1) | instskip(NEXT) | instid1(SALU_CYCLE_1)
	s_and_b32 s0, vcc_lo, s0
	v_cndmask_b32_e64 v3, 0, 1, s0
	s_delay_alu instid0(VALU_DEP_1)
	v_add_nc_u32_e32 v3, v2, v3
; %bb.2956:
	s_or_b32 exec_lo, exec_lo, s2
	s_mov_b32 s0, 0
	global_store_b8 v[4:5], v3, off
.LBB150_2957:
	s_mov_b32 s2, 0
.LBB150_2958:
	s_delay_alu instid0(SALU_CYCLE_1)
	s_and_b32 vcc_lo, exec_lo, s2
	s_cbranch_vccz .LBB150_2961
; %bb.2959:
	v_cmp_eq_u16_e32 vcc_lo, 29, v15
	s_mov_b32 s0, -1
	s_cbranch_vccz .LBB150_2961
; %bb.2960:
	v_trunc_f64_e32 v[2:3], v[0:1]
	s_mov_b32 s0, 0
	s_delay_alu instid0(VALU_DEP_1) | instskip(NEXT) | instid1(VALU_DEP_1)
	v_ldexp_f64 v[6:7], v[2:3], 0xffffffe0
	v_floor_f64_e32 v[6:7], v[6:7]
	s_delay_alu instid0(VALU_DEP_1) | instskip(SKIP_1) | instid1(VALU_DEP_2)
	v_fma_f64 v[2:3], 0xc1f00000, v[6:7], v[2:3]
	v_cvt_u32_f64_e32 v7, v[6:7]
	v_cvt_u32_f64_e32 v6, v[2:3]
	global_store_b64 v[4:5], v[6:7], off
.LBB150_2961:
	s_mov_b32 s2, 0
.LBB150_2962:
	s_delay_alu instid0(SALU_CYCLE_1)
	s_and_b32 vcc_lo, exec_lo, s2
	s_cbranch_vccz .LBB150_2977
; %bb.2963:
	v_cmp_gt_i16_e32 vcc_lo, 27, v15
	s_mov_b32 s2, -1
	s_cbranch_vccnz .LBB150_2969
; %bb.2964:
	v_cmp_lt_i16_e32 vcc_lo, 27, v15
	s_cbranch_vccz .LBB150_2966
; %bb.2965:
	v_cvt_u32_f64_e32 v2, v[0:1]
	s_mov_b32 s2, 0
	global_store_b32 v[4:5], v2, off
.LBB150_2966:
	s_and_not1_b32 vcc_lo, exec_lo, s2
	s_cbranch_vccnz .LBB150_2968
; %bb.2967:
	v_cvt_u32_f64_e32 v2, v[0:1]
	global_store_b16 v[4:5], v2, off
.LBB150_2968:
	s_mov_b32 s2, 0
.LBB150_2969:
	s_delay_alu instid0(SALU_CYCLE_1)
	s_and_not1_b32 vcc_lo, exec_lo, s2
	s_cbranch_vccnz .LBB150_2977
; %bb.2970:
	s_delay_alu instid0(VALU_DEP_4) | instskip(SKIP_2) | instid1(VALU_DEP_2)
	v_cvt_f32_f64_e32 v2, v[0:1]
	v_mov_b32_e32 v6, 0x80
	s_mov_b32 s2, exec_lo
	v_and_b32_e32 v3, 0x7fffffff, v2
	s_delay_alu instid0(VALU_DEP_1)
	v_cmpx_gt_u32_e32 0x43800000, v3
	s_cbranch_execz .LBB150_2976
; %bb.2971:
	v_cmp_lt_u32_e32 vcc_lo, 0x3bffffff, v3
	s_mov_b32 s3, 0
                                        ; implicit-def: $vgpr3
	s_and_saveexec_b32 s4, vcc_lo
	s_delay_alu instid0(SALU_CYCLE_1)
	s_xor_b32 s4, exec_lo, s4
	s_cbranch_execz .LBB150_3092
; %bb.2972:
	v_bfe_u32 v3, v2, 20, 1
	s_mov_b32 s3, exec_lo
	s_delay_alu instid0(VALU_DEP_1) | instskip(NEXT) | instid1(VALU_DEP_1)
	v_add3_u32 v3, v2, v3, 0x487ffff
	v_lshrrev_b32_e32 v3, 20, v3
	s_or_saveexec_b32 s4, s4
                                        ; implicit-def: $sgpr5
	s_delay_alu instid0(SALU_CYCLE_1)
	s_xor_b32 exec_lo, exec_lo, s4
	s_cbranch_execnz .LBB150_3093
.LBB150_2973:
	s_or_b32 exec_lo, exec_lo, s4
	v_mov_b32_e32 v6, s5
	s_and_saveexec_b32 s4, s3
.LBB150_2974:
	v_lshrrev_b32_e32 v2, 24, v2
	s_delay_alu instid0(VALU_DEP_1)
	v_and_or_b32 v6, 0x80, v2, v3
.LBB150_2975:
	s_or_b32 exec_lo, exec_lo, s4
.LBB150_2976:
	s_delay_alu instid0(SALU_CYCLE_1)
	s_or_b32 exec_lo, exec_lo, s2
	global_store_b8 v[4:5], v6, off
.LBB150_2977:
	s_mov_b32 s2, 0
.LBB150_2978:
	s_delay_alu instid0(SALU_CYCLE_1)
	s_and_b32 vcc_lo, exec_lo, s2
	s_cbranch_vccz .LBB150_3018
; %bb.2979:
	v_cmp_lt_i16_e32 vcc_lo, 22, v15
	s_mov_b32 s1, -1
	s_cbranch_vccz .LBB150_3011
; %bb.2980:
	v_cmp_gt_i16_e32 vcc_lo, 24, v15
	s_cbranch_vccnz .LBB150_3000
; %bb.2981:
	v_cmp_lt_i16_e32 vcc_lo, 24, v15
	s_cbranch_vccz .LBB150_2989
; %bb.2982:
	v_cvt_f32_f64_e32 v2, v[0:1]
	v_mov_b32_e32 v6, 0x80
	s_mov_b32 s1, exec_lo
	s_delay_alu instid0(VALU_DEP_2) | instskip(NEXT) | instid1(VALU_DEP_1)
	v_and_b32_e32 v3, 0x7fffffff, v2
	v_cmpx_gt_u32_e32 0x47800000, v3
	s_cbranch_execz .LBB150_2988
; %bb.2983:
	v_cmp_lt_u32_e32 vcc_lo, 0x37ffffff, v3
	s_mov_b32 s2, 0
                                        ; implicit-def: $vgpr3
	s_and_saveexec_b32 s3, vcc_lo
	s_delay_alu instid0(SALU_CYCLE_1)
	s_xor_b32 s3, exec_lo, s3
	s_cbranch_execz .LBB150_3098
; %bb.2984:
	v_bfe_u32 v3, v2, 21, 1
	s_mov_b32 s2, exec_lo
	s_delay_alu instid0(VALU_DEP_1) | instskip(NEXT) | instid1(VALU_DEP_1)
	v_add3_u32 v3, v2, v3, 0x88fffff
	v_lshrrev_b32_e32 v3, 21, v3
	s_or_saveexec_b32 s3, s3
                                        ; implicit-def: $sgpr4
	s_delay_alu instid0(SALU_CYCLE_1)
	s_xor_b32 exec_lo, exec_lo, s3
	s_cbranch_execnz .LBB150_3099
.LBB150_2985:
	s_or_b32 exec_lo, exec_lo, s3
	v_mov_b32_e32 v6, s4
	s_and_saveexec_b32 s3, s2
.LBB150_2986:
	v_lshrrev_b32_e32 v2, 24, v2
	s_delay_alu instid0(VALU_DEP_1)
	v_and_or_b32 v6, 0x80, v2, v3
.LBB150_2987:
	s_or_b32 exec_lo, exec_lo, s3
.LBB150_2988:
	s_delay_alu instid0(SALU_CYCLE_1)
	s_or_b32 exec_lo, exec_lo, s1
	s_mov_b32 s1, 0
	global_store_b8 v[4:5], v6, off
.LBB150_2989:
	s_and_b32 vcc_lo, exec_lo, s1
	s_cbranch_vccz .LBB150_2999
; %bb.2990:
	v_cvt_f32_f64_e32 v2, v[0:1]
	s_mov_b32 s1, exec_lo
                                        ; implicit-def: $vgpr3
	s_delay_alu instid0(VALU_DEP_1) | instskip(NEXT) | instid1(VALU_DEP_1)
	v_and_b32_e32 v6, 0x7fffffff, v2
	v_cmpx_gt_u32_e32 0x43f00000, v6
	s_xor_b32 s1, exec_lo, s1
	s_cbranch_execz .LBB150_2996
; %bb.2991:
	s_mov_b32 s2, exec_lo
                                        ; implicit-def: $vgpr3
	v_cmpx_lt_u32_e32 0x3c7fffff, v6
	s_xor_b32 s2, exec_lo, s2
; %bb.2992:
	v_bfe_u32 v3, v2, 20, 1
	s_delay_alu instid0(VALU_DEP_1) | instskip(NEXT) | instid1(VALU_DEP_1)
	v_add3_u32 v3, v2, v3, 0x407ffff
	v_and_b32_e32 v6, 0xff00000, v3
	v_lshrrev_b32_e32 v3, 20, v3
	s_delay_alu instid0(VALU_DEP_2) | instskip(NEXT) | instid1(VALU_DEP_2)
	v_cmp_ne_u32_e32 vcc_lo, 0x7f00000, v6
	v_cndmask_b32_e32 v3, 0x7e, v3, vcc_lo
; %bb.2993:
	s_and_not1_saveexec_b32 s2, s2
; %bb.2994:
	v_add_f32_e64 v3, 0x46800000, |v2|
; %bb.2995:
	s_or_b32 exec_lo, exec_lo, s2
                                        ; implicit-def: $vgpr6
.LBB150_2996:
	s_and_not1_saveexec_b32 s1, s1
; %bb.2997:
	v_mov_b32_e32 v3, 0x7f
	v_cmp_lt_u32_e32 vcc_lo, 0x7f800000, v6
	s_delay_alu instid0(VALU_DEP_2)
	v_cndmask_b32_e32 v3, 0x7e, v3, vcc_lo
; %bb.2998:
	s_or_b32 exec_lo, exec_lo, s1
	v_lshrrev_b32_e32 v2, 24, v2
	s_delay_alu instid0(VALU_DEP_1)
	v_and_or_b32 v2, 0x80, v2, v3
	global_store_b8 v[4:5], v2, off
.LBB150_2999:
	s_mov_b32 s1, 0
.LBB150_3000:
	s_delay_alu instid0(SALU_CYCLE_1)
	s_and_not1_b32 vcc_lo, exec_lo, s1
	s_cbranch_vccnz .LBB150_3010
; %bb.3001:
	s_delay_alu instid0(VALU_DEP_4) | instskip(SKIP_1) | instid1(VALU_DEP_1)
	v_cvt_f32_f64_e32 v2, v[0:1]
	s_mov_b32 s1, exec_lo
                                        ; implicit-def: $vgpr3
	v_and_b32_e32 v6, 0x7fffffff, v2
	s_delay_alu instid0(VALU_DEP_1)
	v_cmpx_gt_u32_e32 0x47800000, v6
	s_xor_b32 s1, exec_lo, s1
	s_cbranch_execz .LBB150_3007
; %bb.3002:
	s_mov_b32 s2, exec_lo
                                        ; implicit-def: $vgpr3
	v_cmpx_lt_u32_e32 0x387fffff, v6
	s_xor_b32 s2, exec_lo, s2
; %bb.3003:
	v_bfe_u32 v3, v2, 21, 1
	s_delay_alu instid0(VALU_DEP_1) | instskip(NEXT) | instid1(VALU_DEP_1)
	v_add3_u32 v3, v2, v3, 0x80fffff
	v_lshrrev_b32_e32 v3, 21, v3
; %bb.3004:
	s_and_not1_saveexec_b32 s2, s2
; %bb.3005:
	v_add_f32_e64 v3, 0x43000000, |v2|
; %bb.3006:
	s_or_b32 exec_lo, exec_lo, s2
                                        ; implicit-def: $vgpr6
.LBB150_3007:
	s_and_not1_saveexec_b32 s1, s1
; %bb.3008:
	v_mov_b32_e32 v3, 0x7f
	v_cmp_lt_u32_e32 vcc_lo, 0x7f800000, v6
	s_delay_alu instid0(VALU_DEP_2)
	v_cndmask_b32_e32 v3, 0x7c, v3, vcc_lo
; %bb.3009:
	s_or_b32 exec_lo, exec_lo, s1
	v_lshrrev_b32_e32 v2, 24, v2
	s_delay_alu instid0(VALU_DEP_1)
	v_and_or_b32 v2, 0x80, v2, v3
	global_store_b8 v[4:5], v2, off
.LBB150_3010:
	s_mov_b32 s1, 0
.LBB150_3011:
	s_delay_alu instid0(SALU_CYCLE_1)
	s_and_not1_b32 vcc_lo, exec_lo, s1
	s_mov_b32 s1, 0
	s_cbranch_vccnz .LBB150_3018
; %bb.3012:
	v_cmp_lt_i16_e32 vcc_lo, 14, v15
	s_mov_b32 s1, -1
	s_cbranch_vccz .LBB150_3016
; %bb.3013:
	v_cmp_eq_u16_e32 vcc_lo, 15, v15
	s_mov_b32 s0, -1
	s_cbranch_vccz .LBB150_3015
; %bb.3014:
	v_cvt_f32_f64_e32 v2, v[0:1]
	s_mov_b32 s0, 0
	s_delay_alu instid0(VALU_DEP_1) | instskip(SKIP_1) | instid1(VALU_DEP_2)
	v_bfe_u32 v3, v2, 16, 1
	v_cmp_o_f32_e32 vcc_lo, v2, v2
	v_add3_u32 v3, v2, v3, 0x7fff
	s_delay_alu instid0(VALU_DEP_1) | instskip(NEXT) | instid1(VALU_DEP_1)
	v_lshrrev_b32_e32 v3, 16, v3
	v_cndmask_b32_e32 v2, 0x7fc0, v3, vcc_lo
	global_store_b16 v[4:5], v2, off
.LBB150_3015:
	s_mov_b32 s1, 0
.LBB150_3016:
	s_delay_alu instid0(SALU_CYCLE_1)
	s_and_b32 vcc_lo, exec_lo, s1
	s_mov_b32 s1, 0
	s_cbranch_vccz .LBB150_3018
; %bb.3017:
	v_cmp_ne_u16_e64 s0, 11, v15
	s_mov_b32 s1, -1
.LBB150_3018:
	s_delay_alu instid0(VALU_DEP_1)
	s_and_b32 vcc_lo, exec_lo, s0
	s_cbranch_vccnz .LBB150_3096
.LBB150_3019:
	s_mov_b32 s0, 0
	s_branch .LBB150_3021
.LBB150_3020:
	s_mov_b32 s0, 0
	s_mov_b32 s1, 0
                                        ; implicit-def: $vgpr15
                                        ; implicit-def: $vgpr4_vgpr5
                                        ; implicit-def: $vgpr0_vgpr1
.LBB150_3021:
	s_and_not1_b32 s2, s18, exec_lo
	s_and_b32 s3, s15, exec_lo
	s_and_b32 s0, s0, exec_lo
	;; [unrolled: 1-line block ×3, first 2 shown]
	s_or_b32 s18, s2, s3
.LBB150_3022:
	s_or_b32 exec_lo, exec_lo, s17
	s_and_saveexec_b32 s1, s18
	s_cbranch_execz .LBB150_3025
; %bb.3023:
	; divergent unreachable
	s_or_b32 exec_lo, exec_lo, s1
	s_and_saveexec_b32 s1, s15
	s_delay_alu instid0(SALU_CYCLE_1)
	s_xor_b32 s1, exec_lo, s1
	s_cbranch_execnz .LBB150_3026
.LBB150_3024:
	s_or_b32 exec_lo, exec_lo, s1
	s_and_saveexec_b32 s1, s0
	s_cbranch_execnz .LBB150_3027
	s_branch .LBB150_3064
.LBB150_3025:
	s_or_b32 exec_lo, exec_lo, s1
	s_and_saveexec_b32 s1, s15
	s_delay_alu instid0(SALU_CYCLE_1)
	s_xor_b32 s1, exec_lo, s1
	s_cbranch_execz .LBB150_3024
.LBB150_3026:
	s_waitcnt vmcnt(0)
	s_delay_alu instid0(VALU_DEP_1)
	v_cmp_neq_f64_e32 vcc_lo, 0, v[0:1]
	v_cndmask_b32_e64 v2, 0, 1, vcc_lo
	global_store_b8 v[4:5], v2, off
	s_or_b32 exec_lo, exec_lo, s1
	s_and_saveexec_b32 s1, s0
	s_cbranch_execz .LBB150_3064
.LBB150_3027:
	v_cmp_gt_i16_e32 vcc_lo, 5, v15
	s_mov_b32 s0, -1
	s_cbranch_vccnz .LBB150_3048
; %bb.3028:
	v_cmp_gt_i16_e32 vcc_lo, 8, v15
	s_cbranch_vccnz .LBB150_3038
; %bb.3029:
	v_cmp_gt_i16_e32 vcc_lo, 9, v15
	s_cbranch_vccnz .LBB150_3035
; %bb.3030:
	v_cmp_lt_i16_e32 vcc_lo, 9, v15
	s_cbranch_vccz .LBB150_3032
; %bb.3031:
	s_waitcnt vmcnt(0)
	v_mov_b32_e32 v2, 0
	s_mov_b32 s0, 0
	s_delay_alu instid0(VALU_DEP_1)
	v_mov_b32_e32 v3, v2
	global_store_b128 v[4:5], v[0:3], off
.LBB150_3032:
	s_and_not1_b32 vcc_lo, exec_lo, s0
	s_cbranch_vccnz .LBB150_3034
; %bb.3033:
	s_waitcnt vmcnt(0)
	v_cvt_f32_f64_e32 v2, v[0:1]
	v_mov_b32_e32 v3, 0
	global_store_b64 v[4:5], v[2:3], off
.LBB150_3034:
	s_mov_b32 s0, 0
.LBB150_3035:
	s_delay_alu instid0(SALU_CYCLE_1)
	s_and_not1_b32 vcc_lo, exec_lo, s0
	s_cbranch_vccnz .LBB150_3037
; %bb.3036:
	s_waitcnt vmcnt(0)
	s_delay_alu instid0(VALU_DEP_4) | instskip(NEXT) | instid1(VALU_DEP_1)
	v_cvt_f32_f64_e32 v2, v[0:1]
	v_cvt_f16_f32_e32 v2, v2
	s_delay_alu instid0(VALU_DEP_1)
	v_and_b32_e32 v2, 0xffff, v2
	global_store_b32 v[4:5], v2, off
.LBB150_3037:
	s_mov_b32 s0, 0
.LBB150_3038:
	s_delay_alu instid0(SALU_CYCLE_1)
	s_and_not1_b32 vcc_lo, exec_lo, s0
	s_cbranch_vccnz .LBB150_3047
; %bb.3039:
	v_cmp_gt_i16_e32 vcc_lo, 6, v15
	s_mov_b32 s0, -1
	s_cbranch_vccnz .LBB150_3045
; %bb.3040:
	v_cmp_lt_i16_e32 vcc_lo, 6, v15
	s_cbranch_vccz .LBB150_3042
; %bb.3041:
	s_mov_b32 s0, 0
	s_waitcnt vmcnt(0)
	global_store_b64 v[4:5], v[0:1], off
.LBB150_3042:
	s_and_not1_b32 vcc_lo, exec_lo, s0
	s_cbranch_vccnz .LBB150_3044
; %bb.3043:
	s_waitcnt vmcnt(0)
	v_cvt_f32_f64_e32 v2, v[0:1]
	global_store_b32 v[4:5], v2, off
.LBB150_3044:
	s_mov_b32 s0, 0
.LBB150_3045:
	s_delay_alu instid0(SALU_CYCLE_1)
	s_and_not1_b32 vcc_lo, exec_lo, s0
	s_cbranch_vccnz .LBB150_3047
; %bb.3046:
	s_waitcnt vmcnt(0)
	s_delay_alu instid0(VALU_DEP_4) | instskip(NEXT) | instid1(VALU_DEP_1)
	v_cvt_f32_f64_e32 v2, v[0:1]
	v_cvt_f16_f32_e32 v2, v2
	global_store_b16 v[4:5], v2, off
.LBB150_3047:
	s_mov_b32 s0, 0
.LBB150_3048:
	s_delay_alu instid0(SALU_CYCLE_1)
	s_and_not1_b32 vcc_lo, exec_lo, s0
	s_cbranch_vccnz .LBB150_3064
; %bb.3049:
	v_cmp_gt_i16_e32 vcc_lo, 2, v15
	s_mov_b32 s0, -1
	s_cbranch_vccnz .LBB150_3059
; %bb.3050:
	v_cmp_gt_i16_e32 vcc_lo, 3, v15
	s_cbranch_vccnz .LBB150_3056
; %bb.3051:
	v_cmp_lt_i16_e32 vcc_lo, 3, v15
	s_cbranch_vccz .LBB150_3053
; %bb.3052:
	s_waitcnt vmcnt(0)
	v_trunc_f64_e32 v[2:3], v[0:1]
	s_mov_b32 s0, 0
	s_delay_alu instid0(VALU_DEP_1) | instskip(NEXT) | instid1(VALU_DEP_1)
	v_ldexp_f64 v[6:7], v[2:3], 0xffffffe0
	v_floor_f64_e32 v[6:7], v[6:7]
	s_delay_alu instid0(VALU_DEP_1) | instskip(SKIP_1) | instid1(VALU_DEP_2)
	v_fma_f64 v[2:3], 0xc1f00000, v[6:7], v[2:3]
	v_cvt_i32_f64_e32 v7, v[6:7]
	v_cvt_u32_f64_e32 v6, v[2:3]
	global_store_b64 v[4:5], v[6:7], off
.LBB150_3053:
	s_and_not1_b32 vcc_lo, exec_lo, s0
	s_cbranch_vccnz .LBB150_3055
; %bb.3054:
	s_waitcnt vmcnt(0)
	v_cvt_i32_f64_e32 v2, v[0:1]
	global_store_b32 v[4:5], v2, off
.LBB150_3055:
	s_mov_b32 s0, 0
.LBB150_3056:
	s_delay_alu instid0(SALU_CYCLE_1)
	s_and_not1_b32 vcc_lo, exec_lo, s0
	s_cbranch_vccnz .LBB150_3058
; %bb.3057:
	s_waitcnt vmcnt(0)
	s_delay_alu instid0(VALU_DEP_4)
	v_cvt_i32_f64_e32 v2, v[0:1]
	global_store_b16 v[4:5], v2, off
.LBB150_3058:
	s_mov_b32 s0, 0
.LBB150_3059:
	s_delay_alu instid0(SALU_CYCLE_1)
	s_and_not1_b32 vcc_lo, exec_lo, s0
	s_cbranch_vccnz .LBB150_3064
; %bb.3060:
	v_cmp_lt_i16_e32 vcc_lo, 0, v15
	s_mov_b32 s0, -1
	s_cbranch_vccz .LBB150_3062
; %bb.3061:
	s_waitcnt vmcnt(0)
	s_delay_alu instid0(VALU_DEP_4)
	v_cvt_i32_f64_e32 v2, v[0:1]
	s_mov_b32 s0, 0
	global_store_b8 v[4:5], v2, off
.LBB150_3062:
	s_and_not1_b32 vcc_lo, exec_lo, s0
	s_cbranch_vccnz .LBB150_3064
; %bb.3063:
	s_waitcnt vmcnt(0)
	s_delay_alu instid0(VALU_DEP_4) | instskip(NEXT) | instid1(VALU_DEP_1)
	v_trunc_f64_e32 v[0:1], v[0:1]
	v_ldexp_f64 v[2:3], v[0:1], 0xffffffe0
	s_delay_alu instid0(VALU_DEP_1) | instskip(NEXT) | instid1(VALU_DEP_1)
	v_floor_f64_e32 v[2:3], v[2:3]
	v_fma_f64 v[0:1], 0xc1f00000, v[2:3], v[0:1]
	s_delay_alu instid0(VALU_DEP_1)
	v_cvt_u32_f64_e32 v0, v[0:1]
	global_store_b8 v[4:5], v0, off
	s_nop 0
	s_sendmsg sendmsg(MSG_DEALLOC_VGPRS)
	s_endpgm
.LBB150_3064:
	s_nop 0
	s_sendmsg sendmsg(MSG_DEALLOC_VGPRS)
	s_endpgm
.LBB150_3065:
	s_mov_b32 s1, 0
	s_mov_b32 s0, -1
	s_branch .LBB150_3021
.LBB150_3066:
	s_cbranch_execnz .LBB150_3070
; %bb.3067:
	s_or_b32 s15, s15, exec_lo
                                        ; implicit-def: $vgpr12
	s_cbranch_execz .LBB150_2535
	s_branch .LBB150_2536
.LBB150_3068:
	s_or_saveexec_b32 s9, s9
                                        ; implicit-def: $sgpr10
	s_delay_alu instid0(SALU_CYCLE_1)
	s_xor_b32 exec_lo, exec_lo, s9
	s_cbranch_execz .LBB150_2615
.LBB150_3069:
	v_add_f32_e64 v3, 0x46000000, |v2|
	s_and_not1_b32 s7, s7, exec_lo
	s_mov_b32 s10, 0
	s_delay_alu instid0(VALU_DEP_1) | instskip(NEXT) | instid1(VALU_DEP_1)
	v_and_b32_e32 v3, 0xff, v3
	v_cmp_ne_u32_e32 vcc_lo, 0, v3
	s_and_b32 s11, vcc_lo, exec_lo
	s_delay_alu instid0(SALU_CYCLE_1)
	s_or_b32 s7, s7, s11
	s_or_b32 exec_lo, exec_lo, s9
	v_mov_b32_e32 v17, s10
	s_and_saveexec_b32 s9, s7
	s_cbranch_execnz .LBB150_2616
	s_branch .LBB150_2617
.LBB150_3070:
	s_trap 2
	s_sendmsg_rtn_b32 s0, sendmsg(MSG_RTN_GET_DOORBELL)
	s_mov_b32 ttmp2, m0
	s_waitcnt lgkmcnt(0)
	s_and_b32 s0, s0, 0x3ff
	s_delay_alu instid0(SALU_CYCLE_1) | instskip(NEXT) | instid1(SALU_CYCLE_1)
	s_bitset1_b32 s0, 10
	s_mov_b32 m0, s0
	s_sendmsg sendmsg(MSG_INTERRUPT)
	s_mov_b32 m0, ttmp2
.LBB150_3071:                           ; =>This Inner Loop Header: Depth=1
	s_sethalt 5
	s_branch .LBB150_3071
.LBB150_3072:
	s_cbranch_execnz .LBB150_3078
; %bb.3073:
	s_or_b32 s15, s15, exec_lo
	s_cbranch_execz .LBB150_2663
	s_branch .LBB150_2664
.LBB150_3074:
	s_or_saveexec_b32 s7, s7
                                        ; implicit-def: $sgpr9
	s_delay_alu instid0(SALU_CYCLE_1)
	s_xor_b32 exec_lo, exec_lo, s7
	s_cbranch_execz .LBB150_2628
.LBB150_3075:
	v_add_f32_e64 v3, 0x42800000, |v2|
	s_and_not1_b32 s6, s6, exec_lo
	s_mov_b32 s9, 0
	s_delay_alu instid0(VALU_DEP_1) | instskip(NEXT) | instid1(VALU_DEP_1)
	v_and_b32_e32 v3, 0xff, v3
	v_cmp_ne_u32_e32 vcc_lo, 0, v3
	s_and_b32 s10, vcc_lo, exec_lo
	s_delay_alu instid0(SALU_CYCLE_1)
	s_or_b32 s6, s6, s10
	s_or_b32 exec_lo, exec_lo, s7
	v_mov_b32_e32 v17, s9
	s_and_saveexec_b32 s7, s6
	s_cbranch_execnz .LBB150_2629
	s_branch .LBB150_2630
.LBB150_3076:
	s_or_saveexec_b32 s9, s9
                                        ; implicit-def: $sgpr10
	s_delay_alu instid0(SALU_CYCLE_1)
	s_xor_b32 exec_lo, exec_lo, s9
	s_cbranch_execz .LBB150_2734
.LBB150_3077:
	v_add_f32_e64 v3, 0x46000000, |v2|
	s_and_not1_b32 s8, s8, exec_lo
	s_mov_b32 s10, 0
	s_delay_alu instid0(VALU_DEP_1) | instskip(NEXT) | instid1(VALU_DEP_1)
	v_and_b32_e32 v3, 0xff, v3
	v_cmp_ne_u32_e32 vcc_lo, 0, v3
	s_and_b32 s11, vcc_lo, exec_lo
	s_delay_alu instid0(SALU_CYCLE_1)
	s_or_b32 s8, s8, s11
	s_or_b32 exec_lo, exec_lo, s9
	v_mov_b32_e32 v13, s10
	s_and_saveexec_b32 s9, s8
	s_cbranch_execnz .LBB150_2735
	s_branch .LBB150_2736
.LBB150_3078:
	s_trap 2
	s_sendmsg_rtn_b32 s0, sendmsg(MSG_RTN_GET_DOORBELL)
	s_mov_b32 ttmp2, m0
	s_waitcnt lgkmcnt(0)
	s_and_b32 s0, s0, 0x3ff
	s_delay_alu instid0(SALU_CYCLE_1) | instskip(NEXT) | instid1(SALU_CYCLE_1)
	s_bitset1_b32 s0, 10
	s_mov_b32 m0, s0
	s_sendmsg sendmsg(MSG_INTERRUPT)
	s_mov_b32 m0, ttmp2
.LBB150_3079:                           ; =>This Inner Loop Header: Depth=1
	s_sethalt 5
	s_branch .LBB150_3079
.LBB150_3080:
	s_cbranch_execnz .LBB150_3086
; %bb.3081:
	s_or_b32 s15, s15, exec_lo
	s_cbranch_execz .LBB150_2782
	s_branch .LBB150_2783
.LBB150_3082:
	s_or_saveexec_b32 s8, s8
                                        ; implicit-def: $sgpr9
	s_delay_alu instid0(SALU_CYCLE_1)
	s_xor_b32 exec_lo, exec_lo, s8
	s_cbranch_execz .LBB150_2747
.LBB150_3083:
	v_add_f32_e64 v3, 0x42800000, |v2|
	s_and_not1_b32 s7, s7, exec_lo
	s_mov_b32 s9, 0
	s_delay_alu instid0(VALU_DEP_1) | instskip(NEXT) | instid1(VALU_DEP_1)
	v_and_b32_e32 v3, 0xff, v3
	v_cmp_ne_u32_e32 vcc_lo, 0, v3
	s_and_b32 s10, vcc_lo, exec_lo
	s_delay_alu instid0(SALU_CYCLE_1)
	s_or_b32 s7, s7, s10
	s_or_b32 exec_lo, exec_lo, s8
	v_mov_b32_e32 v13, s9
	s_and_saveexec_b32 s8, s7
	s_cbranch_execnz .LBB150_2748
	s_branch .LBB150_2749
.LBB150_3084:
	s_or_saveexec_b32 s9, s9
                                        ; implicit-def: $sgpr10
	s_delay_alu instid0(SALU_CYCLE_1)
	s_xor_b32 exec_lo, exec_lo, s9
	s_cbranch_execz .LBB150_2853
.LBB150_3085:
	v_add_f32_e64 v3, 0x46000000, |v2|
	s_and_not1_b32 s8, s8, exec_lo
	s_mov_b32 s10, 0
	s_delay_alu instid0(VALU_DEP_1) | instskip(NEXT) | instid1(VALU_DEP_1)
	v_and_b32_e32 v3, 0xff, v3
	v_cmp_ne_u32_e32 vcc_lo, 0, v3
	s_and_b32 s11, vcc_lo, exec_lo
	s_delay_alu instid0(SALU_CYCLE_1)
	s_or_b32 s8, s8, s11
	s_or_b32 exec_lo, exec_lo, s9
	v_mov_b32_e32 v7, s10
	s_and_saveexec_b32 s9, s8
	s_cbranch_execnz .LBB150_2854
	s_branch .LBB150_2855
.LBB150_3086:
	s_trap 2
	s_sendmsg_rtn_b32 s0, sendmsg(MSG_RTN_GET_DOORBELL)
	s_mov_b32 ttmp2, m0
	s_waitcnt lgkmcnt(0)
	s_and_b32 s0, s0, 0x3ff
	s_delay_alu instid0(SALU_CYCLE_1) | instskip(NEXT) | instid1(SALU_CYCLE_1)
	s_bitset1_b32 s0, 10
	s_mov_b32 m0, s0
	s_sendmsg sendmsg(MSG_INTERRUPT)
	s_mov_b32 m0, ttmp2
.LBB150_3087:                           ; =>This Inner Loop Header: Depth=1
	s_sethalt 5
	s_branch .LBB150_3087
.LBB150_3088:
	s_cbranch_execnz .LBB150_3094
; %bb.3089:
	s_or_b32 s15, s15, exec_lo
	s_cbranch_execz .LBB150_2901
	s_branch .LBB150_2902
.LBB150_3090:
	s_or_saveexec_b32 s8, s8
                                        ; implicit-def: $sgpr9
	s_delay_alu instid0(SALU_CYCLE_1)
	s_xor_b32 exec_lo, exec_lo, s8
	s_cbranch_execz .LBB150_2866
.LBB150_3091:
	v_add_f32_e64 v3, 0x42800000, |v2|
	s_and_not1_b32 s7, s7, exec_lo
	s_mov_b32 s9, 0
	s_delay_alu instid0(VALU_DEP_1) | instskip(NEXT) | instid1(VALU_DEP_1)
	v_and_b32_e32 v3, 0xff, v3
	v_cmp_ne_u32_e32 vcc_lo, 0, v3
	s_and_b32 s10, vcc_lo, exec_lo
	s_delay_alu instid0(SALU_CYCLE_1)
	s_or_b32 s7, s7, s10
	s_or_b32 exec_lo, exec_lo, s8
	v_mov_b32_e32 v7, s9
	s_and_saveexec_b32 s8, s7
	s_cbranch_execnz .LBB150_2867
	s_branch .LBB150_2868
.LBB150_3092:
	s_or_saveexec_b32 s4, s4
                                        ; implicit-def: $sgpr5
	s_delay_alu instid0(SALU_CYCLE_1)
	s_xor_b32 exec_lo, exec_lo, s4
	s_cbranch_execz .LBB150_2973
.LBB150_3093:
	v_add_f32_e64 v3, 0x46000000, |v2|
	s_and_not1_b32 s3, s3, exec_lo
	s_mov_b32 s5, 0
	s_delay_alu instid0(VALU_DEP_1) | instskip(NEXT) | instid1(VALU_DEP_1)
	v_and_b32_e32 v3, 0xff, v3
	v_cmp_ne_u32_e32 vcc_lo, 0, v3
	s_and_b32 s6, vcc_lo, exec_lo
	s_delay_alu instid0(SALU_CYCLE_1)
	s_or_b32 s3, s3, s6
	s_or_b32 exec_lo, exec_lo, s4
	v_mov_b32_e32 v6, s5
	s_and_saveexec_b32 s4, s3
	s_cbranch_execnz .LBB150_2974
	s_branch .LBB150_2975
.LBB150_3094:
	s_trap 2
	s_sendmsg_rtn_b32 s0, sendmsg(MSG_RTN_GET_DOORBELL)
	s_mov_b32 ttmp2, m0
	s_waitcnt lgkmcnt(0)
	s_and_b32 s0, s0, 0x3ff
	s_delay_alu instid0(SALU_CYCLE_1) | instskip(NEXT) | instid1(SALU_CYCLE_1)
	s_bitset1_b32 s0, 10
	s_mov_b32 m0, s0
	s_sendmsg sendmsg(MSG_INTERRUPT)
	s_mov_b32 m0, ttmp2
.LBB150_3095:                           ; =>This Inner Loop Header: Depth=1
	s_sethalt 5
	s_branch .LBB150_3095
.LBB150_3096:
	s_cbranch_execnz .LBB150_3100
; %bb.3097:
	s_mov_b32 s1, 0
	s_or_b32 s15, s15, exec_lo
	s_branch .LBB150_3019
.LBB150_3098:
	s_or_saveexec_b32 s3, s3
                                        ; implicit-def: $sgpr4
	s_delay_alu instid0(SALU_CYCLE_1)
	s_xor_b32 exec_lo, exec_lo, s3
	s_cbranch_execz .LBB150_2985
.LBB150_3099:
	v_add_f32_e64 v3, 0x42800000, |v2|
	s_and_not1_b32 s2, s2, exec_lo
	s_mov_b32 s4, 0
	s_delay_alu instid0(VALU_DEP_1) | instskip(NEXT) | instid1(VALU_DEP_1)
	v_and_b32_e32 v3, 0xff, v3
	v_cmp_ne_u32_e32 vcc_lo, 0, v3
	s_and_b32 s5, vcc_lo, exec_lo
	s_delay_alu instid0(SALU_CYCLE_1)
	s_or_b32 s2, s2, s5
	s_or_b32 exec_lo, exec_lo, s3
	v_mov_b32_e32 v6, s4
	s_and_saveexec_b32 s3, s2
	s_cbranch_execnz .LBB150_2986
	s_branch .LBB150_2987
.LBB150_3100:
	s_trap 2
	s_sendmsg_rtn_b32 s0, sendmsg(MSG_RTN_GET_DOORBELL)
	s_mov_b32 ttmp2, m0
	s_waitcnt lgkmcnt(0)
	s_and_b32 s0, s0, 0x3ff
	s_delay_alu instid0(SALU_CYCLE_1) | instskip(NEXT) | instid1(SALU_CYCLE_1)
	s_bitset1_b32 s0, 10
	s_mov_b32 m0, s0
	s_sendmsg sendmsg(MSG_INTERRUPT)
	s_mov_b32 m0, ttmp2
.LBB150_3101:                           ; =>This Inner Loop Header: Depth=1
	s_sethalt 5
	s_branch .LBB150_3101
	.section	.rodata,"a",@progbits
	.p2align	6, 0x0
	.amdhsa_kernel _ZN2at6native32elementwise_kernel_manual_unrollILi128ELi4EZNS0_15gpu_kernel_implIZNS0_12_GLOBAL__N_119masked_scale_kernelIhddEEvRNS_6TensorERKS5_S8_T1_EUldhE_EEvRNS_18TensorIteratorBaseERKT_EUlibE_EEviS9_
		.amdhsa_group_segment_fixed_size 0
		.amdhsa_private_segment_fixed_size 0
		.amdhsa_kernarg_size 64
		.amdhsa_user_sgpr_count 15
		.amdhsa_user_sgpr_dispatch_ptr 0
		.amdhsa_user_sgpr_queue_ptr 0
		.amdhsa_user_sgpr_kernarg_segment_ptr 1
		.amdhsa_user_sgpr_dispatch_id 0
		.amdhsa_user_sgpr_private_segment_size 0
		.amdhsa_wavefront_size32 1
		.amdhsa_uses_dynamic_stack 0
		.amdhsa_enable_private_segment 0
		.amdhsa_system_sgpr_workgroup_id_x 1
		.amdhsa_system_sgpr_workgroup_id_y 0
		.amdhsa_system_sgpr_workgroup_id_z 0
		.amdhsa_system_sgpr_workgroup_info 0
		.amdhsa_system_vgpr_workitem_id 0
		.amdhsa_next_free_vgpr 20
		.amdhsa_next_free_sgpr 37
		.amdhsa_reserve_vcc 1
		.amdhsa_float_round_mode_32 0
		.amdhsa_float_round_mode_16_64 0
		.amdhsa_float_denorm_mode_32 3
		.amdhsa_float_denorm_mode_16_64 3
		.amdhsa_dx10_clamp 1
		.amdhsa_ieee_mode 1
		.amdhsa_fp16_overflow 0
		.amdhsa_workgroup_processor_mode 1
		.amdhsa_memory_ordered 1
		.amdhsa_forward_progress 0
		.amdhsa_shared_vgpr_count 0
		.amdhsa_exception_fp_ieee_invalid_op 0
		.amdhsa_exception_fp_denorm_src 0
		.amdhsa_exception_fp_ieee_div_zero 0
		.amdhsa_exception_fp_ieee_overflow 0
		.amdhsa_exception_fp_ieee_underflow 0
		.amdhsa_exception_fp_ieee_inexact 0
		.amdhsa_exception_int_div_zero 0
	.end_amdhsa_kernel
	.section	.text._ZN2at6native32elementwise_kernel_manual_unrollILi128ELi4EZNS0_15gpu_kernel_implIZNS0_12_GLOBAL__N_119masked_scale_kernelIhddEEvRNS_6TensorERKS5_S8_T1_EUldhE_EEvRNS_18TensorIteratorBaseERKT_EUlibE_EEviS9_,"axG",@progbits,_ZN2at6native32elementwise_kernel_manual_unrollILi128ELi4EZNS0_15gpu_kernel_implIZNS0_12_GLOBAL__N_119masked_scale_kernelIhddEEvRNS_6TensorERKS5_S8_T1_EUldhE_EEvRNS_18TensorIteratorBaseERKT_EUlibE_EEviS9_,comdat
.Lfunc_end150:
	.size	_ZN2at6native32elementwise_kernel_manual_unrollILi128ELi4EZNS0_15gpu_kernel_implIZNS0_12_GLOBAL__N_119masked_scale_kernelIhddEEvRNS_6TensorERKS5_S8_T1_EUldhE_EEvRNS_18TensorIteratorBaseERKT_EUlibE_EEviS9_, .Lfunc_end150-_ZN2at6native32elementwise_kernel_manual_unrollILi128ELi4EZNS0_15gpu_kernel_implIZNS0_12_GLOBAL__N_119masked_scale_kernelIhddEEvRNS_6TensorERKS5_S8_T1_EUldhE_EEvRNS_18TensorIteratorBaseERKT_EUlibE_EEviS9_
                                        ; -- End function
	.section	.AMDGPU.csdata,"",@progbits
; Kernel info:
; codeLenInByte = 56724
; NumSgprs: 39
; NumVgprs: 20
; ScratchSize: 0
; MemoryBound: 1
; FloatMode: 240
; IeeeMode: 1
; LDSByteSize: 0 bytes/workgroup (compile time only)
; SGPRBlocks: 4
; VGPRBlocks: 2
; NumSGPRsForWavesPerEU: 39
; NumVGPRsForWavesPerEU: 20
; Occupancy: 16
; WaveLimiterHint : 0
; COMPUTE_PGM_RSRC2:SCRATCH_EN: 0
; COMPUTE_PGM_RSRC2:USER_SGPR: 15
; COMPUTE_PGM_RSRC2:TRAP_HANDLER: 0
; COMPUTE_PGM_RSRC2:TGID_X_EN: 1
; COMPUTE_PGM_RSRC2:TGID_Y_EN: 0
; COMPUTE_PGM_RSRC2:TGID_Z_EN: 0
; COMPUTE_PGM_RSRC2:TIDIG_COMP_CNT: 0
	.section	.text._ZN2at6native32elementwise_kernel_manual_unrollILi128ELi4EZNS0_15gpu_kernel_implIZNS0_12_GLOBAL__N_119masked_scale_kernelIhddEEvRNS_6TensorERKS5_S8_T1_EUldhE_EEvRNS_18TensorIteratorBaseERKT_EUlibE0_EEviS9_,"axG",@progbits,_ZN2at6native32elementwise_kernel_manual_unrollILi128ELi4EZNS0_15gpu_kernel_implIZNS0_12_GLOBAL__N_119masked_scale_kernelIhddEEvRNS_6TensorERKS5_S8_T1_EUldhE_EEvRNS_18TensorIteratorBaseERKT_EUlibE0_EEviS9_,comdat
	.globl	_ZN2at6native32elementwise_kernel_manual_unrollILi128ELi4EZNS0_15gpu_kernel_implIZNS0_12_GLOBAL__N_119masked_scale_kernelIhddEEvRNS_6TensorERKS5_S8_T1_EUldhE_EEvRNS_18TensorIteratorBaseERKT_EUlibE0_EEviS9_ ; -- Begin function _ZN2at6native32elementwise_kernel_manual_unrollILi128ELi4EZNS0_15gpu_kernel_implIZNS0_12_GLOBAL__N_119masked_scale_kernelIhddEEvRNS_6TensorERKS5_S8_T1_EUldhE_EEvRNS_18TensorIteratorBaseERKT_EUlibE0_EEviS9_
	.p2align	8
	.type	_ZN2at6native32elementwise_kernel_manual_unrollILi128ELi4EZNS0_15gpu_kernel_implIZNS0_12_GLOBAL__N_119masked_scale_kernelIhddEEvRNS_6TensorERKS5_S8_T1_EUldhE_EEvRNS_18TensorIteratorBaseERKT_EUlibE0_EEviS9_,@function
_ZN2at6native32elementwise_kernel_manual_unrollILi128ELi4EZNS0_15gpu_kernel_implIZNS0_12_GLOBAL__N_119masked_scale_kernelIhddEEvRNS_6TensorERKS5_S8_T1_EUldhE_EEvRNS_18TensorIteratorBaseERKT_EUlibE0_EEviS9_: ; @_ZN2at6native32elementwise_kernel_manual_unrollILi128ELi4EZNS0_15gpu_kernel_implIZNS0_12_GLOBAL__N_119masked_scale_kernelIhddEEvRNS_6TensorERKS5_S8_T1_EUldhE_EEvRNS_18TensorIteratorBaseERKT_EUlibE0_EEviS9_
; %bb.0:
	s_clause 0x1
	s_load_b32 s26, s[0:1], 0x8
	s_load_b32 s37, s[0:1], 0x0
	v_lshl_or_b32 v8, s15, 9, v0
	s_or_b32 s20, s0, 8
	s_mov_b32 s2, -1
	s_mov_b32 s28, 0
	s_mov_b32 s21, s1
	v_or_b32_e32 v12, 0x180, v8
	s_mov_b32 s8, 0
	s_mov_b32 s3, exec_lo
	s_waitcnt lgkmcnt(0)
	s_add_i32 s27, s26, -1
	s_delay_alu instid0(SALU_CYCLE_1)
	s_cmp_gt_u32 s27, 1
	s_cselect_b32 s29, -1, 0
	v_cmpx_le_i32_e64 s37, v12
	s_xor_b32 s30, exec_lo, s3
	s_cbranch_execz .LBB151_1566
; %bb.1:
	s_clause 0x5
	s_load_b32 s31, s[20:21], 0x1a8
	s_load_b128 s[16:19], s[20:21], 0x4
	s_load_b64 s[24:25], s[20:21], 0x14
	s_load_b128 s[12:15], s[20:21], 0xc4
	s_load_b64 s[22:23], s[20:21], 0xd4
	s_load_b256 s[4:11], s[20:21], 0x188
	s_cmp_lg_u32 s26, 0
	s_mov_b32 s43, 0
	s_cselect_b32 s38, -1, 0
	s_min_u32 s36, s27, 15
	s_cmp_gt_u32 s26, 1
	s_mov_b32 s41, 0
	s_mov_b32 s40, 0
	s_cselect_b32 s35, -1, 0
	s_mov_b32 s39, 0
	s_mov_b32 s42, exec_lo
	s_waitcnt lgkmcnt(0)
	s_lshr_b32 s34, s31, 8
	s_lshr_b32 s33, s31, 16
	v_cmpx_gt_i32_e64 s37, v8
	s_cbranch_execz .LBB151_385
; %bb.2:
	s_and_not1_b32 vcc_lo, exec_lo, s29
	s_cbranch_vccnz .LBB151_8
; %bb.3:
	v_dual_mov_b32 v2, 0 :: v_dual_mov_b32 v3, 0
	v_mov_b32_e32 v0, 0
	s_and_not1_b32 vcc_lo, exec_lo, s38
	s_cbranch_vccnz .LBB151_9
; %bb.4:
	s_add_i32 s2, s36, 1
	v_dual_mov_b32 v3, 0 :: v_dual_mov_b32 v0, 0
	v_dual_mov_b32 v2, 0 :: v_dual_mov_b32 v1, v8
	s_and_b32 s40, s2, 30
	s_add_u32 s2, s20, 0xffffffec
	s_addc_u32 s3, s21, -1
	s_set_inst_prefetch_distance 0x1
	.p2align	6
.LBB151_5:                              ; =>This Inner Loop Header: Depth=1
	s_clause 0x2
	s_load_b128 s[44:47], s[2:3], 0x18
	s_load_b64 s[52:53], s[2:3], 0x28
	s_load_b128 s[48:51], s[2:3], 0xd8
	s_waitcnt lgkmcnt(0)
	v_mul_hi_u32 v4, s45, v1
	s_delay_alu instid0(VALU_DEP_1) | instskip(NEXT) | instid1(VALU_DEP_1)
	v_add_nc_u32_e32 v4, v1, v4
	v_lshrrev_b32_e32 v4, s46, v4
	s_delay_alu instid0(VALU_DEP_1)
	v_mul_hi_u32 v5, s52, v4
	v_mul_lo_u32 v6, v4, s44
	s_load_b64 s[44:45], s[2:3], 0xe8
	s_add_u32 s2, s2, 24
	s_addc_u32 s3, s3, 0
	s_add_i32 s40, s40, -2
	s_delay_alu instid0(SALU_CYCLE_1) | instskip(NEXT) | instid1(VALU_DEP_2)
	s_cmp_lg_u32 s40, 0
	v_add_nc_u32_e32 v5, v4, v5
	s_delay_alu instid0(VALU_DEP_2) | instskip(NEXT) | instid1(VALU_DEP_2)
	v_sub_nc_u32_e32 v6, v1, v6
	v_lshrrev_b32_e32 v1, s53, v5
	s_delay_alu instid0(VALU_DEP_2) | instskip(NEXT) | instid1(VALU_DEP_2)
	v_mul_lo_u32 v7, v6, s48
	v_mul_lo_u32 v5, v1, s47
	s_delay_alu instid0(VALU_DEP_1) | instskip(SKIP_2) | instid1(VALU_DEP_3)
	v_sub_nc_u32_e32 v4, v4, v5
	v_mul_lo_u32 v5, v6, s49
	v_mul_lo_u32 v6, v6, s50
	;; [unrolled: 1-line block ×3, first 2 shown]
	s_waitcnt lgkmcnt(0)
	v_mul_lo_u32 v10, v4, s44
	v_mul_lo_u32 v4, v4, s45
	s_delay_alu instid0(VALU_DEP_3) | instskip(NEXT) | instid1(VALU_DEP_3)
	v_add3_u32 v2, v7, v2, v9
	v_add3_u32 v0, v5, v0, v10
	s_delay_alu instid0(VALU_DEP_3)
	v_add3_u32 v3, v6, v3, v4
	s_cbranch_scc1 .LBB151_5
; %bb.6:
	s_set_inst_prefetch_distance 0x2
	s_bitcmp1_b32 s36, 0
	s_cselect_b32 s40, -1, 0
	s_delay_alu instid0(SALU_CYCLE_1)
	s_and_b32 vcc_lo, exec_lo, s40
	s_cbranch_vccnz .LBB151_9
; %bb.7:
	s_clause 0x3
	s_load_b64 s[40:41], s[2:3], 0x18
	s_load_b32 s46, s[2:3], 0x20
	s_load_b64 s[44:45], s[2:3], 0xd8
	s_load_b32 s2, s[2:3], 0xe0
	s_waitcnt lgkmcnt(0)
	v_mul_hi_u32 v4, s41, v1
	s_delay_alu instid0(VALU_DEP_1) | instskip(NEXT) | instid1(VALU_DEP_1)
	v_add_nc_u32_e32 v4, v1, v4
	v_lshrrev_b32_e32 v4, s46, v4
	s_delay_alu instid0(VALU_DEP_1) | instskip(NEXT) | instid1(VALU_DEP_1)
	v_mul_lo_u32 v4, v4, s40
	v_sub_nc_u32_e32 v7, v1, v4
	s_delay_alu instid0(VALU_DEP_1) | instskip(SKIP_1) | instid1(VALU_DEP_2)
	v_mad_u64_u32 v[4:5], null, v7, s44, v[2:3]
	v_mad_u64_u32 v[1:2], null, v7, s45, v[0:1]
	;; [unrolled: 1-line block ×3, first 2 shown]
	v_mov_b32_e32 v2, v4
	s_delay_alu instid0(VALU_DEP_3) | instskip(NEXT) | instid1(VALU_DEP_3)
	v_mov_b32_e32 v0, v1
	v_mov_b32_e32 v3, v5
	s_branch .LBB151_9
.LBB151_8:
	s_mov_b32 s39, -1
                                        ; implicit-def: $vgpr2
                                        ; implicit-def: $vgpr0
                                        ; implicit-def: $vgpr3
.LBB151_9:
	s_delay_alu instid0(SALU_CYCLE_1)
	s_and_not1_b32 vcc_lo, exec_lo, s39
	s_cbranch_vccnz .LBB151_12
; %bb.10:
	v_mul_hi_u32 v0, s17, v8
	s_and_not1_b32 vcc_lo, exec_lo, s35
	s_delay_alu instid0(VALU_DEP_1) | instskip(NEXT) | instid1(VALU_DEP_1)
	v_add_nc_u32_e32 v0, v8, v0
	v_lshrrev_b32_e32 v1, s18, v0
	s_delay_alu instid0(VALU_DEP_1) | instskip(NEXT) | instid1(VALU_DEP_1)
	v_mul_lo_u32 v0, v1, s16
	v_sub_nc_u32_e32 v3, v8, v0
	s_delay_alu instid0(VALU_DEP_1)
	v_mul_lo_u32 v2, v3, s12
	v_mul_lo_u32 v0, v3, s13
	;; [unrolled: 1-line block ×3, first 2 shown]
	s_cbranch_vccnz .LBB151_12
; %bb.11:
	v_mul_hi_u32 v4, s24, v1
	s_delay_alu instid0(VALU_DEP_1) | instskip(NEXT) | instid1(VALU_DEP_1)
	v_add_nc_u32_e32 v4, v1, v4
	v_lshrrev_b32_e32 v4, s25, v4
	s_delay_alu instid0(VALU_DEP_1) | instskip(NEXT) | instid1(VALU_DEP_1)
	v_mul_lo_u32 v4, v4, s19
	v_sub_nc_u32_e32 v7, v1, v4
	s_delay_alu instid0(VALU_DEP_1) | instskip(SKIP_1) | instid1(VALU_DEP_2)
	v_mad_u64_u32 v[4:5], null, v7, s15, v[2:3]
	v_mad_u64_u32 v[1:2], null, v7, s22, v[0:1]
	;; [unrolled: 1-line block ×3, first 2 shown]
	v_mov_b32_e32 v2, v4
	s_delay_alu instid0(VALU_DEP_3) | instskip(NEXT) | instid1(VALU_DEP_3)
	v_mov_b32_e32 v0, v1
	v_mov_b32_e32 v3, v5
.LBB151_12:
	v_and_b32_e64 v6, 0xff, s34
	s_delay_alu instid0(VALU_DEP_3) | instskip(NEXT) | instid1(VALU_DEP_1)
	v_add_co_u32 v4, s2, s6, v0
	v_add_co_ci_u32_e64 v5, null, s7, 0, s2
	s_delay_alu instid0(VALU_DEP_3)
	v_cmp_gt_i16_e32 vcc_lo, 11, v6
	s_mov_b32 s41, 0
	s_cbranch_vccnz .LBB151_19
; %bb.13:
	v_cmp_lt_i16_e32 vcc_lo, 25, v6
	s_cbranch_vccz .LBB151_28
; %bb.14:
	v_cmp_lt_i16_e32 vcc_lo, 28, v6
	s_cbranch_vccz .LBB151_148
	;; [unrolled: 3-line block ×4, first 2 shown]
; %bb.17:
	v_cmp_eq_u16_e32 vcc_lo, 46, v6
	s_mov_b32 s3, 0
	s_cbranch_vccz .LBB151_154
; %bb.18:
	global_load_b32 v0, v[4:5], off
	s_mov_b32 s2, -1
	s_waitcnt vmcnt(0)
	v_lshlrev_b32_e32 v0, 16, v0
	s_delay_alu instid0(VALU_DEP_1)
	v_cvt_f64_f32_e32 v[0:1], v0
	s_branch .LBB151_156
.LBB151_19:
	s_mov_b32 s2, 0
                                        ; implicit-def: $vgpr0_vgpr1
	s_cbranch_execnz .LBB151_221
.LBB151_20:
	s_and_not1_b32 vcc_lo, exec_lo, s2
	s_cbranch_vccnz .LBB151_268
.LBB151_21:
	v_and_b32_e64 v7, 0xff, s33
	v_add_co_u32 v3, s2, s8, v3
	s_delay_alu instid0(VALU_DEP_1) | instskip(NEXT) | instid1(VALU_DEP_3)
	v_add_co_ci_u32_e64 v4, null, s9, 0, s2
	v_cmp_gt_i16_e32 vcc_lo, 11, v7
	s_mov_b32 s3, 0
	s_cbranch_vccnz .LBB151_29
; %bb.22:
	v_cmp_lt_i16_e32 vcc_lo, 25, v7
	s_cbranch_vccz .LBB151_149
; %bb.23:
	v_cmp_lt_i16_e32 vcc_lo, 28, v7
	s_cbranch_vccz .LBB151_151
	;; [unrolled: 3-line block ×4, first 2 shown]
; %bb.26:
	v_cmp_eq_u16_e32 vcc_lo, 46, v7
	s_mov_b32 s39, 0
	s_cbranch_vccz .LBB151_269
; %bb.27:
	global_load_b32 v5, v[3:4], off
	s_mov_b32 s2, -1
	s_waitcnt vmcnt(0)
	v_lshlrev_b32_e32 v5, 16, v5
	s_delay_alu instid0(VALU_DEP_1) | instskip(NEXT) | instid1(VALU_DEP_1)
	v_trunc_f32_e32 v5, v5
	v_mul_f32_e64 v6, 0x2f800000, |v5|
	s_delay_alu instid0(VALU_DEP_1) | instskip(NEXT) | instid1(VALU_DEP_1)
	v_floor_f32_e32 v6, v6
	v_fma_f32 v6, 0xcf800000, v6, |v5|
	v_ashrrev_i32_e32 v5, 31, v5
	s_delay_alu instid0(VALU_DEP_2) | instskip(NEXT) | instid1(VALU_DEP_1)
	v_cvt_u32_f32_e32 v6, v6
	v_xor_b32_e32 v6, v6, v5
	s_delay_alu instid0(VALU_DEP_1)
	v_sub_nc_u32_e32 v5, v6, v5
	s_branch .LBB151_271
.LBB151_28:
	s_mov_b32 s2, 0
                                        ; implicit-def: $vgpr0_vgpr1
	s_cbranch_execnz .LBB151_188
	s_branch .LBB151_220
.LBB151_29:
	s_mov_b32 s2, 0
                                        ; implicit-def: $vgpr5
	s_cbranch_execnz .LBB151_334
.LBB151_30:
	s_and_not1_b32 vcc_lo, exec_lo, s2
	s_cbranch_vccnz .LBB151_382
.LBB151_31:
	s_waitcnt vmcnt(0)
	s_delay_alu instid0(VALU_DEP_1) | instskip(SKIP_3) | instid1(VALU_DEP_2)
	v_and_b32_e32 v3, 0xff, v5
	v_and_b32_e64 v6, 0xff, s31
	s_mov_b32 s2, 0
	s_mov_b32 s40, -1
	v_and_b32_e32 v3, 0xffff, v3
	s_delay_alu instid0(VALU_DEP_2) | instskip(NEXT) | instid1(VALU_DEP_2)
	v_cmp_gt_i16_e32 vcc_lo, 11, v6
	v_cvt_f64_u32_e32 v[3:4], v3
	s_and_b32 vcc_lo, exec_lo, vcc_lo
	s_delay_alu instid0(VALU_DEP_1) | instskip(SKIP_1) | instid1(VALU_DEP_1)
	v_mul_f64 v[0:1], v[0:1], v[3:4]
	v_add_co_u32 v4, s39, s4, v2
	v_add_co_ci_u32_e64 v5, null, s5, 0, s39
	s_mov_b32 s39, 0
	s_delay_alu instid0(VALU_DEP_3)
	v_mul_f64 v[0:1], s[10:11], v[0:1]
	s_cbranch_vccnz .LBB151_108
; %bb.32:
	v_cmp_lt_i16_e32 vcc_lo, 25, v6
	s_cbranch_vccz .LBB151_65
; %bb.33:
	v_cmp_lt_i16_e32 vcc_lo, 28, v6
	s_cbranch_vccz .LBB151_48
	;; [unrolled: 3-line block ×4, first 2 shown]
; %bb.36:
	v_cmp_eq_u16_e32 vcc_lo, 46, v6
	s_mov_b32 s40, 0
	s_mov_b32 s2, -1
	s_cbranch_vccz .LBB151_38
; %bb.37:
	v_cvt_f32_f64_e32 v2, v[0:1]
	s_mov_b32 s39, -1
	s_mov_b32 s2, 0
	s_delay_alu instid0(VALU_DEP_1) | instskip(SKIP_1) | instid1(VALU_DEP_2)
	v_bfe_u32 v3, v2, 16, 1
	v_cmp_o_f32_e32 vcc_lo, v2, v2
	v_add3_u32 v3, v2, v3, 0x7fff
	s_delay_alu instid0(VALU_DEP_1) | instskip(NEXT) | instid1(VALU_DEP_1)
	v_lshrrev_b32_e32 v3, 16, v3
	v_cndmask_b32_e32 v2, 0x7fc0, v3, vcc_lo
	global_store_b32 v[4:5], v2, off
.LBB151_38:
	s_and_b32 vcc_lo, exec_lo, s40
	s_cbranch_vccz .LBB151_43
; %bb.39:
	v_cmp_eq_u16_e32 vcc_lo, 44, v6
	s_mov_b32 s2, -1
	s_cbranch_vccz .LBB151_43
; %bb.40:
	v_cvt_f32_f64_e32 v2, v[0:1]
	v_mov_b32_e32 v3, 0xff
	s_mov_b32 s39, exec_lo
	s_delay_alu instid0(VALU_DEP_2) | instskip(NEXT) | instid1(VALU_DEP_1)
	v_bfe_u32 v7, v2, 23, 8
	v_cmpx_ne_u32_e32 0xff, v7
; %bb.41:
	v_and_b32_e32 v3, 0x400000, v2
	v_and_or_b32 v7, 0x3fffff, v2, v7
	v_lshrrev_b32_e32 v2, 23, v2
	s_delay_alu instid0(VALU_DEP_3) | instskip(NEXT) | instid1(VALU_DEP_3)
	v_cmp_ne_u32_e32 vcc_lo, 0, v3
	v_cmp_ne_u32_e64 s2, 0, v7
	s_delay_alu instid0(VALU_DEP_1) | instskip(NEXT) | instid1(SALU_CYCLE_1)
	s_and_b32 s2, vcc_lo, s2
	v_cndmask_b32_e64 v3, 0, 1, s2
	s_delay_alu instid0(VALU_DEP_1)
	v_add_nc_u32_e32 v3, v2, v3
; %bb.42:
	s_or_b32 exec_lo, exec_lo, s39
	s_mov_b32 s39, -1
	s_mov_b32 s2, 0
	global_store_b8 v[4:5], v3, off
.LBB151_43:
	s_mov_b32 s40, 0
.LBB151_44:
	s_delay_alu instid0(SALU_CYCLE_1)
	s_and_b32 vcc_lo, exec_lo, s40
	s_cbranch_vccz .LBB151_47
; %bb.45:
	v_cmp_eq_u16_e32 vcc_lo, 29, v6
	s_mov_b32 s2, -1
	s_cbranch_vccz .LBB151_47
; %bb.46:
	v_trunc_f64_e32 v[2:3], v[0:1]
	s_mov_b32 s39, -1
	s_mov_b32 s2, 0
	s_delay_alu instid0(VALU_DEP_1) | instskip(NEXT) | instid1(VALU_DEP_1)
	v_ldexp_f64 v[9:10], v[2:3], 0xffffffe0
	v_floor_f64_e32 v[9:10], v[9:10]
	s_delay_alu instid0(VALU_DEP_1) | instskip(SKIP_1) | instid1(VALU_DEP_2)
	v_fma_f64 v[2:3], 0xc1f00000, v[9:10], v[2:3]
	v_cvt_u32_f64_e32 v10, v[9:10]
	v_cvt_u32_f64_e32 v9, v[2:3]
	global_store_b64 v[4:5], v[9:10], off
.LBB151_47:
	s_mov_b32 s40, 0
.LBB151_48:
	s_delay_alu instid0(SALU_CYCLE_1)
	s_and_b32 vcc_lo, exec_lo, s40
	s_cbranch_vccz .LBB151_64
; %bb.49:
	v_cmp_gt_i16_e32 vcc_lo, 27, v6
	s_mov_b32 s39, -1
	s_cbranch_vccnz .LBB151_55
; %bb.50:
	v_cmp_lt_i16_e32 vcc_lo, 27, v6
	s_cbranch_vccz .LBB151_52
; %bb.51:
	v_cvt_u32_f64_e32 v2, v[0:1]
	s_mov_b32 s39, 0
	global_store_b32 v[4:5], v2, off
.LBB151_52:
	s_and_not1_b32 vcc_lo, exec_lo, s39
	s_cbranch_vccnz .LBB151_54
; %bb.53:
	v_cvt_u32_f64_e32 v2, v[0:1]
	global_store_b16 v[4:5], v2, off
.LBB151_54:
	s_mov_b32 s39, 0
.LBB151_55:
	s_delay_alu instid0(SALU_CYCLE_1)
	s_and_not1_b32 vcc_lo, exec_lo, s39
	s_cbranch_vccnz .LBB151_63
; %bb.56:
	s_delay_alu instid0(VALU_DEP_4) | instskip(SKIP_2) | instid1(VALU_DEP_2)
	v_cvt_f32_f64_e32 v2, v[0:1]
	v_mov_b32_e32 v7, 0x80
	s_mov_b32 s39, exec_lo
	v_and_b32_e32 v3, 0x7fffffff, v2
	s_delay_alu instid0(VALU_DEP_1)
	v_cmpx_gt_u32_e32 0x43800000, v3
	s_cbranch_execz .LBB151_62
; %bb.57:
	v_cmp_lt_u32_e32 vcc_lo, 0x3bffffff, v3
	s_mov_b32 s40, 0
                                        ; implicit-def: $vgpr3
	s_and_saveexec_b32 s44, vcc_lo
	s_delay_alu instid0(SALU_CYCLE_1)
	s_xor_b32 s44, exec_lo, s44
	s_cbranch_execz .LBB151_274
; %bb.58:
	v_bfe_u32 v3, v2, 20, 1
	s_mov_b32 s40, exec_lo
	s_delay_alu instid0(VALU_DEP_1) | instskip(NEXT) | instid1(VALU_DEP_1)
	v_add3_u32 v3, v2, v3, 0x487ffff
	v_lshrrev_b32_e32 v3, 20, v3
	s_or_saveexec_b32 s44, s44
                                        ; implicit-def: $sgpr45
	s_delay_alu instid0(SALU_CYCLE_1)
	s_xor_b32 exec_lo, exec_lo, s44
	s_cbranch_execnz .LBB151_275
.LBB151_59:
	s_or_b32 exec_lo, exec_lo, s44
	v_mov_b32_e32 v7, s45
	s_and_saveexec_b32 s44, s40
.LBB151_60:
	v_lshrrev_b32_e32 v2, 24, v2
	s_delay_alu instid0(VALU_DEP_1)
	v_and_or_b32 v7, 0x80, v2, v3
.LBB151_61:
	s_or_b32 exec_lo, exec_lo, s44
.LBB151_62:
	s_delay_alu instid0(SALU_CYCLE_1)
	s_or_b32 exec_lo, exec_lo, s39
	global_store_b8 v[4:5], v7, off
.LBB151_63:
	s_mov_b32 s39, -1
.LBB151_64:
	s_mov_b32 s40, 0
.LBB151_65:
	s_delay_alu instid0(SALU_CYCLE_1)
	s_and_b32 vcc_lo, exec_lo, s40
	s_cbranch_vccz .LBB151_106
; %bb.66:
	v_cmp_lt_i16_e32 vcc_lo, 22, v6
	s_mov_b32 s40, -1
	s_cbranch_vccz .LBB151_98
; %bb.67:
	v_cmp_gt_i16_e32 vcc_lo, 24, v6
	s_mov_b32 s39, -1
	s_cbranch_vccnz .LBB151_87
; %bb.68:
	v_cmp_lt_i16_e32 vcc_lo, 24, v6
	s_cbranch_vccz .LBB151_76
; %bb.69:
	v_cvt_f32_f64_e32 v2, v[0:1]
	v_mov_b32_e32 v7, 0x80
	s_mov_b32 s39, exec_lo
	s_delay_alu instid0(VALU_DEP_2) | instskip(NEXT) | instid1(VALU_DEP_1)
	v_and_b32_e32 v3, 0x7fffffff, v2
	v_cmpx_gt_u32_e32 0x47800000, v3
	s_cbranch_execz .LBB151_75
; %bb.70:
	v_cmp_lt_u32_e32 vcc_lo, 0x37ffffff, v3
	s_mov_b32 s40, 0
                                        ; implicit-def: $vgpr3
	s_and_saveexec_b32 s44, vcc_lo
	s_delay_alu instid0(SALU_CYCLE_1)
	s_xor_b32 s44, exec_lo, s44
	s_cbranch_execz .LBB151_538
; %bb.71:
	v_bfe_u32 v3, v2, 21, 1
	s_mov_b32 s40, exec_lo
	s_delay_alu instid0(VALU_DEP_1) | instskip(NEXT) | instid1(VALU_DEP_1)
	v_add3_u32 v3, v2, v3, 0x88fffff
	v_lshrrev_b32_e32 v3, 21, v3
	s_or_saveexec_b32 s44, s44
                                        ; implicit-def: $sgpr45
	s_delay_alu instid0(SALU_CYCLE_1)
	s_xor_b32 exec_lo, exec_lo, s44
	s_cbranch_execnz .LBB151_539
.LBB151_72:
	s_or_b32 exec_lo, exec_lo, s44
	v_mov_b32_e32 v7, s45
	s_and_saveexec_b32 s44, s40
.LBB151_73:
	v_lshrrev_b32_e32 v2, 24, v2
	s_delay_alu instid0(VALU_DEP_1)
	v_and_or_b32 v7, 0x80, v2, v3
.LBB151_74:
	s_or_b32 exec_lo, exec_lo, s44
.LBB151_75:
	s_delay_alu instid0(SALU_CYCLE_1)
	s_or_b32 exec_lo, exec_lo, s39
	s_mov_b32 s39, 0
	global_store_b8 v[4:5], v7, off
.LBB151_76:
	s_and_b32 vcc_lo, exec_lo, s39
	s_cbranch_vccz .LBB151_86
; %bb.77:
	v_cvt_f32_f64_e32 v2, v[0:1]
	s_mov_b32 s39, exec_lo
                                        ; implicit-def: $vgpr3
	s_delay_alu instid0(VALU_DEP_1) | instskip(NEXT) | instid1(VALU_DEP_1)
	v_and_b32_e32 v7, 0x7fffffff, v2
	v_cmpx_gt_u32_e32 0x43f00000, v7
	s_xor_b32 s39, exec_lo, s39
	s_cbranch_execz .LBB151_83
; %bb.78:
	s_mov_b32 s40, exec_lo
                                        ; implicit-def: $vgpr3
	v_cmpx_lt_u32_e32 0x3c7fffff, v7
	s_xor_b32 s40, exec_lo, s40
; %bb.79:
	v_bfe_u32 v3, v2, 20, 1
	s_delay_alu instid0(VALU_DEP_1) | instskip(NEXT) | instid1(VALU_DEP_1)
	v_add3_u32 v3, v2, v3, 0x407ffff
	v_and_b32_e32 v7, 0xff00000, v3
	v_lshrrev_b32_e32 v3, 20, v3
	s_delay_alu instid0(VALU_DEP_2) | instskip(NEXT) | instid1(VALU_DEP_2)
	v_cmp_ne_u32_e32 vcc_lo, 0x7f00000, v7
	v_cndmask_b32_e32 v3, 0x7e, v3, vcc_lo
; %bb.80:
	s_and_not1_saveexec_b32 s40, s40
; %bb.81:
	v_add_f32_e64 v3, 0x46800000, |v2|
; %bb.82:
	s_or_b32 exec_lo, exec_lo, s40
                                        ; implicit-def: $vgpr7
.LBB151_83:
	s_and_not1_saveexec_b32 s39, s39
; %bb.84:
	v_mov_b32_e32 v3, 0x7f
	v_cmp_lt_u32_e32 vcc_lo, 0x7f800000, v7
	s_delay_alu instid0(VALU_DEP_2)
	v_cndmask_b32_e32 v3, 0x7e, v3, vcc_lo
; %bb.85:
	s_or_b32 exec_lo, exec_lo, s39
	v_lshrrev_b32_e32 v2, 24, v2
	s_delay_alu instid0(VALU_DEP_1)
	v_and_or_b32 v2, 0x80, v2, v3
	global_store_b8 v[4:5], v2, off
.LBB151_86:
	s_mov_b32 s39, 0
.LBB151_87:
	s_delay_alu instid0(SALU_CYCLE_1)
	s_and_not1_b32 vcc_lo, exec_lo, s39
	s_cbranch_vccnz .LBB151_97
; %bb.88:
	s_delay_alu instid0(VALU_DEP_4) | instskip(SKIP_1) | instid1(VALU_DEP_1)
	v_cvt_f32_f64_e32 v2, v[0:1]
	s_mov_b32 s39, exec_lo
                                        ; implicit-def: $vgpr3
	v_and_b32_e32 v7, 0x7fffffff, v2
	s_delay_alu instid0(VALU_DEP_1)
	v_cmpx_gt_u32_e32 0x47800000, v7
	s_xor_b32 s39, exec_lo, s39
	s_cbranch_execz .LBB151_94
; %bb.89:
	s_mov_b32 s40, exec_lo
                                        ; implicit-def: $vgpr3
	v_cmpx_lt_u32_e32 0x387fffff, v7
	s_xor_b32 s40, exec_lo, s40
; %bb.90:
	v_bfe_u32 v3, v2, 21, 1
	s_delay_alu instid0(VALU_DEP_1) | instskip(NEXT) | instid1(VALU_DEP_1)
	v_add3_u32 v3, v2, v3, 0x80fffff
	v_lshrrev_b32_e32 v3, 21, v3
; %bb.91:
	s_and_not1_saveexec_b32 s40, s40
; %bb.92:
	v_add_f32_e64 v3, 0x43000000, |v2|
; %bb.93:
	s_or_b32 exec_lo, exec_lo, s40
                                        ; implicit-def: $vgpr7
.LBB151_94:
	s_and_not1_saveexec_b32 s39, s39
; %bb.95:
	v_mov_b32_e32 v3, 0x7f
	v_cmp_lt_u32_e32 vcc_lo, 0x7f800000, v7
	s_delay_alu instid0(VALU_DEP_2)
	v_cndmask_b32_e32 v3, 0x7c, v3, vcc_lo
; %bb.96:
	s_or_b32 exec_lo, exec_lo, s39
	v_lshrrev_b32_e32 v2, 24, v2
	s_delay_alu instid0(VALU_DEP_1)
	v_and_or_b32 v2, 0x80, v2, v3
	global_store_b8 v[4:5], v2, off
.LBB151_97:
	s_mov_b32 s40, 0
	s_mov_b32 s39, -1
.LBB151_98:
	s_and_not1_b32 vcc_lo, exec_lo, s40
	s_cbranch_vccnz .LBB151_106
; %bb.99:
	v_cmp_lt_i16_e32 vcc_lo, 14, v6
	s_mov_b32 s40, -1
	s_cbranch_vccz .LBB151_103
; %bb.100:
	v_cmp_eq_u16_e32 vcc_lo, 15, v6
	s_mov_b32 s2, -1
	s_cbranch_vccz .LBB151_102
; %bb.101:
	v_cvt_f32_f64_e32 v2, v[0:1]
	s_mov_b32 s39, -1
	s_mov_b32 s2, 0
	s_delay_alu instid0(VALU_DEP_1) | instskip(SKIP_1) | instid1(VALU_DEP_2)
	v_bfe_u32 v3, v2, 16, 1
	v_cmp_o_f32_e32 vcc_lo, v2, v2
	v_add3_u32 v3, v2, v3, 0x7fff
	s_delay_alu instid0(VALU_DEP_1) | instskip(NEXT) | instid1(VALU_DEP_1)
	v_lshrrev_b32_e32 v3, 16, v3
	v_cndmask_b32_e32 v2, 0x7fc0, v3, vcc_lo
	global_store_b16 v[4:5], v2, off
.LBB151_102:
	s_mov_b32 s40, 0
.LBB151_103:
	s_delay_alu instid0(SALU_CYCLE_1)
	s_and_b32 vcc_lo, exec_lo, s40
	s_cbranch_vccz .LBB151_106
; %bb.104:
	v_cmp_eq_u16_e32 vcc_lo, 11, v6
	s_mov_b32 s2, -1
	s_cbranch_vccz .LBB151_106
; %bb.105:
	v_cmp_neq_f64_e32 vcc_lo, 0, v[0:1]
	s_mov_b32 s39, -1
	s_mov_b32 s2, 0
	v_cndmask_b32_e64 v2, 0, 1, vcc_lo
	global_store_b8 v[4:5], v2, off
.LBB151_106:
.LBB151_107:
	s_and_not1_b32 vcc_lo, exec_lo, s39
	s_cbranch_vccz .LBB151_147
	s_branch .LBB151_383
.LBB151_108:
	s_and_b32 vcc_lo, exec_lo, s40
	s_cbranch_vccz .LBB151_107
; %bb.109:
	v_cmp_gt_i16_e32 vcc_lo, 5, v6
	s_mov_b32 s39, -1
	s_cbranch_vccnz .LBB151_130
; %bb.110:
	v_cmp_gt_i16_e32 vcc_lo, 8, v6
	s_cbranch_vccnz .LBB151_120
; %bb.111:
	v_cmp_gt_i16_e32 vcc_lo, 9, v6
	s_cbranch_vccnz .LBB151_117
; %bb.112:
	v_cmp_lt_i16_e32 vcc_lo, 9, v6
	s_cbranch_vccz .LBB151_114
; %bb.113:
	v_mov_b32_e32 v2, 0
	s_mov_b32 s39, 0
	s_delay_alu instid0(VALU_DEP_1)
	v_mov_b32_e32 v3, v2
	global_store_b128 v[4:5], v[0:3], off
.LBB151_114:
	s_and_not1_b32 vcc_lo, exec_lo, s39
	s_cbranch_vccnz .LBB151_116
; %bb.115:
	v_cvt_f32_f64_e32 v2, v[0:1]
	v_mov_b32_e32 v3, 0
	global_store_b64 v[4:5], v[2:3], off
.LBB151_116:
	s_mov_b32 s39, 0
.LBB151_117:
	s_delay_alu instid0(SALU_CYCLE_1)
	s_and_not1_b32 vcc_lo, exec_lo, s39
	s_cbranch_vccnz .LBB151_119
; %bb.118:
	s_delay_alu instid0(VALU_DEP_4) | instskip(NEXT) | instid1(VALU_DEP_1)
	v_cvt_f32_f64_e32 v2, v[0:1]
	v_cvt_f16_f32_e32 v2, v2
	s_delay_alu instid0(VALU_DEP_1)
	v_and_b32_e32 v2, 0xffff, v2
	global_store_b32 v[4:5], v2, off
.LBB151_119:
	s_mov_b32 s39, 0
.LBB151_120:
	s_delay_alu instid0(SALU_CYCLE_1)
	s_and_not1_b32 vcc_lo, exec_lo, s39
	s_cbranch_vccnz .LBB151_129
; %bb.121:
	v_cmp_gt_i16_e32 vcc_lo, 6, v6
	s_mov_b32 s39, -1
	s_cbranch_vccnz .LBB151_127
; %bb.122:
	v_cmp_lt_i16_e32 vcc_lo, 6, v6
	s_cbranch_vccz .LBB151_124
; %bb.123:
	s_mov_b32 s39, 0
	global_store_b64 v[4:5], v[0:1], off
.LBB151_124:
	s_and_not1_b32 vcc_lo, exec_lo, s39
	s_cbranch_vccnz .LBB151_126
; %bb.125:
	v_cvt_f32_f64_e32 v2, v[0:1]
	global_store_b32 v[4:5], v2, off
.LBB151_126:
	s_mov_b32 s39, 0
.LBB151_127:
	s_delay_alu instid0(SALU_CYCLE_1)
	s_and_not1_b32 vcc_lo, exec_lo, s39
	s_cbranch_vccnz .LBB151_129
; %bb.128:
	s_delay_alu instid0(VALU_DEP_4) | instskip(NEXT) | instid1(VALU_DEP_1)
	v_cvt_f32_f64_e32 v2, v[0:1]
	v_cvt_f16_f32_e32 v2, v2
	global_store_b16 v[4:5], v2, off
.LBB151_129:
	s_mov_b32 s39, 0
.LBB151_130:
	s_delay_alu instid0(SALU_CYCLE_1)
	s_and_not1_b32 vcc_lo, exec_lo, s39
	s_cbranch_vccnz .LBB151_146
; %bb.131:
	v_cmp_gt_i16_e32 vcc_lo, 2, v6
	s_mov_b32 s39, -1
	s_cbranch_vccnz .LBB151_141
; %bb.132:
	v_cmp_gt_i16_e32 vcc_lo, 3, v6
	s_cbranch_vccnz .LBB151_138
; %bb.133:
	v_cmp_lt_i16_e32 vcc_lo, 3, v6
	s_cbranch_vccz .LBB151_135
; %bb.134:
	v_trunc_f64_e32 v[2:3], v[0:1]
	s_mov_b32 s39, 0
	s_delay_alu instid0(VALU_DEP_1) | instskip(NEXT) | instid1(VALU_DEP_1)
	v_ldexp_f64 v[9:10], v[2:3], 0xffffffe0
	v_floor_f64_e32 v[9:10], v[9:10]
	s_delay_alu instid0(VALU_DEP_1) | instskip(SKIP_1) | instid1(VALU_DEP_2)
	v_fma_f64 v[2:3], 0xc1f00000, v[9:10], v[2:3]
	v_cvt_i32_f64_e32 v10, v[9:10]
	v_cvt_u32_f64_e32 v9, v[2:3]
	global_store_b64 v[4:5], v[9:10], off
.LBB151_135:
	s_and_not1_b32 vcc_lo, exec_lo, s39
	s_cbranch_vccnz .LBB151_137
; %bb.136:
	v_cvt_i32_f64_e32 v2, v[0:1]
	global_store_b32 v[4:5], v2, off
.LBB151_137:
	s_mov_b32 s39, 0
.LBB151_138:
	s_delay_alu instid0(SALU_CYCLE_1)
	s_and_not1_b32 vcc_lo, exec_lo, s39
	s_cbranch_vccnz .LBB151_140
; %bb.139:
	s_delay_alu instid0(VALU_DEP_4)
	v_cvt_i32_f64_e32 v2, v[0:1]
	global_store_b16 v[4:5], v2, off
.LBB151_140:
	s_mov_b32 s39, 0
.LBB151_141:
	s_delay_alu instid0(SALU_CYCLE_1)
	s_and_not1_b32 vcc_lo, exec_lo, s39
	s_cbranch_vccnz .LBB151_146
; %bb.142:
	v_cmp_lt_i16_e32 vcc_lo, 0, v6
	s_mov_b32 s39, -1
	s_cbranch_vccz .LBB151_144
; %bb.143:
	s_delay_alu instid0(VALU_DEP_4)
	v_cvt_i32_f64_e32 v2, v[0:1]
	s_mov_b32 s39, 0
	global_store_b8 v[4:5], v2, off
.LBB151_144:
	s_and_not1_b32 vcc_lo, exec_lo, s39
	s_cbranch_vccnz .LBB151_146
; %bb.145:
	s_delay_alu instid0(VALU_DEP_4) | instskip(NEXT) | instid1(VALU_DEP_1)
	v_trunc_f64_e32 v[0:1], v[0:1]
	v_ldexp_f64 v[2:3], v[0:1], 0xffffffe0
	s_delay_alu instid0(VALU_DEP_1) | instskip(NEXT) | instid1(VALU_DEP_1)
	v_floor_f64_e32 v[2:3], v[2:3]
	v_fma_f64 v[0:1], 0xc1f00000, v[2:3], v[0:1]
	s_delay_alu instid0(VALU_DEP_1)
	v_cvt_u32_f64_e32 v0, v[0:1]
	global_store_b8 v[4:5], v0, off
.LBB151_146:
.LBB151_147:
	v_add_nc_u32_e32 v8, 0x80, v8
	s_mov_b32 s44, -1
	s_branch .LBB151_384
.LBB151_148:
	s_mov_b32 s3, -1
	s_mov_b32 s2, 0
                                        ; implicit-def: $vgpr0_vgpr1
	s_branch .LBB151_167
.LBB151_149:
	s_mov_b32 s39, -1
	s_mov_b32 s2, 0
                                        ; implicit-def: $vgpr5
	s_branch .LBB151_300
.LBB151_150:
	s_mov_b32 s3, -1
	s_mov_b32 s2, 0
                                        ; implicit-def: $vgpr0_vgpr1
	s_branch .LBB151_162
.LBB151_151:
	s_mov_b32 s39, -1
	s_mov_b32 s2, 0
                                        ; implicit-def: $vgpr5
	s_branch .LBB151_283
.LBB151_152:
	s_mov_b32 s3, -1
	s_branch .LBB151_155
.LBB151_153:
	s_mov_b32 s39, -1
	s_mov_b32 s2, 0
                                        ; implicit-def: $vgpr5
	s_branch .LBB151_278
.LBB151_154:
	s_mov_b32 s41, -1
.LBB151_155:
	s_mov_b32 s2, 0
                                        ; implicit-def: $vgpr0_vgpr1
.LBB151_156:
	s_and_b32 vcc_lo, exec_lo, s3
	s_cbranch_vccz .LBB151_161
; %bb.157:
	v_cmp_eq_u16_e32 vcc_lo, 44, v6
	s_cbranch_vccz .LBB151_160
; %bb.158:
	global_load_u8 v7, v[4:5], off
	s_mov_b32 s41, 0
	s_mov_b32 s2, -1
	s_waitcnt vmcnt(0)
	v_cmp_ne_u32_e32 vcc_lo, 0xff, v7
	v_lshlrev_b32_e32 v0, 23, v7
	s_delay_alu instid0(VALU_DEP_1) | instskip(NEXT) | instid1(VALU_DEP_1)
	v_cvt_f64_f32_e32 v[0:1], v0
	v_cndmask_b32_e32 v1, 0x7ff80000, v1, vcc_lo
	s_delay_alu instid0(VALU_DEP_2) | instskip(SKIP_1) | instid1(VALU_DEP_3)
	v_cndmask_b32_e32 v0, 0x20000000, v0, vcc_lo
	v_cmp_ne_u32_e32 vcc_lo, 0, v7
	v_cndmask_b32_e32 v1, 0x38000000, v1, vcc_lo
	s_delay_alu instid0(VALU_DEP_3)
	v_cndmask_b32_e32 v0, 0, v0, vcc_lo
	s_branch .LBB151_161
.LBB151_159:
	s_mov_b32 s39, -1
	s_branch .LBB151_270
.LBB151_160:
	s_mov_b32 s41, -1
                                        ; implicit-def: $vgpr0_vgpr1
.LBB151_161:
	s_mov_b32 s3, 0
.LBB151_162:
	s_delay_alu instid0(SALU_CYCLE_1)
	s_and_b32 vcc_lo, exec_lo, s3
	s_cbranch_vccz .LBB151_166
; %bb.163:
	v_cmp_eq_u16_e32 vcc_lo, 29, v6
	s_cbranch_vccz .LBB151_165
; %bb.164:
	global_load_b64 v[0:1], v[4:5], off
	s_mov_b32 s2, -1
	s_mov_b32 s41, 0
	s_mov_b32 s3, 0
	s_waitcnt vmcnt(0)
	v_cvt_f64_u32_e32 v[9:10], v1
	v_cvt_f64_u32_e32 v[0:1], v0
	s_delay_alu instid0(VALU_DEP_2) | instskip(NEXT) | instid1(VALU_DEP_1)
	v_ldexp_f64 v[9:10], v[9:10], 32
	v_add_f64 v[0:1], v[9:10], v[0:1]
	s_branch .LBB151_167
.LBB151_165:
	s_mov_b32 s41, -1
                                        ; implicit-def: $vgpr0_vgpr1
.LBB151_166:
	s_mov_b32 s3, 0
.LBB151_167:
	s_delay_alu instid0(SALU_CYCLE_1)
	s_and_b32 vcc_lo, exec_lo, s3
	s_cbranch_vccz .LBB151_187
; %bb.168:
	v_cmp_gt_i16_e32 vcc_lo, 27, v6
	s_cbranch_vccnz .LBB151_171
; %bb.169:
	v_cmp_lt_i16_e32 vcc_lo, 27, v6
	s_cbranch_vccz .LBB151_172
; %bb.170:
	global_load_b32 v0, v[4:5], off
	s_mov_b32 s2, 0
	s_waitcnt vmcnt(0)
	v_cvt_f64_u32_e32 v[0:1], v0
	s_branch .LBB151_173
.LBB151_171:
	s_mov_b32 s2, -1
                                        ; implicit-def: $vgpr0_vgpr1
	s_branch .LBB151_176
.LBB151_172:
	s_mov_b32 s2, -1
                                        ; implicit-def: $vgpr0_vgpr1
.LBB151_173:
	s_delay_alu instid0(SALU_CYCLE_1)
	s_and_not1_b32 vcc_lo, exec_lo, s2
	s_cbranch_vccnz .LBB151_175
; %bb.174:
	global_load_u16 v0, v[4:5], off
	s_waitcnt vmcnt(0)
	v_cvt_f64_u32_e32 v[0:1], v0
.LBB151_175:
	s_mov_b32 s2, 0
.LBB151_176:
	s_delay_alu instid0(SALU_CYCLE_1)
	s_and_not1_b32 vcc_lo, exec_lo, s2
	s_cbranch_vccnz .LBB151_186
; %bb.177:
	global_load_u8 v7, v[4:5], off
	s_mov_b32 s39, 0
	s_mov_b32 s40, exec_lo
                                        ; implicit-def: $sgpr2_sgpr3
	s_waitcnt vmcnt(0)
	v_cmpx_lt_i16_e32 0x7f, v7
	s_xor_b32 s40, exec_lo, s40
	s_cbranch_execz .LBB151_181
; %bb.178:
	s_mov_b32 s44, -1
	s_mov_b32 s39, exec_lo
                                        ; implicit-def: $sgpr2_sgpr3
	v_cmpx_eq_u16_e32 0x80, v7
; %bb.179:
	s_mov_b32 s3, 0x7ff80000
	s_brev_b32 s2, 4
	s_xor_b32 s44, exec_lo, -1
; %bb.180:
	s_or_b32 exec_lo, exec_lo, s39
	s_delay_alu instid0(SALU_CYCLE_1)
	s_and_b32 s39, s44, exec_lo
.LBB151_181:
	s_or_saveexec_b32 s40, s40
	v_dual_mov_b32 v0, s2 :: v_dual_mov_b32 v1, s3
	s_xor_b32 exec_lo, exec_lo, s40
; %bb.182:
	v_cmp_ne_u16_e32 vcc_lo, 0, v7
	v_mov_b32_e32 v0, 0
	v_mov_b32_e32 v1, 0
	s_and_not1_b32 s2, s39, exec_lo
	s_and_b32 s3, vcc_lo, exec_lo
	s_delay_alu instid0(SALU_CYCLE_1)
	s_or_b32 s39, s2, s3
; %bb.183:
	s_or_b32 exec_lo, exec_lo, s40
	s_and_saveexec_b32 s2, s39
	s_cbranch_execz .LBB151_185
; %bb.184:
	v_and_b32_e32 v0, 0xffff, v7
	v_lshlrev_b32_e32 v7, 24, v7
	s_delay_alu instid0(VALU_DEP_2) | instskip(NEXT) | instid1(VALU_DEP_2)
	v_and_b32_e32 v1, 7, v0
	v_and_b32_e32 v7, 0x80000000, v7
	s_delay_alu instid0(VALU_DEP_2) | instskip(NEXT) | instid1(VALU_DEP_1)
	v_clz_i32_u32_e32 v9, v1
	v_min_u32_e32 v9, 32, v9
	s_delay_alu instid0(VALU_DEP_1) | instskip(SKIP_1) | instid1(VALU_DEP_2)
	v_subrev_nc_u32_e32 v10, 28, v9
	v_sub_nc_u32_e32 v9, 29, v9
	v_lshlrev_b32_e32 v10, v10, v0
	v_bfe_u32 v0, v0, 3, 4
	s_delay_alu instid0(VALU_DEP_2) | instskip(NEXT) | instid1(VALU_DEP_2)
	v_and_b32_e32 v10, 7, v10
	v_cmp_eq_u32_e32 vcc_lo, 0, v0
	s_delay_alu instid0(VALU_DEP_2) | instskip(NEXT) | instid1(VALU_DEP_1)
	v_dual_cndmask_b32 v0, v0, v9 :: v_dual_cndmask_b32 v1, v1, v10
	v_lshl_add_u32 v0, v0, 23, 0x3b800000
	s_delay_alu instid0(VALU_DEP_2) | instskip(NEXT) | instid1(VALU_DEP_1)
	v_lshlrev_b32_e32 v1, 20, v1
	v_or3_b32 v0, v7, v0, v1
	s_delay_alu instid0(VALU_DEP_1)
	v_cvt_f64_f32_e32 v[0:1], v0
.LBB151_185:
	s_or_b32 exec_lo, exec_lo, s2
.LBB151_186:
	s_mov_b32 s2, -1
.LBB151_187:
	s_branch .LBB151_220
.LBB151_188:
	v_cmp_lt_i16_e32 vcc_lo, 22, v6
	s_cbranch_vccz .LBB151_200
; %bb.189:
	v_cmp_gt_i16_e32 vcc_lo, 24, v6
	s_cbranch_vccnz .LBB151_201
; %bb.190:
	v_cmp_lt_i16_e32 vcc_lo, 24, v6
	s_cbranch_vccz .LBB151_202
; %bb.191:
	global_load_u8 v7, v[4:5], off
	s_mov_b32 s39, 0
	s_mov_b32 s40, exec_lo
                                        ; implicit-def: $sgpr2_sgpr3
	s_waitcnt vmcnt(0)
	v_cmpx_lt_i16_e32 0x7f, v7
	s_xor_b32 s40, exec_lo, s40
	s_cbranch_execz .LBB151_195
; %bb.192:
	s_mov_b32 s44, -1
	s_mov_b32 s39, exec_lo
                                        ; implicit-def: $sgpr2_sgpr3
	v_cmpx_eq_u16_e32 0x80, v7
; %bb.193:
	s_mov_b32 s3, 0x7ff80000
	s_brev_b32 s2, 4
	s_xor_b32 s44, exec_lo, -1
; %bb.194:
	s_or_b32 exec_lo, exec_lo, s39
	s_delay_alu instid0(SALU_CYCLE_1)
	s_and_b32 s39, s44, exec_lo
.LBB151_195:
	s_or_saveexec_b32 s40, s40
	v_dual_mov_b32 v0, s2 :: v_dual_mov_b32 v1, s3
	s_xor_b32 exec_lo, exec_lo, s40
; %bb.196:
	v_cmp_ne_u16_e32 vcc_lo, 0, v7
	v_mov_b32_e32 v0, 0
	v_mov_b32_e32 v1, 0
	s_and_not1_b32 s2, s39, exec_lo
	s_and_b32 s3, vcc_lo, exec_lo
	s_delay_alu instid0(SALU_CYCLE_1)
	s_or_b32 s39, s2, s3
; %bb.197:
	s_or_b32 exec_lo, exec_lo, s40
	s_and_saveexec_b32 s2, s39
	s_cbranch_execz .LBB151_199
; %bb.198:
	v_and_b32_e32 v0, 0xffff, v7
	v_lshlrev_b32_e32 v7, 24, v7
	s_delay_alu instid0(VALU_DEP_2) | instskip(NEXT) | instid1(VALU_DEP_2)
	v_and_b32_e32 v1, 3, v0
	v_and_b32_e32 v7, 0x80000000, v7
	s_delay_alu instid0(VALU_DEP_2) | instskip(NEXT) | instid1(VALU_DEP_1)
	v_clz_i32_u32_e32 v9, v1
	v_min_u32_e32 v9, 32, v9
	s_delay_alu instid0(VALU_DEP_1) | instskip(SKIP_1) | instid1(VALU_DEP_2)
	v_subrev_nc_u32_e32 v10, 29, v9
	v_sub_nc_u32_e32 v9, 30, v9
	v_lshlrev_b32_e32 v10, v10, v0
	v_bfe_u32 v0, v0, 2, 5
	s_delay_alu instid0(VALU_DEP_2) | instskip(NEXT) | instid1(VALU_DEP_2)
	v_and_b32_e32 v10, 3, v10
	v_cmp_eq_u32_e32 vcc_lo, 0, v0
	s_delay_alu instid0(VALU_DEP_2) | instskip(NEXT) | instid1(VALU_DEP_1)
	v_dual_cndmask_b32 v0, v0, v9 :: v_dual_cndmask_b32 v1, v1, v10
	v_lshl_add_u32 v0, v0, 23, 0x37800000
	s_delay_alu instid0(VALU_DEP_2) | instskip(NEXT) | instid1(VALU_DEP_1)
	v_lshlrev_b32_e32 v1, 21, v1
	v_or3_b32 v0, v7, v0, v1
	s_delay_alu instid0(VALU_DEP_1)
	v_cvt_f64_f32_e32 v[0:1], v0
.LBB151_199:
	s_or_b32 exec_lo, exec_lo, s2
	s_mov_b32 s2, 0
	s_branch .LBB151_203
.LBB151_200:
	s_mov_b32 s3, -1
                                        ; implicit-def: $vgpr0_vgpr1
	s_branch .LBB151_209
.LBB151_201:
	s_mov_b32 s2, -1
                                        ; implicit-def: $vgpr0_vgpr1
	s_branch .LBB151_206
.LBB151_202:
	s_mov_b32 s2, -1
                                        ; implicit-def: $vgpr0_vgpr1
.LBB151_203:
	s_delay_alu instid0(SALU_CYCLE_1)
	s_and_b32 vcc_lo, exec_lo, s2
	s_cbranch_vccz .LBB151_205
; %bb.204:
	global_load_u8 v0, v[4:5], off
	s_waitcnt vmcnt(0)
	v_lshlrev_b32_e32 v0, 24, v0
	s_delay_alu instid0(VALU_DEP_1) | instskip(NEXT) | instid1(VALU_DEP_1)
	v_and_b32_e32 v1, 0x7f000000, v0
	v_clz_i32_u32_e32 v7, v1
	v_add_nc_u32_e32 v10, 0x1000000, v1
	v_cmp_ne_u32_e32 vcc_lo, 0, v1
	s_delay_alu instid0(VALU_DEP_3) | instskip(NEXT) | instid1(VALU_DEP_1)
	v_min_u32_e32 v7, 32, v7
	v_sub_nc_u32_e64 v7, v7, 4 clamp
	s_delay_alu instid0(VALU_DEP_1) | instskip(SKIP_1) | instid1(VALU_DEP_2)
	v_lshlrev_b32_e32 v9, v7, v1
	v_lshlrev_b32_e32 v7, 23, v7
	v_lshrrev_b32_e32 v9, 4, v9
	s_delay_alu instid0(VALU_DEP_1) | instskip(SKIP_1) | instid1(VALU_DEP_2)
	v_sub_nc_u32_e32 v7, v9, v7
	v_ashrrev_i32_e32 v9, 8, v10
	v_add_nc_u32_e32 v7, 0x3c000000, v7
	s_delay_alu instid0(VALU_DEP_1) | instskip(NEXT) | instid1(VALU_DEP_1)
	v_and_or_b32 v7, 0x7f800000, v9, v7
	v_cndmask_b32_e32 v1, 0, v7, vcc_lo
	s_delay_alu instid0(VALU_DEP_1) | instskip(NEXT) | instid1(VALU_DEP_1)
	v_and_or_b32 v0, 0x80000000, v0, v1
	v_cvt_f64_f32_e32 v[0:1], v0
.LBB151_205:
	s_mov_b32 s2, 0
.LBB151_206:
	s_delay_alu instid0(SALU_CYCLE_1)
	s_and_not1_b32 vcc_lo, exec_lo, s2
	s_cbranch_vccnz .LBB151_208
; %bb.207:
	global_load_u8 v0, v[4:5], off
	s_waitcnt vmcnt(0)
	v_lshlrev_b32_e32 v1, 25, v0
	v_lshlrev_b16 v0, 8, v0
	s_delay_alu instid0(VALU_DEP_2) | instskip(NEXT) | instid1(VALU_DEP_2)
	v_lshrrev_b32_e32 v7, 4, v1
	v_and_or_b32 v9, 0x7f00, v0, 0.5
	v_cmp_gt_u32_e32 vcc_lo, 0x8000000, v1
	v_bfe_i32 v0, v0, 0, 16
	s_delay_alu instid0(VALU_DEP_4) | instskip(NEXT) | instid1(VALU_DEP_4)
	v_or_b32_e32 v7, 0x70000000, v7
	v_add_f32_e32 v9, -0.5, v9
	s_delay_alu instid0(VALU_DEP_2) | instskip(NEXT) | instid1(VALU_DEP_1)
	v_mul_f32_e32 v7, 0x7800000, v7
	v_cndmask_b32_e32 v1, v7, v9, vcc_lo
	s_delay_alu instid0(VALU_DEP_1) | instskip(NEXT) | instid1(VALU_DEP_1)
	v_and_or_b32 v0, 0x80000000, v0, v1
	v_cvt_f64_f32_e32 v[0:1], v0
.LBB151_208:
	s_mov_b32 s3, 0
	s_mov_b32 s2, -1
.LBB151_209:
	s_and_not1_b32 vcc_lo, exec_lo, s3
	s_cbranch_vccnz .LBB151_220
; %bb.210:
	v_cmp_lt_i16_e32 vcc_lo, 14, v6
	s_cbranch_vccz .LBB151_213
; %bb.211:
	v_cmp_eq_u16_e32 vcc_lo, 15, v6
	s_cbranch_vccz .LBB151_214
; %bb.212:
	global_load_u16 v0, v[4:5], off
	s_mov_b32 s2, -1
	s_mov_b32 s41, 0
	s_waitcnt vmcnt(0)
	v_lshlrev_b32_e32 v0, 16, v0
	s_delay_alu instid0(VALU_DEP_1)
	v_cvt_f64_f32_e32 v[0:1], v0
	s_branch .LBB151_215
.LBB151_213:
	s_mov_b32 s3, -1
                                        ; implicit-def: $vgpr0_vgpr1
	s_branch .LBB151_216
.LBB151_214:
	s_mov_b32 s41, -1
                                        ; implicit-def: $vgpr0_vgpr1
.LBB151_215:
	s_mov_b32 s3, 0
.LBB151_216:
	s_delay_alu instid0(SALU_CYCLE_1)
	s_and_b32 vcc_lo, exec_lo, s3
	s_cbranch_vccz .LBB151_220
; %bb.217:
	v_cmp_eq_u16_e32 vcc_lo, 11, v6
	s_cbranch_vccz .LBB151_219
; %bb.218:
	global_load_u8 v0, v[4:5], off
	s_mov_b32 s41, 0
	s_mov_b32 s2, -1
	s_waitcnt vmcnt(0)
	v_cmp_ne_u16_e32 vcc_lo, 0, v0
	v_mov_b32_e32 v0, 0
	v_cndmask_b32_e64 v1, 0, 0x3ff00000, vcc_lo
	s_branch .LBB151_220
.LBB151_219:
	s_mov_b32 s41, -1
                                        ; implicit-def: $vgpr0_vgpr1
.LBB151_220:
	s_branch .LBB151_20
.LBB151_221:
	v_cmp_gt_i16_e32 vcc_lo, 5, v6
	s_cbranch_vccnz .LBB151_226
; %bb.222:
	v_cmp_gt_i16_e32 vcc_lo, 8, v6
	s_cbranch_vccnz .LBB151_227
; %bb.223:
	;; [unrolled: 3-line block ×3, first 2 shown]
	v_cmp_lt_i16_e32 vcc_lo, 9, v6
	s_cbranch_vccz .LBB151_229
; %bb.225:
	global_load_b64 v[0:1], v[4:5], off
	s_mov_b32 s2, 0
	s_branch .LBB151_230
.LBB151_226:
                                        ; implicit-def: $vgpr0_vgpr1
	s_branch .LBB151_248
.LBB151_227:
	s_mov_b32 s2, -1
                                        ; implicit-def: $vgpr0_vgpr1
	s_branch .LBB151_236
.LBB151_228:
	s_mov_b32 s2, -1
                                        ; implicit-def: $vgpr0_vgpr1
	s_branch .LBB151_233
.LBB151_229:
	s_mov_b32 s2, -1
                                        ; implicit-def: $vgpr0_vgpr1
.LBB151_230:
	s_delay_alu instid0(SALU_CYCLE_1)
	s_and_not1_b32 vcc_lo, exec_lo, s2
	s_cbranch_vccnz .LBB151_232
; %bb.231:
	global_load_b32 v0, v[4:5], off
	s_waitcnt vmcnt(0)
	v_cvt_f64_f32_e32 v[0:1], v0
.LBB151_232:
	s_mov_b32 s2, 0
.LBB151_233:
	s_delay_alu instid0(SALU_CYCLE_1)
	s_and_not1_b32 vcc_lo, exec_lo, s2
	s_cbranch_vccnz .LBB151_235
; %bb.234:
	global_load_b32 v0, v[4:5], off
	s_waitcnt vmcnt(0)
	v_cvt_f32_f16_e32 v0, v0
	s_delay_alu instid0(VALU_DEP_1)
	v_cvt_f64_f32_e32 v[0:1], v0
.LBB151_235:
	s_mov_b32 s2, 0
.LBB151_236:
	s_delay_alu instid0(SALU_CYCLE_1)
	s_and_not1_b32 vcc_lo, exec_lo, s2
	s_cbranch_vccnz .LBB151_247
; %bb.237:
	v_cmp_gt_i16_e32 vcc_lo, 6, v6
	s_cbranch_vccnz .LBB151_240
; %bb.238:
	v_cmp_lt_i16_e32 vcc_lo, 6, v6
	s_cbranch_vccz .LBB151_241
; %bb.239:
	global_load_b64 v[0:1], v[4:5], off
	s_mov_b32 s2, 0
	s_branch .LBB151_242
.LBB151_240:
	s_mov_b32 s2, -1
                                        ; implicit-def: $vgpr0_vgpr1
	s_branch .LBB151_245
.LBB151_241:
	s_mov_b32 s2, -1
                                        ; implicit-def: $vgpr0_vgpr1
.LBB151_242:
	s_delay_alu instid0(SALU_CYCLE_1)
	s_and_not1_b32 vcc_lo, exec_lo, s2
	s_cbranch_vccnz .LBB151_244
; %bb.243:
	global_load_b32 v0, v[4:5], off
	s_waitcnt vmcnt(0)
	v_cvt_f64_f32_e32 v[0:1], v0
.LBB151_244:
	s_mov_b32 s2, 0
.LBB151_245:
	s_delay_alu instid0(SALU_CYCLE_1)
	s_and_not1_b32 vcc_lo, exec_lo, s2
	s_cbranch_vccnz .LBB151_247
; %bb.246:
	global_load_u16 v0, v[4:5], off
	s_waitcnt vmcnt(0)
	v_cvt_f32_f16_e32 v0, v0
	s_delay_alu instid0(VALU_DEP_1)
	v_cvt_f64_f32_e32 v[0:1], v0
.LBB151_247:
	s_cbranch_execnz .LBB151_267
.LBB151_248:
	v_cmp_gt_i16_e32 vcc_lo, 2, v6
	s_cbranch_vccnz .LBB151_252
; %bb.249:
	v_cmp_gt_i16_e32 vcc_lo, 3, v6
	s_cbranch_vccnz .LBB151_253
; %bb.250:
	v_cmp_lt_i16_e32 vcc_lo, 3, v6
	s_cbranch_vccz .LBB151_254
; %bb.251:
	global_load_b64 v[0:1], v[4:5], off
	s_mov_b32 s2, 0
	s_waitcnt vmcnt(0)
	v_cvt_f64_i32_e32 v[9:10], v1
	v_cvt_f64_u32_e32 v[0:1], v0
	s_delay_alu instid0(VALU_DEP_2) | instskip(NEXT) | instid1(VALU_DEP_1)
	v_ldexp_f64 v[9:10], v[9:10], 32
	v_add_f64 v[0:1], v[9:10], v[0:1]
	s_branch .LBB151_255
.LBB151_252:
	s_mov_b32 s2, -1
                                        ; implicit-def: $vgpr0_vgpr1
	s_branch .LBB151_261
.LBB151_253:
	s_mov_b32 s2, -1
                                        ; implicit-def: $vgpr0_vgpr1
	s_branch .LBB151_258
.LBB151_254:
	s_mov_b32 s2, -1
                                        ; implicit-def: $vgpr0_vgpr1
.LBB151_255:
	s_delay_alu instid0(SALU_CYCLE_1)
	s_and_not1_b32 vcc_lo, exec_lo, s2
	s_cbranch_vccnz .LBB151_257
; %bb.256:
	global_load_b32 v0, v[4:5], off
	s_waitcnt vmcnt(0)
	v_cvt_f64_i32_e32 v[0:1], v0
.LBB151_257:
	s_mov_b32 s2, 0
.LBB151_258:
	s_delay_alu instid0(SALU_CYCLE_1)
	s_and_not1_b32 vcc_lo, exec_lo, s2
	s_cbranch_vccnz .LBB151_260
; %bb.259:
	global_load_i16 v0, v[4:5], off
	s_waitcnt vmcnt(0)
	v_cvt_f64_i32_e32 v[0:1], v0
.LBB151_260:
	s_mov_b32 s2, 0
.LBB151_261:
	s_delay_alu instid0(SALU_CYCLE_1)
	s_and_not1_b32 vcc_lo, exec_lo, s2
	s_cbranch_vccnz .LBB151_267
; %bb.262:
	v_cmp_lt_i16_e32 vcc_lo, 0, v6
	s_mov_b32 s2, 0
	s_cbranch_vccz .LBB151_264
; %bb.263:
	global_load_i8 v0, v[4:5], off
	s_waitcnt vmcnt(0)
	v_cvt_f64_i32_e32 v[0:1], v0
	s_branch .LBB151_265
.LBB151_264:
	s_mov_b32 s2, -1
                                        ; implicit-def: $vgpr0_vgpr1
.LBB151_265:
	s_delay_alu instid0(SALU_CYCLE_1)
	s_and_not1_b32 vcc_lo, exec_lo, s2
	s_cbranch_vccnz .LBB151_267
; %bb.266:
	global_load_u8 v0, v[4:5], off
	s_waitcnt vmcnt(0)
	v_cvt_f64_u32_e32 v[0:1], v0
.LBB151_267:
	s_branch .LBB151_21
.LBB151_268:
	s_mov_b32 s2, 0
	s_mov_b32 s3, 0
	s_branch .LBB151_383
.LBB151_269:
	s_mov_b32 s3, -1
.LBB151_270:
	s_mov_b32 s2, 0
                                        ; implicit-def: $vgpr5
.LBB151_271:
	s_and_b32 vcc_lo, exec_lo, s39
	s_cbranch_vccz .LBB151_277
; %bb.272:
	v_cmp_eq_u16_e32 vcc_lo, 44, v7
	s_cbranch_vccz .LBB151_276
; %bb.273:
	global_load_u8 v5, v[3:4], off
	s_mov_b32 s3, 0
	s_mov_b32 s2, -1
	s_waitcnt vmcnt(0)
	v_lshlrev_b32_e32 v6, 23, v5
	v_cmp_ne_u32_e32 vcc_lo, 0, v5
	s_delay_alu instid0(VALU_DEP_2) | instskip(NEXT) | instid1(VALU_DEP_1)
	v_trunc_f32_e32 v6, v6
	v_mul_f32_e64 v9, 0x2f800000, |v6|
	s_delay_alu instid0(VALU_DEP_1) | instskip(NEXT) | instid1(VALU_DEP_1)
	v_floor_f32_e32 v9, v9
	v_fma_f32 v9, 0xcf800000, v9, |v6|
	v_ashrrev_i32_e32 v6, 31, v6
	s_delay_alu instid0(VALU_DEP_2) | instskip(NEXT) | instid1(VALU_DEP_1)
	v_cvt_u32_f32_e32 v9, v9
	v_xor_b32_e32 v9, v9, v6
	s_delay_alu instid0(VALU_DEP_1) | instskip(NEXT) | instid1(VALU_DEP_1)
	v_sub_nc_u32_e32 v6, v9, v6
	v_cndmask_b32_e32 v5, 0, v6, vcc_lo
	s_branch .LBB151_277
.LBB151_274:
	s_or_saveexec_b32 s44, s44
                                        ; implicit-def: $sgpr45
	s_delay_alu instid0(SALU_CYCLE_1)
	s_xor_b32 exec_lo, exec_lo, s44
	s_cbranch_execz .LBB151_59
.LBB151_275:
	v_add_f32_e64 v3, 0x46000000, |v2|
	s_and_not1_b32 s40, s40, exec_lo
	s_mov_b32 s45, 0
	s_delay_alu instid0(VALU_DEP_1) | instskip(NEXT) | instid1(VALU_DEP_1)
	v_and_b32_e32 v3, 0xff, v3
	v_cmp_ne_u32_e32 vcc_lo, 0, v3
	s_and_b32 s46, vcc_lo, exec_lo
	s_delay_alu instid0(SALU_CYCLE_1)
	s_or_b32 s40, s40, s46
	s_or_b32 exec_lo, exec_lo, s44
	v_mov_b32_e32 v7, s45
	s_and_saveexec_b32 s44, s40
	s_cbranch_execnz .LBB151_60
	s_branch .LBB151_61
.LBB151_276:
	s_mov_b32 s3, -1
                                        ; implicit-def: $vgpr5
.LBB151_277:
	s_mov_b32 s39, 0
.LBB151_278:
	s_delay_alu instid0(SALU_CYCLE_1)
	s_and_b32 vcc_lo, exec_lo, s39
	s_cbranch_vccz .LBB151_282
; %bb.279:
	v_cmp_eq_u16_e32 vcc_lo, 29, v7
	s_cbranch_vccz .LBB151_281
; %bb.280:
	global_load_b64 v[5:6], v[3:4], off
	s_mov_b32 s2, -1
	s_mov_b32 s3, 0
	s_branch .LBB151_282
.LBB151_281:
	s_mov_b32 s3, -1
                                        ; implicit-def: $vgpr5
.LBB151_282:
	s_mov_b32 s39, 0
.LBB151_283:
	s_delay_alu instid0(SALU_CYCLE_1)
	s_and_b32 vcc_lo, exec_lo, s39
	s_cbranch_vccz .LBB151_299
; %bb.284:
	v_cmp_gt_i16_e32 vcc_lo, 27, v7
	s_cbranch_vccnz .LBB151_287
; %bb.285:
	v_cmp_lt_i16_e32 vcc_lo, 27, v7
	s_cbranch_vccz .LBB151_288
; %bb.286:
	global_load_b32 v5, v[3:4], off
	s_mov_b32 s2, 0
	s_branch .LBB151_289
.LBB151_287:
	s_mov_b32 s2, -1
                                        ; implicit-def: $vgpr5
	s_branch .LBB151_292
.LBB151_288:
	s_mov_b32 s2, -1
                                        ; implicit-def: $vgpr5
.LBB151_289:
	s_delay_alu instid0(SALU_CYCLE_1)
	s_and_not1_b32 vcc_lo, exec_lo, s2
	s_cbranch_vccnz .LBB151_291
; %bb.290:
	global_load_u16 v5, v[3:4], off
.LBB151_291:
	s_mov_b32 s2, 0
.LBB151_292:
	s_delay_alu instid0(SALU_CYCLE_1)
	s_and_not1_b32 vcc_lo, exec_lo, s2
	s_cbranch_vccnz .LBB151_298
; %bb.293:
	global_load_u8 v6, v[3:4], off
	s_mov_b32 s39, 0
	s_mov_b32 s2, exec_lo
                                        ; implicit-def: $sgpr40
	s_waitcnt vmcnt(0)
	v_cmpx_lt_i16_e32 0x7f, v6
	s_xor_b32 s2, exec_lo, s2
	s_cbranch_execz .LBB151_310
; %bb.294:
	v_cmp_ne_u16_e32 vcc_lo, 0x80, v6
	s_mov_b32 s40, 0
	s_and_b32 s39, vcc_lo, exec_lo
	s_or_saveexec_b32 s2, s2
	v_mov_b32_e32 v5, s40
	s_xor_b32 exec_lo, exec_lo, s2
	s_cbranch_execnz .LBB151_311
.LBB151_295:
	s_or_b32 exec_lo, exec_lo, s2
	s_and_saveexec_b32 s2, s39
	s_cbranch_execz .LBB151_297
.LBB151_296:
	v_and_b32_e32 v5, 0xffff, v6
	s_delay_alu instid0(VALU_DEP_1) | instskip(NEXT) | instid1(VALU_DEP_1)
	v_and_b32_e32 v9, 7, v5
	v_clz_i32_u32_e32 v10, v9
	s_delay_alu instid0(VALU_DEP_1) | instskip(NEXT) | instid1(VALU_DEP_1)
	v_min_u32_e32 v10, 32, v10
	v_subrev_nc_u32_e32 v11, 28, v10
	v_sub_nc_u32_e32 v10, 29, v10
	s_delay_alu instid0(VALU_DEP_2) | instskip(SKIP_1) | instid1(VALU_DEP_2)
	v_lshlrev_b32_e32 v11, v11, v5
	v_bfe_u32 v5, v5, 3, 4
	v_and_b32_e32 v11, 7, v11
	s_delay_alu instid0(VALU_DEP_2) | instskip(NEXT) | instid1(VALU_DEP_2)
	v_cmp_eq_u32_e32 vcc_lo, 0, v5
	v_dual_cndmask_b32 v9, v9, v11 :: v_dual_lshlrev_b32 v6, 24, v6
	v_cndmask_b32_e32 v5, v5, v10, vcc_lo
	s_delay_alu instid0(VALU_DEP_2) | instskip(NEXT) | instid1(VALU_DEP_3)
	v_and_b32_e32 v6, 0x80000000, v6
	v_lshlrev_b32_e32 v9, 20, v9
	s_delay_alu instid0(VALU_DEP_3) | instskip(NEXT) | instid1(VALU_DEP_1)
	v_lshl_add_u32 v5, v5, 23, 0x3b800000
	v_or3_b32 v5, v6, v5, v9
	s_delay_alu instid0(VALU_DEP_1) | instskip(NEXT) | instid1(VALU_DEP_1)
	v_trunc_f32_e32 v5, v5
	v_mul_f32_e64 v6, 0x2f800000, |v5|
	s_delay_alu instid0(VALU_DEP_1) | instskip(NEXT) | instid1(VALU_DEP_1)
	v_floor_f32_e32 v6, v6
	v_fma_f32 v6, 0xcf800000, v6, |v5|
	v_ashrrev_i32_e32 v5, 31, v5
	s_delay_alu instid0(VALU_DEP_2) | instskip(NEXT) | instid1(VALU_DEP_1)
	v_cvt_u32_f32_e32 v6, v6
	v_xor_b32_e32 v6, v6, v5
	s_delay_alu instid0(VALU_DEP_1)
	v_sub_nc_u32_e32 v5, v6, v5
.LBB151_297:
	s_or_b32 exec_lo, exec_lo, s2
.LBB151_298:
	s_mov_b32 s2, -1
.LBB151_299:
	s_mov_b32 s39, 0
.LBB151_300:
	s_delay_alu instid0(SALU_CYCLE_1)
	s_and_b32 vcc_lo, exec_lo, s39
	s_cbranch_vccz .LBB151_333
; %bb.301:
	v_cmp_lt_i16_e32 vcc_lo, 22, v7
	s_cbranch_vccz .LBB151_309
; %bb.302:
	v_cmp_gt_i16_e32 vcc_lo, 24, v7
	s_cbranch_vccnz .LBB151_312
; %bb.303:
	v_cmp_lt_i16_e32 vcc_lo, 24, v7
	s_cbranch_vccz .LBB151_313
; %bb.304:
	global_load_u8 v6, v[3:4], off
	s_mov_b32 s39, 0
	s_mov_b32 s2, exec_lo
                                        ; implicit-def: $sgpr40
	s_waitcnt vmcnt(0)
	v_cmpx_lt_i16_e32 0x7f, v6
	s_xor_b32 s2, exec_lo, s2
	s_cbranch_execz .LBB151_325
; %bb.305:
	v_cmp_ne_u16_e32 vcc_lo, 0x80, v6
	s_mov_b32 s40, 0
	s_and_b32 s39, vcc_lo, exec_lo
	s_or_saveexec_b32 s2, s2
	v_mov_b32_e32 v5, s40
	s_xor_b32 exec_lo, exec_lo, s2
	s_cbranch_execnz .LBB151_326
.LBB151_306:
	s_or_b32 exec_lo, exec_lo, s2
	s_and_saveexec_b32 s2, s39
	s_cbranch_execz .LBB151_308
.LBB151_307:
	v_and_b32_e32 v5, 0xffff, v6
	s_delay_alu instid0(VALU_DEP_1) | instskip(NEXT) | instid1(VALU_DEP_1)
	v_and_b32_e32 v9, 3, v5
	v_clz_i32_u32_e32 v10, v9
	s_delay_alu instid0(VALU_DEP_1) | instskip(NEXT) | instid1(VALU_DEP_1)
	v_min_u32_e32 v10, 32, v10
	v_subrev_nc_u32_e32 v11, 29, v10
	v_sub_nc_u32_e32 v10, 30, v10
	s_delay_alu instid0(VALU_DEP_2) | instskip(SKIP_1) | instid1(VALU_DEP_2)
	v_lshlrev_b32_e32 v11, v11, v5
	v_bfe_u32 v5, v5, 2, 5
	v_and_b32_e32 v11, 3, v11
	s_delay_alu instid0(VALU_DEP_2) | instskip(NEXT) | instid1(VALU_DEP_2)
	v_cmp_eq_u32_e32 vcc_lo, 0, v5
	v_dual_cndmask_b32 v9, v9, v11 :: v_dual_lshlrev_b32 v6, 24, v6
	v_cndmask_b32_e32 v5, v5, v10, vcc_lo
	s_delay_alu instid0(VALU_DEP_2) | instskip(NEXT) | instid1(VALU_DEP_3)
	v_and_b32_e32 v6, 0x80000000, v6
	v_lshlrev_b32_e32 v9, 21, v9
	s_delay_alu instid0(VALU_DEP_3) | instskip(NEXT) | instid1(VALU_DEP_1)
	v_lshl_add_u32 v5, v5, 23, 0x37800000
	v_or3_b32 v5, v6, v5, v9
	s_delay_alu instid0(VALU_DEP_1) | instskip(NEXT) | instid1(VALU_DEP_1)
	v_trunc_f32_e32 v5, v5
	v_mul_f32_e64 v6, 0x2f800000, |v5|
	s_delay_alu instid0(VALU_DEP_1) | instskip(NEXT) | instid1(VALU_DEP_1)
	v_floor_f32_e32 v6, v6
	v_fma_f32 v6, 0xcf800000, v6, |v5|
	v_ashrrev_i32_e32 v5, 31, v5
	s_delay_alu instid0(VALU_DEP_2) | instskip(NEXT) | instid1(VALU_DEP_1)
	v_cvt_u32_f32_e32 v6, v6
	v_xor_b32_e32 v6, v6, v5
	s_delay_alu instid0(VALU_DEP_1)
	v_sub_nc_u32_e32 v5, v6, v5
.LBB151_308:
	s_or_b32 exec_lo, exec_lo, s2
	s_mov_b32 s2, 0
	s_branch .LBB151_314
.LBB151_309:
	s_mov_b32 s39, -1
                                        ; implicit-def: $vgpr5
	s_branch .LBB151_320
.LBB151_310:
	s_or_saveexec_b32 s2, s2
	v_mov_b32_e32 v5, s40
	s_xor_b32 exec_lo, exec_lo, s2
	s_cbranch_execz .LBB151_295
.LBB151_311:
	v_cmp_ne_u16_e32 vcc_lo, 0, v6
	v_mov_b32_e32 v5, 0
	s_and_not1_b32 s39, s39, exec_lo
	s_and_b32 s40, vcc_lo, exec_lo
	s_delay_alu instid0(SALU_CYCLE_1)
	s_or_b32 s39, s39, s40
	s_or_b32 exec_lo, exec_lo, s2
	s_and_saveexec_b32 s2, s39
	s_cbranch_execnz .LBB151_296
	s_branch .LBB151_297
.LBB151_312:
	s_mov_b32 s2, -1
                                        ; implicit-def: $vgpr5
	s_branch .LBB151_317
.LBB151_313:
	s_mov_b32 s2, -1
                                        ; implicit-def: $vgpr5
.LBB151_314:
	s_delay_alu instid0(SALU_CYCLE_1)
	s_and_b32 vcc_lo, exec_lo, s2
	s_cbranch_vccz .LBB151_316
; %bb.315:
	global_load_u8 v5, v[3:4], off
	s_waitcnt vmcnt(0)
	v_lshlrev_b32_e32 v5, 24, v5
	s_delay_alu instid0(VALU_DEP_1) | instskip(NEXT) | instid1(VALU_DEP_1)
	v_and_b32_e32 v6, 0x7f000000, v5
	v_clz_i32_u32_e32 v9, v6
	v_cmp_ne_u32_e32 vcc_lo, 0, v6
	v_add_nc_u32_e32 v11, 0x1000000, v6
	s_delay_alu instid0(VALU_DEP_3) | instskip(NEXT) | instid1(VALU_DEP_1)
	v_min_u32_e32 v9, 32, v9
	v_sub_nc_u32_e64 v9, v9, 4 clamp
	s_delay_alu instid0(VALU_DEP_1) | instskip(SKIP_1) | instid1(VALU_DEP_2)
	v_lshlrev_b32_e32 v10, v9, v6
	v_lshlrev_b32_e32 v9, 23, v9
	v_lshrrev_b32_e32 v10, 4, v10
	s_delay_alu instid0(VALU_DEP_1) | instskip(SKIP_1) | instid1(VALU_DEP_2)
	v_sub_nc_u32_e32 v9, v10, v9
	v_ashrrev_i32_e32 v10, 8, v11
	v_add_nc_u32_e32 v9, 0x3c000000, v9
	s_delay_alu instid0(VALU_DEP_1) | instskip(NEXT) | instid1(VALU_DEP_1)
	v_and_or_b32 v9, 0x7f800000, v10, v9
	v_cndmask_b32_e32 v6, 0, v9, vcc_lo
	s_delay_alu instid0(VALU_DEP_1) | instskip(NEXT) | instid1(VALU_DEP_1)
	v_and_or_b32 v5, 0x80000000, v5, v6
	v_trunc_f32_e32 v5, v5
	s_delay_alu instid0(VALU_DEP_1) | instskip(NEXT) | instid1(VALU_DEP_1)
	v_mul_f32_e64 v6, 0x2f800000, |v5|
	v_floor_f32_e32 v6, v6
	s_delay_alu instid0(VALU_DEP_1) | instskip(SKIP_1) | instid1(VALU_DEP_2)
	v_fma_f32 v6, 0xcf800000, v6, |v5|
	v_ashrrev_i32_e32 v5, 31, v5
	v_cvt_u32_f32_e32 v6, v6
	s_delay_alu instid0(VALU_DEP_1) | instskip(NEXT) | instid1(VALU_DEP_1)
	v_xor_b32_e32 v6, v6, v5
	v_sub_nc_u32_e32 v5, v6, v5
.LBB151_316:
	s_mov_b32 s2, 0
.LBB151_317:
	s_delay_alu instid0(SALU_CYCLE_1)
	s_and_not1_b32 vcc_lo, exec_lo, s2
	s_cbranch_vccnz .LBB151_319
; %bb.318:
	global_load_u8 v5, v[3:4], off
	s_waitcnt vmcnt(0)
	v_lshlrev_b32_e32 v6, 25, v5
	v_lshlrev_b16 v5, 8, v5
	s_delay_alu instid0(VALU_DEP_2) | instskip(NEXT) | instid1(VALU_DEP_2)
	v_lshrrev_b32_e32 v9, 4, v6
	v_and_or_b32 v10, 0x7f00, v5, 0.5
	v_cmp_gt_u32_e32 vcc_lo, 0x8000000, v6
	v_bfe_i32 v5, v5, 0, 16
	s_delay_alu instid0(VALU_DEP_4) | instskip(NEXT) | instid1(VALU_DEP_1)
	v_or_b32_e32 v9, 0x70000000, v9
	v_dual_add_f32 v10, -0.5, v10 :: v_dual_mul_f32 v9, 0x7800000, v9
	s_delay_alu instid0(VALU_DEP_1) | instskip(NEXT) | instid1(VALU_DEP_1)
	v_cndmask_b32_e32 v6, v9, v10, vcc_lo
	v_and_or_b32 v5, 0x80000000, v5, v6
	s_delay_alu instid0(VALU_DEP_1) | instskip(NEXT) | instid1(VALU_DEP_1)
	v_trunc_f32_e32 v5, v5
	v_mul_f32_e64 v6, 0x2f800000, |v5|
	s_delay_alu instid0(VALU_DEP_1) | instskip(NEXT) | instid1(VALU_DEP_1)
	v_floor_f32_e32 v6, v6
	v_fma_f32 v6, 0xcf800000, v6, |v5|
	v_ashrrev_i32_e32 v5, 31, v5
	s_delay_alu instid0(VALU_DEP_2) | instskip(NEXT) | instid1(VALU_DEP_1)
	v_cvt_u32_f32_e32 v6, v6
	v_xor_b32_e32 v6, v6, v5
	s_delay_alu instid0(VALU_DEP_1)
	v_sub_nc_u32_e32 v5, v6, v5
.LBB151_319:
	s_mov_b32 s39, 0
	s_mov_b32 s2, -1
.LBB151_320:
	s_and_not1_b32 vcc_lo, exec_lo, s39
	s_cbranch_vccnz .LBB151_333
; %bb.321:
	v_cmp_lt_i16_e32 vcc_lo, 14, v7
	s_cbranch_vccz .LBB151_324
; %bb.322:
	v_cmp_eq_u16_e32 vcc_lo, 15, v7
	s_cbranch_vccz .LBB151_327
; %bb.323:
	global_load_u16 v5, v[3:4], off
	s_mov_b32 s2, -1
	s_mov_b32 s3, 0
	s_waitcnt vmcnt(0)
	v_lshlrev_b32_e32 v5, 16, v5
	s_delay_alu instid0(VALU_DEP_1) | instskip(NEXT) | instid1(VALU_DEP_1)
	v_trunc_f32_e32 v5, v5
	v_mul_f32_e64 v6, 0x2f800000, |v5|
	s_delay_alu instid0(VALU_DEP_1) | instskip(NEXT) | instid1(VALU_DEP_1)
	v_floor_f32_e32 v6, v6
	v_fma_f32 v6, 0xcf800000, v6, |v5|
	v_ashrrev_i32_e32 v5, 31, v5
	s_delay_alu instid0(VALU_DEP_2) | instskip(NEXT) | instid1(VALU_DEP_1)
	v_cvt_u32_f32_e32 v6, v6
	v_xor_b32_e32 v6, v6, v5
	s_delay_alu instid0(VALU_DEP_1)
	v_sub_nc_u32_e32 v5, v6, v5
	s_branch .LBB151_328
.LBB151_324:
	s_mov_b32 s39, -1
                                        ; implicit-def: $vgpr5
	s_branch .LBB151_329
.LBB151_325:
	s_or_saveexec_b32 s2, s2
	v_mov_b32_e32 v5, s40
	s_xor_b32 exec_lo, exec_lo, s2
	s_cbranch_execz .LBB151_306
.LBB151_326:
	v_cmp_ne_u16_e32 vcc_lo, 0, v6
	v_mov_b32_e32 v5, 0
	s_and_not1_b32 s39, s39, exec_lo
	s_and_b32 s40, vcc_lo, exec_lo
	s_delay_alu instid0(SALU_CYCLE_1)
	s_or_b32 s39, s39, s40
	s_or_b32 exec_lo, exec_lo, s2
	s_and_saveexec_b32 s2, s39
	s_cbranch_execnz .LBB151_307
	s_branch .LBB151_308
.LBB151_327:
	s_mov_b32 s3, -1
                                        ; implicit-def: $vgpr5
.LBB151_328:
	s_mov_b32 s39, 0
.LBB151_329:
	s_delay_alu instid0(SALU_CYCLE_1)
	s_and_b32 vcc_lo, exec_lo, s39
	s_cbranch_vccz .LBB151_333
; %bb.330:
	v_cmp_eq_u16_e32 vcc_lo, 11, v7
	s_cbranch_vccz .LBB151_332
; %bb.331:
	global_load_u8 v5, v[3:4], off
	s_mov_b32 s3, 0
	s_mov_b32 s2, -1
	s_waitcnt vmcnt(0)
	v_cmp_ne_u16_e32 vcc_lo, 0, v5
	v_cndmask_b32_e64 v5, 0, 1, vcc_lo
	s_branch .LBB151_333
.LBB151_332:
	s_mov_b32 s3, -1
                                        ; implicit-def: $vgpr5
.LBB151_333:
	s_branch .LBB151_30
.LBB151_334:
	v_cmp_gt_i16_e32 vcc_lo, 5, v7
	s_cbranch_vccnz .LBB151_339
; %bb.335:
	v_cmp_gt_i16_e32 vcc_lo, 8, v7
	s_cbranch_vccnz .LBB151_340
; %bb.336:
	;; [unrolled: 3-line block ×3, first 2 shown]
	v_cmp_lt_i16_e32 vcc_lo, 9, v7
	s_cbranch_vccz .LBB151_342
; %bb.338:
	global_load_b64 v[5:6], v[3:4], off
	s_mov_b32 s2, 0
	s_waitcnt vmcnt(0)
	v_trunc_f64_e32 v[5:6], v[5:6]
	s_delay_alu instid0(VALU_DEP_1) | instskip(NEXT) | instid1(VALU_DEP_1)
	v_ldexp_f64 v[9:10], v[5:6], 0xffffffe0
	v_floor_f64_e32 v[9:10], v[9:10]
	s_delay_alu instid0(VALU_DEP_1) | instskip(NEXT) | instid1(VALU_DEP_1)
	v_fma_f64 v[5:6], 0xc1f00000, v[9:10], v[5:6]
	v_cvt_u32_f64_e32 v5, v[5:6]
	s_branch .LBB151_343
.LBB151_339:
	s_mov_b32 s2, -1
                                        ; implicit-def: $vgpr5
	s_branch .LBB151_361
.LBB151_340:
	s_mov_b32 s2, -1
                                        ; implicit-def: $vgpr5
	s_branch .LBB151_349
.LBB151_341:
	s_mov_b32 s2, -1
                                        ; implicit-def: $vgpr5
	s_branch .LBB151_346
.LBB151_342:
	s_mov_b32 s2, -1
                                        ; implicit-def: $vgpr5
.LBB151_343:
	s_delay_alu instid0(SALU_CYCLE_1)
	s_and_not1_b32 vcc_lo, exec_lo, s2
	s_cbranch_vccnz .LBB151_345
; %bb.344:
	global_load_b32 v5, v[3:4], off
	s_waitcnt vmcnt(0)
	v_trunc_f32_e32 v5, v5
	s_delay_alu instid0(VALU_DEP_1) | instskip(NEXT) | instid1(VALU_DEP_1)
	v_mul_f32_e64 v6, 0x2f800000, |v5|
	v_floor_f32_e32 v6, v6
	s_delay_alu instid0(VALU_DEP_1) | instskip(SKIP_1) | instid1(VALU_DEP_2)
	v_fma_f32 v6, 0xcf800000, v6, |v5|
	v_ashrrev_i32_e32 v5, 31, v5
	v_cvt_u32_f32_e32 v6, v6
	s_delay_alu instid0(VALU_DEP_1) | instskip(NEXT) | instid1(VALU_DEP_1)
	v_xor_b32_e32 v6, v6, v5
	v_sub_nc_u32_e32 v5, v6, v5
.LBB151_345:
	s_mov_b32 s2, 0
.LBB151_346:
	s_delay_alu instid0(SALU_CYCLE_1)
	s_and_not1_b32 vcc_lo, exec_lo, s2
	s_cbranch_vccnz .LBB151_348
; %bb.347:
	global_load_b32 v5, v[3:4], off
	s_waitcnt vmcnt(0)
	v_cvt_f32_f16_e32 v5, v5
	s_delay_alu instid0(VALU_DEP_1)
	v_cvt_i32_f32_e32 v5, v5
.LBB151_348:
	s_mov_b32 s2, 0
.LBB151_349:
	s_delay_alu instid0(SALU_CYCLE_1)
	s_and_not1_b32 vcc_lo, exec_lo, s2
	s_cbranch_vccnz .LBB151_360
; %bb.350:
	v_cmp_gt_i16_e32 vcc_lo, 6, v7
	s_cbranch_vccnz .LBB151_353
; %bb.351:
	v_cmp_lt_i16_e32 vcc_lo, 6, v7
	s_cbranch_vccz .LBB151_354
; %bb.352:
	global_load_b64 v[5:6], v[3:4], off
	s_mov_b32 s2, 0
	s_waitcnt vmcnt(0)
	v_trunc_f64_e32 v[5:6], v[5:6]
	s_delay_alu instid0(VALU_DEP_1) | instskip(NEXT) | instid1(VALU_DEP_1)
	v_ldexp_f64 v[9:10], v[5:6], 0xffffffe0
	v_floor_f64_e32 v[9:10], v[9:10]
	s_delay_alu instid0(VALU_DEP_1) | instskip(NEXT) | instid1(VALU_DEP_1)
	v_fma_f64 v[5:6], 0xc1f00000, v[9:10], v[5:6]
	v_cvt_u32_f64_e32 v5, v[5:6]
	s_branch .LBB151_355
.LBB151_353:
	s_mov_b32 s2, -1
                                        ; implicit-def: $vgpr5
	s_branch .LBB151_358
.LBB151_354:
	s_mov_b32 s2, -1
                                        ; implicit-def: $vgpr5
.LBB151_355:
	s_delay_alu instid0(SALU_CYCLE_1)
	s_and_not1_b32 vcc_lo, exec_lo, s2
	s_cbranch_vccnz .LBB151_357
; %bb.356:
	global_load_b32 v5, v[3:4], off
	s_waitcnt vmcnt(0)
	v_trunc_f32_e32 v5, v5
	s_delay_alu instid0(VALU_DEP_1) | instskip(NEXT) | instid1(VALU_DEP_1)
	v_mul_f32_e64 v6, 0x2f800000, |v5|
	v_floor_f32_e32 v6, v6
	s_delay_alu instid0(VALU_DEP_1) | instskip(SKIP_1) | instid1(VALU_DEP_2)
	v_fma_f32 v6, 0xcf800000, v6, |v5|
	v_ashrrev_i32_e32 v5, 31, v5
	v_cvt_u32_f32_e32 v6, v6
	s_delay_alu instid0(VALU_DEP_1) | instskip(NEXT) | instid1(VALU_DEP_1)
	v_xor_b32_e32 v6, v6, v5
	v_sub_nc_u32_e32 v5, v6, v5
.LBB151_357:
	s_mov_b32 s2, 0
.LBB151_358:
	s_delay_alu instid0(SALU_CYCLE_1)
	s_and_not1_b32 vcc_lo, exec_lo, s2
	s_cbranch_vccnz .LBB151_360
; %bb.359:
	global_load_u16 v5, v[3:4], off
	s_waitcnt vmcnt(0)
	v_cvt_f32_f16_e32 v5, v5
	s_delay_alu instid0(VALU_DEP_1)
	v_cvt_i32_f32_e32 v5, v5
.LBB151_360:
	s_mov_b32 s2, 0
.LBB151_361:
	s_delay_alu instid0(SALU_CYCLE_1)
	s_and_not1_b32 vcc_lo, exec_lo, s2
	s_cbranch_vccnz .LBB151_381
; %bb.362:
	v_cmp_gt_i16_e32 vcc_lo, 2, v7
	s_cbranch_vccnz .LBB151_366
; %bb.363:
	v_cmp_gt_i16_e32 vcc_lo, 3, v7
	s_cbranch_vccnz .LBB151_367
; %bb.364:
	v_cmp_lt_i16_e32 vcc_lo, 3, v7
	s_cbranch_vccz .LBB151_368
; %bb.365:
	global_load_b64 v[5:6], v[3:4], off
	s_mov_b32 s2, 0
	s_branch .LBB151_369
.LBB151_366:
	s_mov_b32 s2, -1
                                        ; implicit-def: $vgpr5
	s_branch .LBB151_375
.LBB151_367:
	s_mov_b32 s2, -1
                                        ; implicit-def: $vgpr5
	s_branch .LBB151_372
.LBB151_368:
	s_mov_b32 s2, -1
                                        ; implicit-def: $vgpr5
.LBB151_369:
	s_delay_alu instid0(SALU_CYCLE_1)
	s_and_not1_b32 vcc_lo, exec_lo, s2
	s_cbranch_vccnz .LBB151_371
; %bb.370:
	global_load_b32 v5, v[3:4], off
.LBB151_371:
	s_mov_b32 s2, 0
.LBB151_372:
	s_delay_alu instid0(SALU_CYCLE_1)
	s_and_not1_b32 vcc_lo, exec_lo, s2
	s_cbranch_vccnz .LBB151_374
; %bb.373:
	global_load_u16 v5, v[3:4], off
.LBB151_374:
	s_mov_b32 s2, 0
.LBB151_375:
	s_delay_alu instid0(SALU_CYCLE_1)
	s_and_not1_b32 vcc_lo, exec_lo, s2
	s_cbranch_vccnz .LBB151_381
; %bb.376:
	v_cmp_lt_i16_e32 vcc_lo, 0, v7
	s_mov_b32 s2, 0
	s_cbranch_vccz .LBB151_378
; %bb.377:
	global_load_u8 v5, v[3:4], off
	s_branch .LBB151_379
.LBB151_378:
	s_mov_b32 s2, -1
                                        ; implicit-def: $vgpr5
.LBB151_379:
	s_delay_alu instid0(SALU_CYCLE_1)
	s_and_not1_b32 vcc_lo, exec_lo, s2
	s_cbranch_vccnz .LBB151_381
; %bb.380:
	global_load_u8 v5, v[3:4], off
.LBB151_381:
	s_branch .LBB151_31
.LBB151_382:
	s_mov_b32 s2, 0
.LBB151_383:
	s_mov_b32 s44, 0
                                        ; implicit-def: $vgpr8
.LBB151_384:
	s_and_b32 s39, s2, exec_lo
	s_and_b32 s40, s3, exec_lo
	;; [unrolled: 1-line block ×3, first 2 shown]
	s_or_not1_b32 s2, s44, exec_lo
.LBB151_385:
	s_or_b32 exec_lo, exec_lo, s42
	s_mov_b32 s45, 0
	s_mov_b32 s44, 0
                                        ; implicit-def: $vgpr7
                                        ; implicit-def: $vgpr5_vgpr6
                                        ; implicit-def: $vgpr2
                                        ; implicit-def: $vgpr0
                                        ; implicit-def: $vgpr3_vgpr4
	s_and_saveexec_b32 s42, s2
	s_cbranch_execz .LBB151_1269
; %bb.386:
	s_mov_b32 s48, -1
	s_mov_b32 s43, s41
	s_mov_b32 s45, s40
	;; [unrolled: 1-line block ×3, first 2 shown]
	s_mov_b32 s46, exec_lo
	v_cmpx_gt_i32_e64 s37, v8
	s_cbranch_execz .LBB151_703
; %bb.387:
	s_and_not1_b32 vcc_lo, exec_lo, s29
	s_cbranch_vccnz .LBB151_393
; %bb.388:
	v_dual_mov_b32 v2, 0 :: v_dual_mov_b32 v3, 0
	s_waitcnt vmcnt(0)
	v_mov_b32_e32 v0, 0
	s_and_not1_b32 vcc_lo, exec_lo, s38
	s_mov_b32 s43, 0
	s_cbranch_vccnz .LBB151_394
; %bb.389:
	s_add_i32 s2, s36, 1
	v_dual_mov_b32 v3, 0 :: v_dual_mov_b32 v0, 0
	v_dual_mov_b32 v2, 0 :: v_dual_mov_b32 v1, v8
	s_and_b32 s44, s2, 30
	s_add_u32 s2, s20, 0xffffffec
	s_addc_u32 s3, s21, -1
	s_set_inst_prefetch_distance 0x1
	.p2align	6
.LBB151_390:                            ; =>This Inner Loop Header: Depth=1
	s_clause 0x2
	s_load_b128 s[48:51], s[2:3], 0x18
	s_load_b64 s[56:57], s[2:3], 0x28
	s_load_b128 s[52:55], s[2:3], 0xd8
	s_waitcnt lgkmcnt(0)
	v_mul_hi_u32 v4, s49, v1
	s_delay_alu instid0(VALU_DEP_1) | instskip(NEXT) | instid1(VALU_DEP_1)
	v_add_nc_u32_e32 v4, v1, v4
	v_lshrrev_b32_e32 v4, s50, v4
	s_delay_alu instid0(VALU_DEP_1)
	v_mul_hi_u32 v5, s56, v4
	v_mul_lo_u32 v6, v4, s48
	s_load_b64 s[48:49], s[2:3], 0xe8
	s_add_u32 s2, s2, 24
	s_addc_u32 s3, s3, 0
	s_add_i32 s44, s44, -2
	s_delay_alu instid0(SALU_CYCLE_1) | instskip(NEXT) | instid1(VALU_DEP_2)
	s_cmp_eq_u32 s44, 0
	v_add_nc_u32_e32 v5, v4, v5
	s_delay_alu instid0(VALU_DEP_2) | instskip(NEXT) | instid1(VALU_DEP_2)
	v_sub_nc_u32_e32 v6, v1, v6
	v_lshrrev_b32_e32 v1, s57, v5
	s_delay_alu instid0(VALU_DEP_2) | instskip(NEXT) | instid1(VALU_DEP_2)
	v_mul_lo_u32 v7, v6, s52
	v_mul_lo_u32 v5, v1, s51
	s_delay_alu instid0(VALU_DEP_1) | instskip(SKIP_2) | instid1(VALU_DEP_3)
	v_sub_nc_u32_e32 v4, v4, v5
	v_mul_lo_u32 v5, v6, s53
	v_mul_lo_u32 v6, v6, s54
	;; [unrolled: 1-line block ×3, first 2 shown]
	s_waitcnt lgkmcnt(0)
	v_mul_lo_u32 v10, v4, s48
	v_mul_lo_u32 v4, v4, s49
	s_delay_alu instid0(VALU_DEP_3) | instskip(NEXT) | instid1(VALU_DEP_3)
	v_add3_u32 v2, v7, v2, v9
	v_add3_u32 v0, v5, v0, v10
	s_delay_alu instid0(VALU_DEP_3)
	v_add3_u32 v3, v6, v3, v4
	s_cbranch_scc0 .LBB151_390
; %bb.391:
	s_set_inst_prefetch_distance 0x2
	s_bitcmp1_b32 s36, 0
	s_cselect_b32 s44, -1, 0
	s_delay_alu instid0(SALU_CYCLE_1)
	s_and_b32 vcc_lo, exec_lo, s44
	s_cbranch_vccnz .LBB151_394
; %bb.392:
	s_clause 0x3
	s_load_b64 s[44:45], s[2:3], 0x18
	s_load_b32 s47, s[2:3], 0x20
	s_load_b64 s[48:49], s[2:3], 0xd8
	s_load_b32 s2, s[2:3], 0xe0
	s_waitcnt lgkmcnt(0)
	v_mul_hi_u32 v4, s45, v1
	s_delay_alu instid0(VALU_DEP_1) | instskip(NEXT) | instid1(VALU_DEP_1)
	v_add_nc_u32_e32 v4, v1, v4
	v_lshrrev_b32_e32 v4, s47, v4
	s_delay_alu instid0(VALU_DEP_1) | instskip(NEXT) | instid1(VALU_DEP_1)
	v_mul_lo_u32 v4, v4, s44
	v_sub_nc_u32_e32 v7, v1, v4
	s_delay_alu instid0(VALU_DEP_1) | instskip(SKIP_1) | instid1(VALU_DEP_2)
	v_mad_u64_u32 v[4:5], null, v7, s48, v[2:3]
	v_mad_u64_u32 v[1:2], null, v7, s49, v[0:1]
	;; [unrolled: 1-line block ×3, first 2 shown]
	v_mov_b32_e32 v2, v4
	s_delay_alu instid0(VALU_DEP_3) | instskip(NEXT) | instid1(VALU_DEP_3)
	v_mov_b32_e32 v0, v1
	v_mov_b32_e32 v3, v5
	s_branch .LBB151_394
.LBB151_393:
	s_mov_b32 s43, -1
                                        ; implicit-def: $vgpr2
                                        ; implicit-def: $vgpr0
                                        ; implicit-def: $vgpr3
.LBB151_394:
	s_delay_alu instid0(SALU_CYCLE_1)
	s_and_not1_b32 vcc_lo, exec_lo, s43
	s_cbranch_vccnz .LBB151_397
; %bb.395:
	s_waitcnt vmcnt(0)
	v_mul_hi_u32 v0, s17, v8
	s_and_not1_b32 vcc_lo, exec_lo, s35
	s_delay_alu instid0(VALU_DEP_1) | instskip(NEXT) | instid1(VALU_DEP_1)
	v_add_nc_u32_e32 v0, v8, v0
	v_lshrrev_b32_e32 v1, s18, v0
	s_delay_alu instid0(VALU_DEP_1) | instskip(NEXT) | instid1(VALU_DEP_1)
	v_mul_lo_u32 v0, v1, s16
	v_sub_nc_u32_e32 v3, v8, v0
	s_delay_alu instid0(VALU_DEP_1)
	v_mul_lo_u32 v2, v3, s12
	v_mul_lo_u32 v0, v3, s13
	;; [unrolled: 1-line block ×3, first 2 shown]
	s_cbranch_vccnz .LBB151_397
; %bb.396:
	v_mul_hi_u32 v4, s24, v1
	s_delay_alu instid0(VALU_DEP_1) | instskip(NEXT) | instid1(VALU_DEP_1)
	v_add_nc_u32_e32 v4, v1, v4
	v_lshrrev_b32_e32 v4, s25, v4
	s_delay_alu instid0(VALU_DEP_1) | instskip(NEXT) | instid1(VALU_DEP_1)
	v_mul_lo_u32 v4, v4, s19
	v_sub_nc_u32_e32 v7, v1, v4
	s_delay_alu instid0(VALU_DEP_1) | instskip(SKIP_1) | instid1(VALU_DEP_2)
	v_mad_u64_u32 v[4:5], null, v7, s15, v[2:3]
	v_mad_u64_u32 v[1:2], null, v7, s22, v[0:1]
	;; [unrolled: 1-line block ×3, first 2 shown]
	v_mov_b32_e32 v2, v4
	s_delay_alu instid0(VALU_DEP_3) | instskip(NEXT) | instid1(VALU_DEP_3)
	v_mov_b32_e32 v0, v1
	v_mov_b32_e32 v3, v5
.LBB151_397:
	s_waitcnt vmcnt(0)
	v_and_b32_e64 v6, 0xff, s34
	s_delay_alu instid0(VALU_DEP_2) | instskip(NEXT) | instid1(VALU_DEP_1)
	v_add_co_u32 v4, s2, s6, v0
	v_add_co_ci_u32_e64 v5, null, s7, 0, s2
	s_delay_alu instid0(VALU_DEP_3)
	v_cmp_gt_i16_e32 vcc_lo, 11, v6
	s_mov_b32 s2, 0
	s_cbranch_vccnz .LBB151_404
; %bb.398:
	v_cmp_lt_i16_e32 vcc_lo, 25, v6
	s_cbranch_vccz .LBB151_413
; %bb.399:
	v_cmp_lt_i16_e32 vcc_lo, 28, v6
	s_cbranch_vccz .LBB151_415
	;; [unrolled: 3-line block ×4, first 2 shown]
; %bb.402:
	v_cmp_eq_u16_e32 vcc_lo, 46, v6
	s_mov_b32 s3, 0
	s_cbranch_vccz .LBB151_421
; %bb.403:
	global_load_b32 v0, v[4:5], off
	s_mov_b32 s2, -1
	s_mov_b32 s43, 0
	s_waitcnt vmcnt(0)
	v_lshlrev_b32_e32 v0, 16, v0
	s_delay_alu instid0(VALU_DEP_1)
	v_cvt_f64_f32_e32 v[0:1], v0
	s_branch .LBB151_423
.LBB151_404:
	s_mov_b32 s43, s41
                                        ; implicit-def: $vgpr0_vgpr1
	s_cbranch_execnz .LBB151_489
.LBB151_405:
	s_and_not1_b32 vcc_lo, exec_lo, s2
	s_cbranch_vccnz .LBB151_537
.LBB151_406:
	v_and_b32_e64 v7, 0xff, s33
	v_add_co_u32 v3, s2, s8, v3
	s_delay_alu instid0(VALU_DEP_1) | instskip(NEXT) | instid1(VALU_DEP_3)
	v_add_co_ci_u32_e64 v4, null, s9, 0, s2
	v_cmp_gt_i16_e32 vcc_lo, 11, v7
	s_mov_b32 s2, 0
	s_cbranch_vccnz .LBB151_414
; %bb.407:
	v_cmp_lt_i16_e32 vcc_lo, 25, v7
	s_cbranch_vccz .LBB151_416
; %bb.408:
	v_cmp_lt_i16_e32 vcc_lo, 28, v7
	s_cbranch_vccz .LBB151_418
	;; [unrolled: 3-line block ×4, first 2 shown]
; %bb.411:
	v_cmp_eq_u16_e32 vcc_lo, 46, v7
	s_mov_b32 s44, 0
	s_cbranch_vccz .LBB151_540
; %bb.412:
	global_load_b32 v5, v[3:4], off
	s_mov_b32 s2, -1
	s_mov_b32 s3, 0
	s_waitcnt vmcnt(0)
	v_lshlrev_b32_e32 v5, 16, v5
	s_delay_alu instid0(VALU_DEP_1) | instskip(NEXT) | instid1(VALU_DEP_1)
	v_trunc_f32_e32 v5, v5
	v_mul_f32_e64 v6, 0x2f800000, |v5|
	s_delay_alu instid0(VALU_DEP_1) | instskip(NEXT) | instid1(VALU_DEP_1)
	v_floor_f32_e32 v6, v6
	v_fma_f32 v6, 0xcf800000, v6, |v5|
	v_ashrrev_i32_e32 v5, 31, v5
	s_delay_alu instid0(VALU_DEP_2) | instskip(NEXT) | instid1(VALU_DEP_1)
	v_cvt_u32_f32_e32 v6, v6
	v_xor_b32_e32 v6, v6, v5
	s_delay_alu instid0(VALU_DEP_1)
	v_sub_nc_u32_e32 v5, v6, v5
	s_branch .LBB151_542
.LBB151_413:
	s_mov_b32 s3, -1
	s_mov_b32 s43, s41
                                        ; implicit-def: $vgpr0_vgpr1
	s_branch .LBB151_455
.LBB151_414:
	s_mov_b32 s44, -1
	s_mov_b32 s3, s40
                                        ; implicit-def: $vgpr5
	s_branch .LBB151_603
.LBB151_415:
	s_mov_b32 s3, -1
	s_mov_b32 s43, s41
                                        ; implicit-def: $vgpr0_vgpr1
	s_branch .LBB151_434
.LBB151_416:
	s_mov_b32 s44, -1
	s_mov_b32 s3, s40
                                        ; implicit-def: $vgpr5
	s_branch .LBB151_569
.LBB151_417:
	s_mov_b32 s3, -1
	s_mov_b32 s43, s41
                                        ; implicit-def: $vgpr0_vgpr1
	s_branch .LBB151_429
.LBB151_418:
	s_mov_b32 s44, -1
	s_mov_b32 s3, s40
                                        ; implicit-def: $vgpr5
	s_branch .LBB151_552
.LBB151_419:
	s_mov_b32 s3, -1
	s_mov_b32 s43, s41
	s_branch .LBB151_422
.LBB151_420:
	s_mov_b32 s44, -1
	s_mov_b32 s3, s40
                                        ; implicit-def: $vgpr5
	s_branch .LBB151_547
.LBB151_421:
	s_mov_b32 s43, -1
.LBB151_422:
                                        ; implicit-def: $vgpr0_vgpr1
.LBB151_423:
	s_and_b32 vcc_lo, exec_lo, s3
	s_cbranch_vccz .LBB151_428
; %bb.424:
	v_cmp_eq_u16_e32 vcc_lo, 44, v6
	s_cbranch_vccz .LBB151_427
; %bb.425:
	global_load_u8 v7, v[4:5], off
	s_mov_b32 s43, 0
	s_mov_b32 s2, -1
	s_waitcnt vmcnt(0)
	v_cmp_ne_u32_e32 vcc_lo, 0xff, v7
	v_lshlrev_b32_e32 v0, 23, v7
	s_delay_alu instid0(VALU_DEP_1) | instskip(NEXT) | instid1(VALU_DEP_1)
	v_cvt_f64_f32_e32 v[0:1], v0
	v_cndmask_b32_e32 v1, 0x7ff80000, v1, vcc_lo
	s_delay_alu instid0(VALU_DEP_2) | instskip(SKIP_1) | instid1(VALU_DEP_3)
	v_cndmask_b32_e32 v0, 0x20000000, v0, vcc_lo
	v_cmp_ne_u32_e32 vcc_lo, 0, v7
	v_cndmask_b32_e32 v1, 0x38000000, v1, vcc_lo
	s_delay_alu instid0(VALU_DEP_3)
	v_cndmask_b32_e32 v0, 0, v0, vcc_lo
	s_branch .LBB151_428
.LBB151_426:
	s_mov_b32 s44, -1
	s_mov_b32 s3, s40
	s_branch .LBB151_541
.LBB151_427:
	s_mov_b32 s43, -1
                                        ; implicit-def: $vgpr0_vgpr1
.LBB151_428:
	s_mov_b32 s3, 0
.LBB151_429:
	s_delay_alu instid0(SALU_CYCLE_1)
	s_and_b32 vcc_lo, exec_lo, s3
	s_cbranch_vccz .LBB151_433
; %bb.430:
	v_cmp_eq_u16_e32 vcc_lo, 29, v6
	s_cbranch_vccz .LBB151_432
; %bb.431:
	global_load_b64 v[0:1], v[4:5], off
	s_mov_b32 s2, -1
	s_mov_b32 s43, 0
	s_mov_b32 s3, 0
	s_waitcnt vmcnt(0)
	v_cvt_f64_u32_e32 v[9:10], v1
	v_cvt_f64_u32_e32 v[0:1], v0
	s_delay_alu instid0(VALU_DEP_2) | instskip(NEXT) | instid1(VALU_DEP_1)
	v_ldexp_f64 v[9:10], v[9:10], 32
	v_add_f64 v[0:1], v[9:10], v[0:1]
	s_branch .LBB151_434
.LBB151_432:
	s_mov_b32 s43, -1
                                        ; implicit-def: $vgpr0_vgpr1
.LBB151_433:
	s_mov_b32 s3, 0
.LBB151_434:
	s_delay_alu instid0(SALU_CYCLE_1)
	s_and_b32 vcc_lo, exec_lo, s3
	s_cbranch_vccz .LBB151_454
; %bb.435:
	v_cmp_gt_i16_e32 vcc_lo, 27, v6
	s_cbranch_vccnz .LBB151_438
; %bb.436:
	v_cmp_lt_i16_e32 vcc_lo, 27, v6
	s_cbranch_vccz .LBB151_439
; %bb.437:
	global_load_b32 v0, v[4:5], off
	s_mov_b32 s2, 0
	s_waitcnt vmcnt(0)
	v_cvt_f64_u32_e32 v[0:1], v0
	s_branch .LBB151_440
.LBB151_438:
	s_mov_b32 s2, -1
                                        ; implicit-def: $vgpr0_vgpr1
	s_branch .LBB151_443
.LBB151_439:
	s_mov_b32 s2, -1
                                        ; implicit-def: $vgpr0_vgpr1
.LBB151_440:
	s_delay_alu instid0(SALU_CYCLE_1)
	s_and_not1_b32 vcc_lo, exec_lo, s2
	s_cbranch_vccnz .LBB151_442
; %bb.441:
	global_load_u16 v0, v[4:5], off
	s_waitcnt vmcnt(0)
	v_cvt_f64_u32_e32 v[0:1], v0
.LBB151_442:
	s_mov_b32 s2, 0
.LBB151_443:
	s_delay_alu instid0(SALU_CYCLE_1)
	s_and_not1_b32 vcc_lo, exec_lo, s2
	s_cbranch_vccnz .LBB151_453
; %bb.444:
	global_load_u8 v7, v[4:5], off
	s_mov_b32 s44, 0
	s_mov_b32 s45, exec_lo
                                        ; implicit-def: $sgpr2_sgpr3
	s_waitcnt vmcnt(0)
	v_cmpx_lt_i16_e32 0x7f, v7
	s_xor_b32 s45, exec_lo, s45
	s_cbranch_execz .LBB151_448
; %bb.445:
	s_mov_b32 s47, -1
	s_mov_b32 s44, exec_lo
                                        ; implicit-def: $sgpr2_sgpr3
	v_cmpx_eq_u16_e32 0x80, v7
; %bb.446:
	s_mov_b32 s3, 0x7ff80000
	s_brev_b32 s2, 4
	s_xor_b32 s47, exec_lo, -1
; %bb.447:
	s_or_b32 exec_lo, exec_lo, s44
	s_delay_alu instid0(SALU_CYCLE_1)
	s_and_b32 s44, s47, exec_lo
.LBB151_448:
	s_or_saveexec_b32 s45, s45
	v_dual_mov_b32 v0, s2 :: v_dual_mov_b32 v1, s3
	s_xor_b32 exec_lo, exec_lo, s45
; %bb.449:
	v_cmp_ne_u16_e32 vcc_lo, 0, v7
	v_mov_b32_e32 v0, 0
	v_mov_b32_e32 v1, 0
	s_and_not1_b32 s2, s44, exec_lo
	s_and_b32 s3, vcc_lo, exec_lo
	s_delay_alu instid0(SALU_CYCLE_1)
	s_or_b32 s44, s2, s3
; %bb.450:
	s_or_b32 exec_lo, exec_lo, s45
	s_and_saveexec_b32 s2, s44
	s_cbranch_execz .LBB151_452
; %bb.451:
	v_and_b32_e32 v0, 0xffff, v7
	v_lshlrev_b32_e32 v7, 24, v7
	s_delay_alu instid0(VALU_DEP_2) | instskip(NEXT) | instid1(VALU_DEP_2)
	v_and_b32_e32 v1, 7, v0
	v_and_b32_e32 v7, 0x80000000, v7
	s_delay_alu instid0(VALU_DEP_2) | instskip(NEXT) | instid1(VALU_DEP_1)
	v_clz_i32_u32_e32 v9, v1
	v_min_u32_e32 v9, 32, v9
	s_delay_alu instid0(VALU_DEP_1) | instskip(SKIP_1) | instid1(VALU_DEP_2)
	v_subrev_nc_u32_e32 v10, 28, v9
	v_sub_nc_u32_e32 v9, 29, v9
	v_lshlrev_b32_e32 v10, v10, v0
	v_bfe_u32 v0, v0, 3, 4
	s_delay_alu instid0(VALU_DEP_2) | instskip(NEXT) | instid1(VALU_DEP_2)
	v_and_b32_e32 v10, 7, v10
	v_cmp_eq_u32_e32 vcc_lo, 0, v0
	s_delay_alu instid0(VALU_DEP_2) | instskip(NEXT) | instid1(VALU_DEP_1)
	v_dual_cndmask_b32 v0, v0, v9 :: v_dual_cndmask_b32 v1, v1, v10
	v_lshl_add_u32 v0, v0, 23, 0x3b800000
	s_delay_alu instid0(VALU_DEP_2) | instskip(NEXT) | instid1(VALU_DEP_1)
	v_lshlrev_b32_e32 v1, 20, v1
	v_or3_b32 v0, v7, v0, v1
	s_delay_alu instid0(VALU_DEP_1)
	v_cvt_f64_f32_e32 v[0:1], v0
.LBB151_452:
	s_or_b32 exec_lo, exec_lo, s2
.LBB151_453:
	s_mov_b32 s2, -1
.LBB151_454:
	s_mov_b32 s3, 0
.LBB151_455:
	s_delay_alu instid0(SALU_CYCLE_1)
	s_and_b32 vcc_lo, exec_lo, s3
	s_cbranch_vccz .LBB151_488
; %bb.456:
	v_cmp_lt_i16_e32 vcc_lo, 22, v6
	s_cbranch_vccz .LBB151_468
; %bb.457:
	v_cmp_gt_i16_e32 vcc_lo, 24, v6
	s_cbranch_vccnz .LBB151_469
; %bb.458:
	v_cmp_lt_i16_e32 vcc_lo, 24, v6
	s_cbranch_vccz .LBB151_470
; %bb.459:
	global_load_u8 v7, v[4:5], off
	s_mov_b32 s44, 0
	s_mov_b32 s45, exec_lo
                                        ; implicit-def: $sgpr2_sgpr3
	s_waitcnt vmcnt(0)
	v_cmpx_lt_i16_e32 0x7f, v7
	s_xor_b32 s45, exec_lo, s45
	s_cbranch_execz .LBB151_463
; %bb.460:
	s_mov_b32 s47, -1
	s_mov_b32 s44, exec_lo
                                        ; implicit-def: $sgpr2_sgpr3
	v_cmpx_eq_u16_e32 0x80, v7
; %bb.461:
	s_mov_b32 s3, 0x7ff80000
	s_brev_b32 s2, 4
	s_xor_b32 s47, exec_lo, -1
; %bb.462:
	s_or_b32 exec_lo, exec_lo, s44
	s_delay_alu instid0(SALU_CYCLE_1)
	s_and_b32 s44, s47, exec_lo
.LBB151_463:
	s_or_saveexec_b32 s45, s45
	v_dual_mov_b32 v0, s2 :: v_dual_mov_b32 v1, s3
	s_xor_b32 exec_lo, exec_lo, s45
; %bb.464:
	v_cmp_ne_u16_e32 vcc_lo, 0, v7
	v_mov_b32_e32 v0, 0
	v_mov_b32_e32 v1, 0
	s_and_not1_b32 s2, s44, exec_lo
	s_and_b32 s3, vcc_lo, exec_lo
	s_delay_alu instid0(SALU_CYCLE_1)
	s_or_b32 s44, s2, s3
; %bb.465:
	s_or_b32 exec_lo, exec_lo, s45
	s_and_saveexec_b32 s2, s44
	s_cbranch_execz .LBB151_467
; %bb.466:
	v_and_b32_e32 v0, 0xffff, v7
	v_lshlrev_b32_e32 v7, 24, v7
	s_delay_alu instid0(VALU_DEP_2) | instskip(NEXT) | instid1(VALU_DEP_2)
	v_and_b32_e32 v1, 3, v0
	v_and_b32_e32 v7, 0x80000000, v7
	s_delay_alu instid0(VALU_DEP_2) | instskip(NEXT) | instid1(VALU_DEP_1)
	v_clz_i32_u32_e32 v9, v1
	v_min_u32_e32 v9, 32, v9
	s_delay_alu instid0(VALU_DEP_1) | instskip(SKIP_1) | instid1(VALU_DEP_2)
	v_subrev_nc_u32_e32 v10, 29, v9
	v_sub_nc_u32_e32 v9, 30, v9
	v_lshlrev_b32_e32 v10, v10, v0
	v_bfe_u32 v0, v0, 2, 5
	s_delay_alu instid0(VALU_DEP_2) | instskip(NEXT) | instid1(VALU_DEP_2)
	v_and_b32_e32 v10, 3, v10
	v_cmp_eq_u32_e32 vcc_lo, 0, v0
	s_delay_alu instid0(VALU_DEP_2) | instskip(NEXT) | instid1(VALU_DEP_1)
	v_dual_cndmask_b32 v0, v0, v9 :: v_dual_cndmask_b32 v1, v1, v10
	v_lshl_add_u32 v0, v0, 23, 0x37800000
	s_delay_alu instid0(VALU_DEP_2) | instskip(NEXT) | instid1(VALU_DEP_1)
	v_lshlrev_b32_e32 v1, 21, v1
	v_or3_b32 v0, v7, v0, v1
	s_delay_alu instid0(VALU_DEP_1)
	v_cvt_f64_f32_e32 v[0:1], v0
.LBB151_467:
	s_or_b32 exec_lo, exec_lo, s2
	s_mov_b32 s2, 0
	s_branch .LBB151_471
.LBB151_468:
	s_mov_b32 s3, -1
                                        ; implicit-def: $vgpr0_vgpr1
	s_branch .LBB151_477
.LBB151_469:
	s_mov_b32 s2, -1
                                        ; implicit-def: $vgpr0_vgpr1
	s_branch .LBB151_474
.LBB151_470:
	s_mov_b32 s2, -1
                                        ; implicit-def: $vgpr0_vgpr1
.LBB151_471:
	s_delay_alu instid0(SALU_CYCLE_1)
	s_and_b32 vcc_lo, exec_lo, s2
	s_cbranch_vccz .LBB151_473
; %bb.472:
	global_load_u8 v0, v[4:5], off
	s_waitcnt vmcnt(0)
	v_lshlrev_b32_e32 v0, 24, v0
	s_delay_alu instid0(VALU_DEP_1) | instskip(NEXT) | instid1(VALU_DEP_1)
	v_and_b32_e32 v1, 0x7f000000, v0
	v_clz_i32_u32_e32 v7, v1
	v_add_nc_u32_e32 v10, 0x1000000, v1
	v_cmp_ne_u32_e32 vcc_lo, 0, v1
	s_delay_alu instid0(VALU_DEP_3) | instskip(NEXT) | instid1(VALU_DEP_1)
	v_min_u32_e32 v7, 32, v7
	v_sub_nc_u32_e64 v7, v7, 4 clamp
	s_delay_alu instid0(VALU_DEP_1) | instskip(SKIP_1) | instid1(VALU_DEP_2)
	v_lshlrev_b32_e32 v9, v7, v1
	v_lshlrev_b32_e32 v7, 23, v7
	v_lshrrev_b32_e32 v9, 4, v9
	s_delay_alu instid0(VALU_DEP_1) | instskip(SKIP_1) | instid1(VALU_DEP_2)
	v_sub_nc_u32_e32 v7, v9, v7
	v_ashrrev_i32_e32 v9, 8, v10
	v_add_nc_u32_e32 v7, 0x3c000000, v7
	s_delay_alu instid0(VALU_DEP_1) | instskip(NEXT) | instid1(VALU_DEP_1)
	v_and_or_b32 v7, 0x7f800000, v9, v7
	v_cndmask_b32_e32 v1, 0, v7, vcc_lo
	s_delay_alu instid0(VALU_DEP_1) | instskip(NEXT) | instid1(VALU_DEP_1)
	v_and_or_b32 v0, 0x80000000, v0, v1
	v_cvt_f64_f32_e32 v[0:1], v0
.LBB151_473:
	s_mov_b32 s2, 0
.LBB151_474:
	s_delay_alu instid0(SALU_CYCLE_1)
	s_and_not1_b32 vcc_lo, exec_lo, s2
	s_cbranch_vccnz .LBB151_476
; %bb.475:
	global_load_u8 v0, v[4:5], off
	s_waitcnt vmcnt(0)
	v_lshlrev_b32_e32 v1, 25, v0
	v_lshlrev_b16 v0, 8, v0
	s_delay_alu instid0(VALU_DEP_2) | instskip(NEXT) | instid1(VALU_DEP_2)
	v_lshrrev_b32_e32 v7, 4, v1
	v_and_or_b32 v9, 0x7f00, v0, 0.5
	v_cmp_gt_u32_e32 vcc_lo, 0x8000000, v1
	v_bfe_i32 v0, v0, 0, 16
	s_delay_alu instid0(VALU_DEP_4) | instskip(NEXT) | instid1(VALU_DEP_4)
	v_or_b32_e32 v7, 0x70000000, v7
	v_add_f32_e32 v9, -0.5, v9
	s_delay_alu instid0(VALU_DEP_2) | instskip(NEXT) | instid1(VALU_DEP_1)
	v_mul_f32_e32 v7, 0x7800000, v7
	v_cndmask_b32_e32 v1, v7, v9, vcc_lo
	s_delay_alu instid0(VALU_DEP_1) | instskip(NEXT) | instid1(VALU_DEP_1)
	v_and_or_b32 v0, 0x80000000, v0, v1
	v_cvt_f64_f32_e32 v[0:1], v0
.LBB151_476:
	s_mov_b32 s3, 0
	s_mov_b32 s2, -1
.LBB151_477:
	s_and_not1_b32 vcc_lo, exec_lo, s3
	s_cbranch_vccnz .LBB151_488
; %bb.478:
	v_cmp_lt_i16_e32 vcc_lo, 14, v6
	s_cbranch_vccz .LBB151_481
; %bb.479:
	v_cmp_eq_u16_e32 vcc_lo, 15, v6
	s_cbranch_vccz .LBB151_482
; %bb.480:
	global_load_u16 v0, v[4:5], off
	s_mov_b32 s2, -1
	s_mov_b32 s43, 0
	s_waitcnt vmcnt(0)
	v_lshlrev_b32_e32 v0, 16, v0
	s_delay_alu instid0(VALU_DEP_1)
	v_cvt_f64_f32_e32 v[0:1], v0
	s_branch .LBB151_483
.LBB151_481:
	s_mov_b32 s3, -1
                                        ; implicit-def: $vgpr0_vgpr1
	s_branch .LBB151_484
.LBB151_482:
	s_mov_b32 s43, -1
                                        ; implicit-def: $vgpr0_vgpr1
.LBB151_483:
	s_mov_b32 s3, 0
.LBB151_484:
	s_delay_alu instid0(SALU_CYCLE_1)
	s_and_b32 vcc_lo, exec_lo, s3
	s_cbranch_vccz .LBB151_488
; %bb.485:
	v_cmp_eq_u16_e32 vcc_lo, 11, v6
	s_cbranch_vccz .LBB151_487
; %bb.486:
	global_load_u8 v0, v[4:5], off
	s_mov_b32 s43, 0
	s_mov_b32 s2, -1
	s_waitcnt vmcnt(0)
	v_cmp_ne_u16_e32 vcc_lo, 0, v0
	v_mov_b32_e32 v0, 0
	v_cndmask_b32_e64 v1, 0, 0x3ff00000, vcc_lo
	s_branch .LBB151_488
.LBB151_487:
	s_mov_b32 s43, -1
                                        ; implicit-def: $vgpr0_vgpr1
.LBB151_488:
	s_branch .LBB151_405
.LBB151_489:
	v_cmp_gt_i16_e32 vcc_lo, 5, v6
	s_cbranch_vccnz .LBB151_494
; %bb.490:
	v_cmp_gt_i16_e32 vcc_lo, 8, v6
	s_cbranch_vccnz .LBB151_495
; %bb.491:
	;; [unrolled: 3-line block ×3, first 2 shown]
	v_cmp_lt_i16_e32 vcc_lo, 9, v6
	s_cbranch_vccz .LBB151_497
; %bb.493:
	global_load_b64 v[0:1], v[4:5], off
	s_mov_b32 s2, 0
	s_branch .LBB151_498
.LBB151_494:
	s_mov_b32 s2, -1
                                        ; implicit-def: $vgpr0_vgpr1
	s_branch .LBB151_516
.LBB151_495:
	s_mov_b32 s2, -1
                                        ; implicit-def: $vgpr0_vgpr1
	s_branch .LBB151_504
.LBB151_496:
	s_mov_b32 s2, -1
                                        ; implicit-def: $vgpr0_vgpr1
	s_branch .LBB151_501
.LBB151_497:
	s_mov_b32 s2, -1
                                        ; implicit-def: $vgpr0_vgpr1
.LBB151_498:
	s_delay_alu instid0(SALU_CYCLE_1)
	s_and_not1_b32 vcc_lo, exec_lo, s2
	s_cbranch_vccnz .LBB151_500
; %bb.499:
	global_load_b32 v0, v[4:5], off
	s_waitcnt vmcnt(0)
	v_cvt_f64_f32_e32 v[0:1], v0
.LBB151_500:
	s_mov_b32 s2, 0
.LBB151_501:
	s_delay_alu instid0(SALU_CYCLE_1)
	s_and_not1_b32 vcc_lo, exec_lo, s2
	s_cbranch_vccnz .LBB151_503
; %bb.502:
	global_load_b32 v0, v[4:5], off
	s_waitcnt vmcnt(0)
	v_cvt_f32_f16_e32 v0, v0
	s_delay_alu instid0(VALU_DEP_1)
	v_cvt_f64_f32_e32 v[0:1], v0
.LBB151_503:
	s_mov_b32 s2, 0
.LBB151_504:
	s_delay_alu instid0(SALU_CYCLE_1)
	s_and_not1_b32 vcc_lo, exec_lo, s2
	s_cbranch_vccnz .LBB151_515
; %bb.505:
	v_cmp_gt_i16_e32 vcc_lo, 6, v6
	s_cbranch_vccnz .LBB151_508
; %bb.506:
	v_cmp_lt_i16_e32 vcc_lo, 6, v6
	s_cbranch_vccz .LBB151_509
; %bb.507:
	global_load_b64 v[0:1], v[4:5], off
	s_mov_b32 s2, 0
	s_branch .LBB151_510
.LBB151_508:
	s_mov_b32 s2, -1
                                        ; implicit-def: $vgpr0_vgpr1
	s_branch .LBB151_513
.LBB151_509:
	s_mov_b32 s2, -1
                                        ; implicit-def: $vgpr0_vgpr1
.LBB151_510:
	s_delay_alu instid0(SALU_CYCLE_1)
	s_and_not1_b32 vcc_lo, exec_lo, s2
	s_cbranch_vccnz .LBB151_512
; %bb.511:
	global_load_b32 v0, v[4:5], off
	s_waitcnt vmcnt(0)
	v_cvt_f64_f32_e32 v[0:1], v0
.LBB151_512:
	s_mov_b32 s2, 0
.LBB151_513:
	s_delay_alu instid0(SALU_CYCLE_1)
	s_and_not1_b32 vcc_lo, exec_lo, s2
	s_cbranch_vccnz .LBB151_515
; %bb.514:
	global_load_u16 v0, v[4:5], off
	s_waitcnt vmcnt(0)
	v_cvt_f32_f16_e32 v0, v0
	s_delay_alu instid0(VALU_DEP_1)
	v_cvt_f64_f32_e32 v[0:1], v0
.LBB151_515:
	s_mov_b32 s2, 0
.LBB151_516:
	s_delay_alu instid0(SALU_CYCLE_1)
	s_and_not1_b32 vcc_lo, exec_lo, s2
	s_cbranch_vccnz .LBB151_536
; %bb.517:
	v_cmp_gt_i16_e32 vcc_lo, 2, v6
	s_cbranch_vccnz .LBB151_521
; %bb.518:
	v_cmp_gt_i16_e32 vcc_lo, 3, v6
	s_cbranch_vccnz .LBB151_522
; %bb.519:
	v_cmp_lt_i16_e32 vcc_lo, 3, v6
	s_cbranch_vccz .LBB151_523
; %bb.520:
	global_load_b64 v[0:1], v[4:5], off
	s_mov_b32 s2, 0
	s_waitcnt vmcnt(0)
	v_cvt_f64_i32_e32 v[9:10], v1
	v_cvt_f64_u32_e32 v[0:1], v0
	s_delay_alu instid0(VALU_DEP_2) | instskip(NEXT) | instid1(VALU_DEP_1)
	v_ldexp_f64 v[9:10], v[9:10], 32
	v_add_f64 v[0:1], v[9:10], v[0:1]
	s_branch .LBB151_524
.LBB151_521:
	s_mov_b32 s2, -1
                                        ; implicit-def: $vgpr0_vgpr1
	s_branch .LBB151_530
.LBB151_522:
	s_mov_b32 s2, -1
                                        ; implicit-def: $vgpr0_vgpr1
	s_branch .LBB151_527
.LBB151_523:
	s_mov_b32 s2, -1
                                        ; implicit-def: $vgpr0_vgpr1
.LBB151_524:
	s_delay_alu instid0(SALU_CYCLE_1)
	s_and_not1_b32 vcc_lo, exec_lo, s2
	s_cbranch_vccnz .LBB151_526
; %bb.525:
	global_load_b32 v0, v[4:5], off
	s_waitcnt vmcnt(0)
	v_cvt_f64_i32_e32 v[0:1], v0
.LBB151_526:
	s_mov_b32 s2, 0
.LBB151_527:
	s_delay_alu instid0(SALU_CYCLE_1)
	s_and_not1_b32 vcc_lo, exec_lo, s2
	s_cbranch_vccnz .LBB151_529
; %bb.528:
	global_load_i16 v0, v[4:5], off
	s_waitcnt vmcnt(0)
	v_cvt_f64_i32_e32 v[0:1], v0
.LBB151_529:
	s_mov_b32 s2, 0
.LBB151_530:
	s_delay_alu instid0(SALU_CYCLE_1)
	s_and_not1_b32 vcc_lo, exec_lo, s2
	s_cbranch_vccnz .LBB151_536
; %bb.531:
	v_cmp_lt_i16_e32 vcc_lo, 0, v6
	s_mov_b32 s2, 0
	s_cbranch_vccz .LBB151_533
; %bb.532:
	global_load_i8 v0, v[4:5], off
	s_waitcnt vmcnt(0)
	v_cvt_f64_i32_e32 v[0:1], v0
	s_branch .LBB151_534
.LBB151_533:
	s_mov_b32 s2, -1
                                        ; implicit-def: $vgpr0_vgpr1
.LBB151_534:
	s_delay_alu instid0(SALU_CYCLE_1)
	s_and_not1_b32 vcc_lo, exec_lo, s2
	s_cbranch_vccnz .LBB151_536
; %bb.535:
	global_load_u8 v0, v[4:5], off
	s_waitcnt vmcnt(0)
	v_cvt_f64_u32_e32 v[0:1], v0
.LBB151_536:
	s_branch .LBB151_406
.LBB151_537:
	s_mov_b32 s47, 0
	s_mov_b32 s2, s39
	s_mov_b32 s3, s40
	s_branch .LBB151_701
.LBB151_538:
	s_or_saveexec_b32 s44, s44
                                        ; implicit-def: $sgpr45
	s_delay_alu instid0(SALU_CYCLE_1)
	s_xor_b32 exec_lo, exec_lo, s44
	s_cbranch_execz .LBB151_72
.LBB151_539:
	v_add_f32_e64 v3, 0x42800000, |v2|
	s_and_not1_b32 s40, s40, exec_lo
	s_mov_b32 s45, 0
	s_delay_alu instid0(VALU_DEP_1) | instskip(NEXT) | instid1(VALU_DEP_1)
	v_and_b32_e32 v3, 0xff, v3
	v_cmp_ne_u32_e32 vcc_lo, 0, v3
	s_and_b32 s46, vcc_lo, exec_lo
	s_delay_alu instid0(SALU_CYCLE_1)
	s_or_b32 s40, s40, s46
	s_or_b32 exec_lo, exec_lo, s44
	v_mov_b32_e32 v7, s45
	s_and_saveexec_b32 s44, s40
	s_cbranch_execnz .LBB151_73
	s_branch .LBB151_74
.LBB151_540:
	s_mov_b32 s3, -1
.LBB151_541:
                                        ; implicit-def: $vgpr5
.LBB151_542:
	s_and_b32 vcc_lo, exec_lo, s44
	s_cbranch_vccz .LBB151_546
; %bb.543:
	v_cmp_eq_u16_e32 vcc_lo, 44, v7
	s_cbranch_vccz .LBB151_545
; %bb.544:
	global_load_u8 v5, v[3:4], off
	s_mov_b32 s3, 0
	s_mov_b32 s2, -1
	s_waitcnt vmcnt(0)
	v_lshlrev_b32_e32 v6, 23, v5
	v_cmp_ne_u32_e32 vcc_lo, 0, v5
	s_delay_alu instid0(VALU_DEP_2) | instskip(NEXT) | instid1(VALU_DEP_1)
	v_trunc_f32_e32 v6, v6
	v_mul_f32_e64 v9, 0x2f800000, |v6|
	s_delay_alu instid0(VALU_DEP_1) | instskip(NEXT) | instid1(VALU_DEP_1)
	v_floor_f32_e32 v9, v9
	v_fma_f32 v9, 0xcf800000, v9, |v6|
	v_ashrrev_i32_e32 v6, 31, v6
	s_delay_alu instid0(VALU_DEP_2) | instskip(NEXT) | instid1(VALU_DEP_1)
	v_cvt_u32_f32_e32 v9, v9
	v_xor_b32_e32 v9, v9, v6
	s_delay_alu instid0(VALU_DEP_1) | instskip(NEXT) | instid1(VALU_DEP_1)
	v_sub_nc_u32_e32 v6, v9, v6
	v_cndmask_b32_e32 v5, 0, v6, vcc_lo
	s_branch .LBB151_546
.LBB151_545:
	s_mov_b32 s3, -1
                                        ; implicit-def: $vgpr5
.LBB151_546:
	s_mov_b32 s44, 0
.LBB151_547:
	s_delay_alu instid0(SALU_CYCLE_1)
	s_and_b32 vcc_lo, exec_lo, s44
	s_cbranch_vccz .LBB151_551
; %bb.548:
	v_cmp_eq_u16_e32 vcc_lo, 29, v7
	s_cbranch_vccz .LBB151_550
; %bb.549:
	global_load_b64 v[5:6], v[3:4], off
	s_mov_b32 s2, -1
	s_mov_b32 s3, 0
	s_branch .LBB151_551
.LBB151_550:
	s_mov_b32 s3, -1
                                        ; implicit-def: $vgpr5
.LBB151_551:
	s_mov_b32 s44, 0
.LBB151_552:
	s_delay_alu instid0(SALU_CYCLE_1)
	s_and_b32 vcc_lo, exec_lo, s44
	s_cbranch_vccz .LBB151_568
; %bb.553:
	v_cmp_gt_i16_e32 vcc_lo, 27, v7
	s_cbranch_vccnz .LBB151_556
; %bb.554:
	v_cmp_lt_i16_e32 vcc_lo, 27, v7
	s_cbranch_vccz .LBB151_557
; %bb.555:
	global_load_b32 v5, v[3:4], off
	s_mov_b32 s2, 0
	s_branch .LBB151_558
.LBB151_556:
	s_mov_b32 s2, -1
                                        ; implicit-def: $vgpr5
	s_branch .LBB151_561
.LBB151_557:
	s_mov_b32 s2, -1
                                        ; implicit-def: $vgpr5
.LBB151_558:
	s_delay_alu instid0(SALU_CYCLE_1)
	s_and_not1_b32 vcc_lo, exec_lo, s2
	s_cbranch_vccnz .LBB151_560
; %bb.559:
	global_load_u16 v5, v[3:4], off
.LBB151_560:
	s_mov_b32 s2, 0
.LBB151_561:
	s_delay_alu instid0(SALU_CYCLE_1)
	s_and_not1_b32 vcc_lo, exec_lo, s2
	s_cbranch_vccnz .LBB151_567
; %bb.562:
	global_load_u8 v6, v[3:4], off
	s_mov_b32 s44, 0
	s_mov_b32 s2, exec_lo
                                        ; implicit-def: $sgpr45
	s_waitcnt vmcnt(0)
	v_cmpx_lt_i16_e32 0x7f, v6
	s_xor_b32 s2, exec_lo, s2
	s_cbranch_execz .LBB151_579
; %bb.563:
	v_cmp_ne_u16_e32 vcc_lo, 0x80, v6
	s_mov_b32 s45, 0
	s_and_b32 s44, vcc_lo, exec_lo
	s_or_saveexec_b32 s2, s2
	v_mov_b32_e32 v5, s45
	s_xor_b32 exec_lo, exec_lo, s2
	s_cbranch_execnz .LBB151_580
.LBB151_564:
	s_or_b32 exec_lo, exec_lo, s2
	s_and_saveexec_b32 s2, s44
	s_cbranch_execz .LBB151_566
.LBB151_565:
	v_and_b32_e32 v5, 0xffff, v6
	s_delay_alu instid0(VALU_DEP_1) | instskip(NEXT) | instid1(VALU_DEP_1)
	v_and_b32_e32 v9, 7, v5
	v_clz_i32_u32_e32 v10, v9
	s_delay_alu instid0(VALU_DEP_1) | instskip(NEXT) | instid1(VALU_DEP_1)
	v_min_u32_e32 v10, 32, v10
	v_subrev_nc_u32_e32 v11, 28, v10
	v_sub_nc_u32_e32 v10, 29, v10
	s_delay_alu instid0(VALU_DEP_2) | instskip(SKIP_1) | instid1(VALU_DEP_2)
	v_lshlrev_b32_e32 v11, v11, v5
	v_bfe_u32 v5, v5, 3, 4
	v_and_b32_e32 v11, 7, v11
	s_delay_alu instid0(VALU_DEP_2) | instskip(NEXT) | instid1(VALU_DEP_2)
	v_cmp_eq_u32_e32 vcc_lo, 0, v5
	v_dual_cndmask_b32 v9, v9, v11 :: v_dual_lshlrev_b32 v6, 24, v6
	v_cndmask_b32_e32 v5, v5, v10, vcc_lo
	s_delay_alu instid0(VALU_DEP_2) | instskip(NEXT) | instid1(VALU_DEP_3)
	v_and_b32_e32 v6, 0x80000000, v6
	v_lshlrev_b32_e32 v9, 20, v9
	s_delay_alu instid0(VALU_DEP_3) | instskip(NEXT) | instid1(VALU_DEP_1)
	v_lshl_add_u32 v5, v5, 23, 0x3b800000
	v_or3_b32 v5, v6, v5, v9
	s_delay_alu instid0(VALU_DEP_1) | instskip(NEXT) | instid1(VALU_DEP_1)
	v_trunc_f32_e32 v5, v5
	v_mul_f32_e64 v6, 0x2f800000, |v5|
	s_delay_alu instid0(VALU_DEP_1) | instskip(NEXT) | instid1(VALU_DEP_1)
	v_floor_f32_e32 v6, v6
	v_fma_f32 v6, 0xcf800000, v6, |v5|
	v_ashrrev_i32_e32 v5, 31, v5
	s_delay_alu instid0(VALU_DEP_2) | instskip(NEXT) | instid1(VALU_DEP_1)
	v_cvt_u32_f32_e32 v6, v6
	v_xor_b32_e32 v6, v6, v5
	s_delay_alu instid0(VALU_DEP_1)
	v_sub_nc_u32_e32 v5, v6, v5
.LBB151_566:
	s_or_b32 exec_lo, exec_lo, s2
.LBB151_567:
	s_mov_b32 s2, -1
.LBB151_568:
	s_mov_b32 s44, 0
.LBB151_569:
	s_delay_alu instid0(SALU_CYCLE_1)
	s_and_b32 vcc_lo, exec_lo, s44
	s_cbranch_vccz .LBB151_602
; %bb.570:
	v_cmp_lt_i16_e32 vcc_lo, 22, v7
	s_cbranch_vccz .LBB151_578
; %bb.571:
	v_cmp_gt_i16_e32 vcc_lo, 24, v7
	s_cbranch_vccnz .LBB151_581
; %bb.572:
	v_cmp_lt_i16_e32 vcc_lo, 24, v7
	s_cbranch_vccz .LBB151_582
; %bb.573:
	global_load_u8 v6, v[3:4], off
	s_mov_b32 s44, 0
	s_mov_b32 s2, exec_lo
                                        ; implicit-def: $sgpr45
	s_waitcnt vmcnt(0)
	v_cmpx_lt_i16_e32 0x7f, v6
	s_xor_b32 s2, exec_lo, s2
	s_cbranch_execz .LBB151_594
; %bb.574:
	v_cmp_ne_u16_e32 vcc_lo, 0x80, v6
	s_mov_b32 s45, 0
	s_and_b32 s44, vcc_lo, exec_lo
	s_or_saveexec_b32 s2, s2
	v_mov_b32_e32 v5, s45
	s_xor_b32 exec_lo, exec_lo, s2
	s_cbranch_execnz .LBB151_595
.LBB151_575:
	s_or_b32 exec_lo, exec_lo, s2
	s_and_saveexec_b32 s2, s44
	s_cbranch_execz .LBB151_577
.LBB151_576:
	v_and_b32_e32 v5, 0xffff, v6
	s_delay_alu instid0(VALU_DEP_1) | instskip(NEXT) | instid1(VALU_DEP_1)
	v_and_b32_e32 v9, 3, v5
	v_clz_i32_u32_e32 v10, v9
	s_delay_alu instid0(VALU_DEP_1) | instskip(NEXT) | instid1(VALU_DEP_1)
	v_min_u32_e32 v10, 32, v10
	v_subrev_nc_u32_e32 v11, 29, v10
	v_sub_nc_u32_e32 v10, 30, v10
	s_delay_alu instid0(VALU_DEP_2) | instskip(SKIP_1) | instid1(VALU_DEP_2)
	v_lshlrev_b32_e32 v11, v11, v5
	v_bfe_u32 v5, v5, 2, 5
	v_and_b32_e32 v11, 3, v11
	s_delay_alu instid0(VALU_DEP_2) | instskip(NEXT) | instid1(VALU_DEP_2)
	v_cmp_eq_u32_e32 vcc_lo, 0, v5
	v_dual_cndmask_b32 v9, v9, v11 :: v_dual_lshlrev_b32 v6, 24, v6
	v_cndmask_b32_e32 v5, v5, v10, vcc_lo
	s_delay_alu instid0(VALU_DEP_2) | instskip(NEXT) | instid1(VALU_DEP_3)
	v_and_b32_e32 v6, 0x80000000, v6
	v_lshlrev_b32_e32 v9, 21, v9
	s_delay_alu instid0(VALU_DEP_3) | instskip(NEXT) | instid1(VALU_DEP_1)
	v_lshl_add_u32 v5, v5, 23, 0x37800000
	v_or3_b32 v5, v6, v5, v9
	s_delay_alu instid0(VALU_DEP_1) | instskip(NEXT) | instid1(VALU_DEP_1)
	v_trunc_f32_e32 v5, v5
	v_mul_f32_e64 v6, 0x2f800000, |v5|
	s_delay_alu instid0(VALU_DEP_1) | instskip(NEXT) | instid1(VALU_DEP_1)
	v_floor_f32_e32 v6, v6
	v_fma_f32 v6, 0xcf800000, v6, |v5|
	v_ashrrev_i32_e32 v5, 31, v5
	s_delay_alu instid0(VALU_DEP_2) | instskip(NEXT) | instid1(VALU_DEP_1)
	v_cvt_u32_f32_e32 v6, v6
	v_xor_b32_e32 v6, v6, v5
	s_delay_alu instid0(VALU_DEP_1)
	v_sub_nc_u32_e32 v5, v6, v5
.LBB151_577:
	s_or_b32 exec_lo, exec_lo, s2
	s_mov_b32 s2, 0
	s_branch .LBB151_583
.LBB151_578:
	s_mov_b32 s44, -1
                                        ; implicit-def: $vgpr5
	s_branch .LBB151_589
.LBB151_579:
	s_or_saveexec_b32 s2, s2
	v_mov_b32_e32 v5, s45
	s_xor_b32 exec_lo, exec_lo, s2
	s_cbranch_execz .LBB151_564
.LBB151_580:
	v_cmp_ne_u16_e32 vcc_lo, 0, v6
	v_mov_b32_e32 v5, 0
	s_and_not1_b32 s44, s44, exec_lo
	s_and_b32 s45, vcc_lo, exec_lo
	s_delay_alu instid0(SALU_CYCLE_1)
	s_or_b32 s44, s44, s45
	s_or_b32 exec_lo, exec_lo, s2
	s_and_saveexec_b32 s2, s44
	s_cbranch_execnz .LBB151_565
	s_branch .LBB151_566
.LBB151_581:
	s_mov_b32 s2, -1
                                        ; implicit-def: $vgpr5
	s_branch .LBB151_586
.LBB151_582:
	s_mov_b32 s2, -1
                                        ; implicit-def: $vgpr5
.LBB151_583:
	s_delay_alu instid0(SALU_CYCLE_1)
	s_and_b32 vcc_lo, exec_lo, s2
	s_cbranch_vccz .LBB151_585
; %bb.584:
	global_load_u8 v5, v[3:4], off
	s_waitcnt vmcnt(0)
	v_lshlrev_b32_e32 v5, 24, v5
	s_delay_alu instid0(VALU_DEP_1) | instskip(NEXT) | instid1(VALU_DEP_1)
	v_and_b32_e32 v6, 0x7f000000, v5
	v_clz_i32_u32_e32 v9, v6
	v_cmp_ne_u32_e32 vcc_lo, 0, v6
	v_add_nc_u32_e32 v11, 0x1000000, v6
	s_delay_alu instid0(VALU_DEP_3) | instskip(NEXT) | instid1(VALU_DEP_1)
	v_min_u32_e32 v9, 32, v9
	v_sub_nc_u32_e64 v9, v9, 4 clamp
	s_delay_alu instid0(VALU_DEP_1) | instskip(SKIP_1) | instid1(VALU_DEP_2)
	v_lshlrev_b32_e32 v10, v9, v6
	v_lshlrev_b32_e32 v9, 23, v9
	v_lshrrev_b32_e32 v10, 4, v10
	s_delay_alu instid0(VALU_DEP_1) | instskip(SKIP_1) | instid1(VALU_DEP_2)
	v_sub_nc_u32_e32 v9, v10, v9
	v_ashrrev_i32_e32 v10, 8, v11
	v_add_nc_u32_e32 v9, 0x3c000000, v9
	s_delay_alu instid0(VALU_DEP_1) | instskip(NEXT) | instid1(VALU_DEP_1)
	v_and_or_b32 v9, 0x7f800000, v10, v9
	v_cndmask_b32_e32 v6, 0, v9, vcc_lo
	s_delay_alu instid0(VALU_DEP_1) | instskip(NEXT) | instid1(VALU_DEP_1)
	v_and_or_b32 v5, 0x80000000, v5, v6
	v_trunc_f32_e32 v5, v5
	s_delay_alu instid0(VALU_DEP_1) | instskip(NEXT) | instid1(VALU_DEP_1)
	v_mul_f32_e64 v6, 0x2f800000, |v5|
	v_floor_f32_e32 v6, v6
	s_delay_alu instid0(VALU_DEP_1) | instskip(SKIP_1) | instid1(VALU_DEP_2)
	v_fma_f32 v6, 0xcf800000, v6, |v5|
	v_ashrrev_i32_e32 v5, 31, v5
	v_cvt_u32_f32_e32 v6, v6
	s_delay_alu instid0(VALU_DEP_1) | instskip(NEXT) | instid1(VALU_DEP_1)
	v_xor_b32_e32 v6, v6, v5
	v_sub_nc_u32_e32 v5, v6, v5
.LBB151_585:
	s_mov_b32 s2, 0
.LBB151_586:
	s_delay_alu instid0(SALU_CYCLE_1)
	s_and_not1_b32 vcc_lo, exec_lo, s2
	s_cbranch_vccnz .LBB151_588
; %bb.587:
	global_load_u8 v5, v[3:4], off
	s_waitcnt vmcnt(0)
	v_lshlrev_b32_e32 v6, 25, v5
	v_lshlrev_b16 v5, 8, v5
	s_delay_alu instid0(VALU_DEP_2) | instskip(NEXT) | instid1(VALU_DEP_2)
	v_lshrrev_b32_e32 v9, 4, v6
	v_and_or_b32 v10, 0x7f00, v5, 0.5
	v_cmp_gt_u32_e32 vcc_lo, 0x8000000, v6
	v_bfe_i32 v5, v5, 0, 16
	s_delay_alu instid0(VALU_DEP_4) | instskip(NEXT) | instid1(VALU_DEP_1)
	v_or_b32_e32 v9, 0x70000000, v9
	v_dual_add_f32 v10, -0.5, v10 :: v_dual_mul_f32 v9, 0x7800000, v9
	s_delay_alu instid0(VALU_DEP_1) | instskip(NEXT) | instid1(VALU_DEP_1)
	v_cndmask_b32_e32 v6, v9, v10, vcc_lo
	v_and_or_b32 v5, 0x80000000, v5, v6
	s_delay_alu instid0(VALU_DEP_1) | instskip(NEXT) | instid1(VALU_DEP_1)
	v_trunc_f32_e32 v5, v5
	v_mul_f32_e64 v6, 0x2f800000, |v5|
	s_delay_alu instid0(VALU_DEP_1) | instskip(NEXT) | instid1(VALU_DEP_1)
	v_floor_f32_e32 v6, v6
	v_fma_f32 v6, 0xcf800000, v6, |v5|
	v_ashrrev_i32_e32 v5, 31, v5
	s_delay_alu instid0(VALU_DEP_2) | instskip(NEXT) | instid1(VALU_DEP_1)
	v_cvt_u32_f32_e32 v6, v6
	v_xor_b32_e32 v6, v6, v5
	s_delay_alu instid0(VALU_DEP_1)
	v_sub_nc_u32_e32 v5, v6, v5
.LBB151_588:
	s_mov_b32 s44, 0
	s_mov_b32 s2, -1
.LBB151_589:
	s_and_not1_b32 vcc_lo, exec_lo, s44
	s_cbranch_vccnz .LBB151_602
; %bb.590:
	v_cmp_lt_i16_e32 vcc_lo, 14, v7
	s_cbranch_vccz .LBB151_593
; %bb.591:
	v_cmp_eq_u16_e32 vcc_lo, 15, v7
	s_cbranch_vccz .LBB151_596
; %bb.592:
	global_load_u16 v5, v[3:4], off
	s_mov_b32 s2, -1
	s_mov_b32 s3, 0
	s_waitcnt vmcnt(0)
	v_lshlrev_b32_e32 v5, 16, v5
	s_delay_alu instid0(VALU_DEP_1) | instskip(NEXT) | instid1(VALU_DEP_1)
	v_trunc_f32_e32 v5, v5
	v_mul_f32_e64 v6, 0x2f800000, |v5|
	s_delay_alu instid0(VALU_DEP_1) | instskip(NEXT) | instid1(VALU_DEP_1)
	v_floor_f32_e32 v6, v6
	v_fma_f32 v6, 0xcf800000, v6, |v5|
	v_ashrrev_i32_e32 v5, 31, v5
	s_delay_alu instid0(VALU_DEP_2) | instskip(NEXT) | instid1(VALU_DEP_1)
	v_cvt_u32_f32_e32 v6, v6
	v_xor_b32_e32 v6, v6, v5
	s_delay_alu instid0(VALU_DEP_1)
	v_sub_nc_u32_e32 v5, v6, v5
	s_branch .LBB151_597
.LBB151_593:
	s_mov_b32 s44, -1
                                        ; implicit-def: $vgpr5
	s_branch .LBB151_598
.LBB151_594:
	s_or_saveexec_b32 s2, s2
	v_mov_b32_e32 v5, s45
	s_xor_b32 exec_lo, exec_lo, s2
	s_cbranch_execz .LBB151_575
.LBB151_595:
	v_cmp_ne_u16_e32 vcc_lo, 0, v6
	v_mov_b32_e32 v5, 0
	s_and_not1_b32 s44, s44, exec_lo
	s_and_b32 s45, vcc_lo, exec_lo
	s_delay_alu instid0(SALU_CYCLE_1)
	s_or_b32 s44, s44, s45
	s_or_b32 exec_lo, exec_lo, s2
	s_and_saveexec_b32 s2, s44
	s_cbranch_execnz .LBB151_576
	s_branch .LBB151_577
.LBB151_596:
	s_mov_b32 s3, -1
                                        ; implicit-def: $vgpr5
.LBB151_597:
	s_mov_b32 s44, 0
.LBB151_598:
	s_delay_alu instid0(SALU_CYCLE_1)
	s_and_b32 vcc_lo, exec_lo, s44
	s_cbranch_vccz .LBB151_602
; %bb.599:
	v_cmp_eq_u16_e32 vcc_lo, 11, v7
	s_cbranch_vccz .LBB151_601
; %bb.600:
	global_load_u8 v5, v[3:4], off
	s_mov_b32 s3, 0
	s_mov_b32 s2, -1
	s_waitcnt vmcnt(0)
	v_cmp_ne_u16_e32 vcc_lo, 0, v5
	v_cndmask_b32_e64 v5, 0, 1, vcc_lo
	s_branch .LBB151_602
.LBB151_601:
	s_mov_b32 s3, -1
                                        ; implicit-def: $vgpr5
.LBB151_602:
	s_mov_b32 s44, 0
.LBB151_603:
	s_delay_alu instid0(SALU_CYCLE_1)
	s_and_b32 vcc_lo, exec_lo, s44
	s_cbranch_vccz .LBB151_652
; %bb.604:
	v_cmp_gt_i16_e32 vcc_lo, 5, v7
	s_cbranch_vccnz .LBB151_609
; %bb.605:
	v_cmp_gt_i16_e32 vcc_lo, 8, v7
	s_cbranch_vccnz .LBB151_610
	;; [unrolled: 3-line block ×3, first 2 shown]
; %bb.607:
	v_cmp_lt_i16_e32 vcc_lo, 9, v7
	s_cbranch_vccz .LBB151_612
; %bb.608:
	global_load_b64 v[5:6], v[3:4], off
	s_mov_b32 s2, 0
	s_waitcnt vmcnt(0)
	v_trunc_f64_e32 v[5:6], v[5:6]
	s_delay_alu instid0(VALU_DEP_1) | instskip(NEXT) | instid1(VALU_DEP_1)
	v_ldexp_f64 v[9:10], v[5:6], 0xffffffe0
	v_floor_f64_e32 v[9:10], v[9:10]
	s_delay_alu instid0(VALU_DEP_1) | instskip(NEXT) | instid1(VALU_DEP_1)
	v_fma_f64 v[5:6], 0xc1f00000, v[9:10], v[5:6]
	v_cvt_u32_f64_e32 v5, v[5:6]
	s_branch .LBB151_613
.LBB151_609:
	s_mov_b32 s2, -1
                                        ; implicit-def: $vgpr5
	s_branch .LBB151_631
.LBB151_610:
	s_mov_b32 s2, -1
                                        ; implicit-def: $vgpr5
	s_branch .LBB151_619
.LBB151_611:
	s_mov_b32 s2, -1
                                        ; implicit-def: $vgpr5
	s_branch .LBB151_616
.LBB151_612:
	s_mov_b32 s2, -1
                                        ; implicit-def: $vgpr5
.LBB151_613:
	s_delay_alu instid0(SALU_CYCLE_1)
	s_and_not1_b32 vcc_lo, exec_lo, s2
	s_cbranch_vccnz .LBB151_615
; %bb.614:
	global_load_b32 v5, v[3:4], off
	s_waitcnt vmcnt(0)
	v_trunc_f32_e32 v5, v5
	s_delay_alu instid0(VALU_DEP_1) | instskip(NEXT) | instid1(VALU_DEP_1)
	v_mul_f32_e64 v6, 0x2f800000, |v5|
	v_floor_f32_e32 v6, v6
	s_delay_alu instid0(VALU_DEP_1) | instskip(SKIP_1) | instid1(VALU_DEP_2)
	v_fma_f32 v6, 0xcf800000, v6, |v5|
	v_ashrrev_i32_e32 v5, 31, v5
	v_cvt_u32_f32_e32 v6, v6
	s_delay_alu instid0(VALU_DEP_1) | instskip(NEXT) | instid1(VALU_DEP_1)
	v_xor_b32_e32 v6, v6, v5
	v_sub_nc_u32_e32 v5, v6, v5
.LBB151_615:
	s_mov_b32 s2, 0
.LBB151_616:
	s_delay_alu instid0(SALU_CYCLE_1)
	s_and_not1_b32 vcc_lo, exec_lo, s2
	s_cbranch_vccnz .LBB151_618
; %bb.617:
	global_load_b32 v5, v[3:4], off
	s_waitcnt vmcnt(0)
	v_cvt_f32_f16_e32 v5, v5
	s_delay_alu instid0(VALU_DEP_1)
	v_cvt_i32_f32_e32 v5, v5
.LBB151_618:
	s_mov_b32 s2, 0
.LBB151_619:
	s_delay_alu instid0(SALU_CYCLE_1)
	s_and_not1_b32 vcc_lo, exec_lo, s2
	s_cbranch_vccnz .LBB151_630
; %bb.620:
	v_cmp_gt_i16_e32 vcc_lo, 6, v7
	s_cbranch_vccnz .LBB151_623
; %bb.621:
	v_cmp_lt_i16_e32 vcc_lo, 6, v7
	s_cbranch_vccz .LBB151_624
; %bb.622:
	global_load_b64 v[5:6], v[3:4], off
	s_mov_b32 s2, 0
	s_waitcnt vmcnt(0)
	v_trunc_f64_e32 v[5:6], v[5:6]
	s_delay_alu instid0(VALU_DEP_1) | instskip(NEXT) | instid1(VALU_DEP_1)
	v_ldexp_f64 v[9:10], v[5:6], 0xffffffe0
	v_floor_f64_e32 v[9:10], v[9:10]
	s_delay_alu instid0(VALU_DEP_1) | instskip(NEXT) | instid1(VALU_DEP_1)
	v_fma_f64 v[5:6], 0xc1f00000, v[9:10], v[5:6]
	v_cvt_u32_f64_e32 v5, v[5:6]
	s_branch .LBB151_625
.LBB151_623:
	s_mov_b32 s2, -1
                                        ; implicit-def: $vgpr5
	s_branch .LBB151_628
.LBB151_624:
	s_mov_b32 s2, -1
                                        ; implicit-def: $vgpr5
.LBB151_625:
	s_delay_alu instid0(SALU_CYCLE_1)
	s_and_not1_b32 vcc_lo, exec_lo, s2
	s_cbranch_vccnz .LBB151_627
; %bb.626:
	global_load_b32 v5, v[3:4], off
	s_waitcnt vmcnt(0)
	v_trunc_f32_e32 v5, v5
	s_delay_alu instid0(VALU_DEP_1) | instskip(NEXT) | instid1(VALU_DEP_1)
	v_mul_f32_e64 v6, 0x2f800000, |v5|
	v_floor_f32_e32 v6, v6
	s_delay_alu instid0(VALU_DEP_1) | instskip(SKIP_1) | instid1(VALU_DEP_2)
	v_fma_f32 v6, 0xcf800000, v6, |v5|
	v_ashrrev_i32_e32 v5, 31, v5
	v_cvt_u32_f32_e32 v6, v6
	s_delay_alu instid0(VALU_DEP_1) | instskip(NEXT) | instid1(VALU_DEP_1)
	v_xor_b32_e32 v6, v6, v5
	v_sub_nc_u32_e32 v5, v6, v5
.LBB151_627:
	s_mov_b32 s2, 0
.LBB151_628:
	s_delay_alu instid0(SALU_CYCLE_1)
	s_and_not1_b32 vcc_lo, exec_lo, s2
	s_cbranch_vccnz .LBB151_630
; %bb.629:
	global_load_u16 v5, v[3:4], off
	s_waitcnt vmcnt(0)
	v_cvt_f32_f16_e32 v5, v5
	s_delay_alu instid0(VALU_DEP_1)
	v_cvt_i32_f32_e32 v5, v5
.LBB151_630:
	s_mov_b32 s2, 0
.LBB151_631:
	s_delay_alu instid0(SALU_CYCLE_1)
	s_and_not1_b32 vcc_lo, exec_lo, s2
	s_cbranch_vccnz .LBB151_651
; %bb.632:
	v_cmp_gt_i16_e32 vcc_lo, 2, v7
	s_cbranch_vccnz .LBB151_636
; %bb.633:
	v_cmp_gt_i16_e32 vcc_lo, 3, v7
	s_cbranch_vccnz .LBB151_637
; %bb.634:
	v_cmp_lt_i16_e32 vcc_lo, 3, v7
	s_cbranch_vccz .LBB151_638
; %bb.635:
	global_load_b64 v[5:6], v[3:4], off
	s_mov_b32 s2, 0
	s_branch .LBB151_639
.LBB151_636:
	s_mov_b32 s2, -1
                                        ; implicit-def: $vgpr5
	s_branch .LBB151_645
.LBB151_637:
	s_mov_b32 s2, -1
                                        ; implicit-def: $vgpr5
	s_branch .LBB151_642
.LBB151_638:
	s_mov_b32 s2, -1
                                        ; implicit-def: $vgpr5
.LBB151_639:
	s_delay_alu instid0(SALU_CYCLE_1)
	s_and_not1_b32 vcc_lo, exec_lo, s2
	s_cbranch_vccnz .LBB151_641
; %bb.640:
	global_load_b32 v5, v[3:4], off
.LBB151_641:
	s_mov_b32 s2, 0
.LBB151_642:
	s_delay_alu instid0(SALU_CYCLE_1)
	s_and_not1_b32 vcc_lo, exec_lo, s2
	s_cbranch_vccnz .LBB151_644
; %bb.643:
	global_load_u16 v5, v[3:4], off
.LBB151_644:
	s_mov_b32 s2, 0
.LBB151_645:
	s_delay_alu instid0(SALU_CYCLE_1)
	s_and_not1_b32 vcc_lo, exec_lo, s2
	s_cbranch_vccnz .LBB151_651
; %bb.646:
	v_cmp_lt_i16_e32 vcc_lo, 0, v7
	s_mov_b32 s2, 0
	s_cbranch_vccz .LBB151_648
; %bb.647:
	global_load_u8 v5, v[3:4], off
	s_branch .LBB151_649
.LBB151_648:
	s_mov_b32 s2, -1
                                        ; implicit-def: $vgpr5
.LBB151_649:
	s_delay_alu instid0(SALU_CYCLE_1)
	s_and_not1_b32 vcc_lo, exec_lo, s2
	s_cbranch_vccnz .LBB151_651
; %bb.650:
	global_load_u8 v5, v[3:4], off
.LBB151_651:
	s_mov_b32 s2, -1
.LBB151_652:
	s_delay_alu instid0(SALU_CYCLE_1)
	s_and_not1_b32 vcc_lo, exec_lo, s2
	s_cbranch_vccnz .LBB151_660
; %bb.653:
	s_waitcnt vmcnt(0)
	s_delay_alu instid0(VALU_DEP_1) | instskip(SKIP_3) | instid1(VALU_DEP_2)
	v_and_b32_e32 v3, 0xff, v5
	v_and_b32_e64 v6, 0xff, s31
	s_mov_b32 s44, 0
	s_mov_b32 s45, -1
	v_and_b32_e32 v3, 0xffff, v3
	s_delay_alu instid0(VALU_DEP_2) | instskip(NEXT) | instid1(VALU_DEP_2)
	v_cmp_gt_i16_e32 vcc_lo, 11, v6
	v_cvt_f64_u32_e32 v[3:4], v3
	s_and_b32 vcc_lo, exec_lo, vcc_lo
	s_delay_alu instid0(VALU_DEP_1) | instskip(SKIP_1) | instid1(VALU_DEP_1)
	v_mul_f64 v[0:1], v[0:1], v[3:4]
	v_add_co_u32 v4, s2, s4, v2
	v_add_co_ci_u32_e64 v5, null, s5, 0, s2
	s_mov_b32 s2, s39
	s_delay_alu instid0(VALU_DEP_3)
	v_mul_f64 v[0:1], s[10:11], v[0:1]
	s_cbranch_vccnz .LBB151_661
; %bb.654:
	v_cmp_lt_i16_e32 vcc_lo, 25, v6
	s_cbranch_vccz .LBB151_724
; %bb.655:
	v_cmp_lt_i16_e32 vcc_lo, 28, v6
	s_cbranch_vccz .LBB151_726
	;; [unrolled: 3-line block ×4, first 2 shown]
; %bb.658:
	v_cmp_eq_u16_e32 vcc_lo, 46, v6
	s_mov_b32 s45, 0
	s_mov_b32 s2, -1
	s_cbranch_vccz .LBB151_731
; %bb.659:
	v_cvt_f32_f64_e32 v2, v[0:1]
	s_mov_b32 s44, -1
	s_mov_b32 s2, 0
	s_delay_alu instid0(VALU_DEP_1) | instskip(SKIP_1) | instid1(VALU_DEP_2)
	v_bfe_u32 v3, v2, 16, 1
	v_cmp_o_f32_e32 vcc_lo, v2, v2
	v_add3_u32 v3, v2, v3, 0x7fff
	s_delay_alu instid0(VALU_DEP_1) | instskip(NEXT) | instid1(VALU_DEP_1)
	v_lshrrev_b32_e32 v3, 16, v3
	v_cndmask_b32_e32 v2, 0x7fc0, v3, vcc_lo
	global_store_b32 v[4:5], v2, off
	s_branch .LBB151_731
.LBB151_660:
	s_mov_b32 s47, 0
	s_mov_b32 s2, s39
	s_branch .LBB151_701
.LBB151_661:
	s_and_b32 vcc_lo, exec_lo, s45
	s_cbranch_vccz .LBB151_800
; %bb.662:
	v_cmp_gt_i16_e32 vcc_lo, 5, v6
	s_mov_b32 s44, -1
	s_cbranch_vccnz .LBB151_683
; %bb.663:
	v_cmp_gt_i16_e32 vcc_lo, 8, v6
	s_cbranch_vccnz .LBB151_673
; %bb.664:
	v_cmp_gt_i16_e32 vcc_lo, 9, v6
	s_cbranch_vccnz .LBB151_670
; %bb.665:
	v_cmp_lt_i16_e32 vcc_lo, 9, v6
	s_cbranch_vccz .LBB151_667
; %bb.666:
	v_mov_b32_e32 v2, 0
	s_mov_b32 s44, 0
	s_delay_alu instid0(VALU_DEP_1)
	v_mov_b32_e32 v3, v2
	global_store_b128 v[4:5], v[0:3], off
.LBB151_667:
	s_and_not1_b32 vcc_lo, exec_lo, s44
	s_cbranch_vccnz .LBB151_669
; %bb.668:
	v_cvt_f32_f64_e32 v2, v[0:1]
	v_mov_b32_e32 v3, 0
	global_store_b64 v[4:5], v[2:3], off
.LBB151_669:
	s_mov_b32 s44, 0
.LBB151_670:
	s_delay_alu instid0(SALU_CYCLE_1)
	s_and_not1_b32 vcc_lo, exec_lo, s44
	s_cbranch_vccnz .LBB151_672
; %bb.671:
	s_delay_alu instid0(VALU_DEP_4) | instskip(NEXT) | instid1(VALU_DEP_1)
	v_cvt_f32_f64_e32 v2, v[0:1]
	v_cvt_f16_f32_e32 v2, v2
	s_delay_alu instid0(VALU_DEP_1)
	v_and_b32_e32 v2, 0xffff, v2
	global_store_b32 v[4:5], v2, off
.LBB151_672:
	s_mov_b32 s44, 0
.LBB151_673:
	s_delay_alu instid0(SALU_CYCLE_1)
	s_and_not1_b32 vcc_lo, exec_lo, s44
	s_cbranch_vccnz .LBB151_682
; %bb.674:
	v_cmp_gt_i16_e32 vcc_lo, 6, v6
	s_mov_b32 s44, -1
	s_cbranch_vccnz .LBB151_680
; %bb.675:
	v_cmp_lt_i16_e32 vcc_lo, 6, v6
	s_cbranch_vccz .LBB151_677
; %bb.676:
	s_mov_b32 s44, 0
	global_store_b64 v[4:5], v[0:1], off
.LBB151_677:
	s_and_not1_b32 vcc_lo, exec_lo, s44
	s_cbranch_vccnz .LBB151_679
; %bb.678:
	v_cvt_f32_f64_e32 v2, v[0:1]
	global_store_b32 v[4:5], v2, off
.LBB151_679:
	s_mov_b32 s44, 0
.LBB151_680:
	s_delay_alu instid0(SALU_CYCLE_1)
	s_and_not1_b32 vcc_lo, exec_lo, s44
	s_cbranch_vccnz .LBB151_682
; %bb.681:
	s_delay_alu instid0(VALU_DEP_4) | instskip(NEXT) | instid1(VALU_DEP_1)
	v_cvt_f32_f64_e32 v2, v[0:1]
	v_cvt_f16_f32_e32 v2, v2
	global_store_b16 v[4:5], v2, off
.LBB151_682:
	s_mov_b32 s44, 0
.LBB151_683:
	s_delay_alu instid0(SALU_CYCLE_1)
	s_and_not1_b32 vcc_lo, exec_lo, s44
	s_cbranch_vccnz .LBB151_699
; %bb.684:
	v_cmp_gt_i16_e32 vcc_lo, 2, v6
	s_mov_b32 s44, -1
	s_cbranch_vccnz .LBB151_694
; %bb.685:
	v_cmp_gt_i16_e32 vcc_lo, 3, v6
	s_cbranch_vccnz .LBB151_691
; %bb.686:
	v_cmp_lt_i16_e32 vcc_lo, 3, v6
	s_cbranch_vccz .LBB151_688
; %bb.687:
	v_trunc_f64_e32 v[2:3], v[0:1]
	s_mov_b32 s44, 0
	s_delay_alu instid0(VALU_DEP_1) | instskip(NEXT) | instid1(VALU_DEP_1)
	v_ldexp_f64 v[9:10], v[2:3], 0xffffffe0
	v_floor_f64_e32 v[9:10], v[9:10]
	s_delay_alu instid0(VALU_DEP_1) | instskip(SKIP_1) | instid1(VALU_DEP_2)
	v_fma_f64 v[2:3], 0xc1f00000, v[9:10], v[2:3]
	v_cvt_i32_f64_e32 v10, v[9:10]
	v_cvt_u32_f64_e32 v9, v[2:3]
	global_store_b64 v[4:5], v[9:10], off
.LBB151_688:
	s_and_not1_b32 vcc_lo, exec_lo, s44
	s_cbranch_vccnz .LBB151_690
; %bb.689:
	v_cvt_i32_f64_e32 v2, v[0:1]
	global_store_b32 v[4:5], v2, off
.LBB151_690:
	s_mov_b32 s44, 0
.LBB151_691:
	s_delay_alu instid0(SALU_CYCLE_1)
	s_and_not1_b32 vcc_lo, exec_lo, s44
	s_cbranch_vccnz .LBB151_693
; %bb.692:
	s_delay_alu instid0(VALU_DEP_4)
	v_cvt_i32_f64_e32 v2, v[0:1]
	global_store_b16 v[4:5], v2, off
.LBB151_693:
	s_mov_b32 s44, 0
.LBB151_694:
	s_delay_alu instid0(SALU_CYCLE_1)
	s_and_not1_b32 vcc_lo, exec_lo, s44
	s_cbranch_vccnz .LBB151_699
; %bb.695:
	v_cmp_lt_i16_e32 vcc_lo, 0, v6
	s_mov_b32 s44, -1
	s_cbranch_vccz .LBB151_697
; %bb.696:
	s_delay_alu instid0(VALU_DEP_4)
	v_cvt_i32_f64_e32 v2, v[0:1]
	s_mov_b32 s44, 0
	global_store_b8 v[4:5], v2, off
.LBB151_697:
	s_and_not1_b32 vcc_lo, exec_lo, s44
	s_cbranch_vccnz .LBB151_699
; %bb.698:
	s_delay_alu instid0(VALU_DEP_4) | instskip(NEXT) | instid1(VALU_DEP_1)
	v_trunc_f64_e32 v[0:1], v[0:1]
	v_ldexp_f64 v[2:3], v[0:1], 0xffffffe0
	s_delay_alu instid0(VALU_DEP_1) | instskip(NEXT) | instid1(VALU_DEP_1)
	v_floor_f64_e32 v[2:3], v[2:3]
	v_fma_f64 v[0:1], 0xc1f00000, v[2:3], v[0:1]
	s_delay_alu instid0(VALU_DEP_1)
	v_cvt_u32_f64_e32 v0, v[0:1]
	global_store_b8 v[4:5], v0, off
.LBB151_699:
	s_branch .LBB151_801
.LBB151_700:
	s_mov_b32 s47, 0
.LBB151_701:
                                        ; implicit-def: $vgpr8
.LBB151_702:
	s_and_not1_b32 s44, s39, exec_lo
	s_and_b32 s2, s2, exec_lo
	s_and_b32 s3, s3, exec_lo
	s_or_b32 s44, s44, s2
	s_and_not1_b32 s2, s40, exec_lo
	s_and_not1_b32 s48, s41, exec_lo
	s_and_b32 s43, s43, exec_lo
	s_or_b32 s45, s2, s3
	s_or_b32 s43, s48, s43
	s_or_not1_b32 s48, s47, exec_lo
.LBB151_703:
	s_or_b32 exec_lo, exec_lo, s46
	s_mov_b32 s2, 0
	s_mov_b32 s3, 0
	;; [unrolled: 1-line block ×3, first 2 shown]
                                        ; implicit-def: $vgpr7
                                        ; implicit-def: $vgpr5_vgpr6
                                        ; implicit-def: $vgpr2
                                        ; implicit-def: $vgpr0
                                        ; implicit-def: $vgpr3_vgpr4
	s_and_saveexec_b32 s46, s48
	s_cbranch_execz .LBB151_1268
; %bb.704:
	s_mov_b32 s52, -1
	s_mov_b32 s48, s43
	s_mov_b32 s50, s45
	;; [unrolled: 1-line block ×3, first 2 shown]
	s_mov_b32 s47, exec_lo
	v_cmpx_gt_i32_e64 s37, v8
	s_cbranch_execz .LBB151_1099
; %bb.705:
	s_and_not1_b32 vcc_lo, exec_lo, s29
	s_cbranch_vccnz .LBB151_711
; %bb.706:
	v_dual_mov_b32 v2, 0 :: v_dual_mov_b32 v3, 0
	s_waitcnt vmcnt(0)
	v_mov_b32_e32 v0, 0
	s_and_not1_b32 vcc_lo, exec_lo, s38
	s_mov_b32 s48, 0
	s_cbranch_vccnz .LBB151_712
; %bb.707:
	s_add_i32 s2, s36, 1
	v_dual_mov_b32 v3, 0 :: v_dual_mov_b32 v0, 0
	v_dual_mov_b32 v2, 0 :: v_dual_mov_b32 v1, v8
	s_and_b32 s49, s2, 30
	s_add_u32 s2, s20, 0xffffffec
	s_addc_u32 s3, s21, -1
	s_set_inst_prefetch_distance 0x1
	.p2align	6
.LBB151_708:                            ; =>This Inner Loop Header: Depth=1
	s_clause 0x2
	s_load_b128 s[52:55], s[2:3], 0x18
	s_load_b64 s[50:51], s[2:3], 0x28
	s_load_b128 s[56:59], s[2:3], 0xd8
	s_waitcnt lgkmcnt(0)
	v_mul_hi_u32 v4, s53, v1
	s_delay_alu instid0(VALU_DEP_1) | instskip(NEXT) | instid1(VALU_DEP_1)
	v_add_nc_u32_e32 v4, v1, v4
	v_lshrrev_b32_e32 v4, s54, v4
	s_delay_alu instid0(VALU_DEP_1)
	v_mul_hi_u32 v5, s50, v4
	v_mul_lo_u32 v6, v4, s52
	s_load_b64 s[52:53], s[2:3], 0xe8
	s_add_u32 s2, s2, 24
	s_addc_u32 s3, s3, 0
	s_add_i32 s49, s49, -2
	s_delay_alu instid0(SALU_CYCLE_1) | instskip(NEXT) | instid1(VALU_DEP_2)
	s_cmp_eq_u32 s49, 0
	v_add_nc_u32_e32 v5, v4, v5
	s_delay_alu instid0(VALU_DEP_2) | instskip(NEXT) | instid1(VALU_DEP_2)
	v_sub_nc_u32_e32 v6, v1, v6
	v_lshrrev_b32_e32 v1, s51, v5
	s_delay_alu instid0(VALU_DEP_2) | instskip(NEXT) | instid1(VALU_DEP_2)
	v_mul_lo_u32 v7, v6, s56
	v_mul_lo_u32 v5, v1, s55
	s_delay_alu instid0(VALU_DEP_1) | instskip(SKIP_2) | instid1(VALU_DEP_3)
	v_sub_nc_u32_e32 v4, v4, v5
	v_mul_lo_u32 v5, v6, s57
	v_mul_lo_u32 v6, v6, s58
	;; [unrolled: 1-line block ×3, first 2 shown]
	s_waitcnt lgkmcnt(0)
	v_mul_lo_u32 v10, v4, s52
	v_mul_lo_u32 v4, v4, s53
	s_delay_alu instid0(VALU_DEP_3) | instskip(NEXT) | instid1(VALU_DEP_3)
	v_add3_u32 v2, v7, v2, v9
	v_add3_u32 v0, v5, v0, v10
	s_delay_alu instid0(VALU_DEP_3)
	v_add3_u32 v3, v6, v3, v4
	s_cbranch_scc0 .LBB151_708
; %bb.709:
	s_set_inst_prefetch_distance 0x2
	s_bitcmp1_b32 s36, 0
	s_cselect_b32 s49, -1, 0
	s_delay_alu instid0(SALU_CYCLE_1)
	s_and_b32 vcc_lo, exec_lo, s49
	s_cbranch_vccnz .LBB151_712
; %bb.710:
	s_clause 0x3
	s_load_b64 s[50:51], s[2:3], 0x18
	s_load_b32 s49, s[2:3], 0x20
	s_load_b64 s[52:53], s[2:3], 0xd8
	s_load_b32 s2, s[2:3], 0xe0
	s_waitcnt lgkmcnt(0)
	v_mul_hi_u32 v4, s51, v1
	s_delay_alu instid0(VALU_DEP_1) | instskip(NEXT) | instid1(VALU_DEP_1)
	v_add_nc_u32_e32 v4, v1, v4
	v_lshrrev_b32_e32 v4, s49, v4
	s_delay_alu instid0(VALU_DEP_1) | instskip(NEXT) | instid1(VALU_DEP_1)
	v_mul_lo_u32 v4, v4, s50
	v_sub_nc_u32_e32 v7, v1, v4
	s_delay_alu instid0(VALU_DEP_1) | instskip(SKIP_1) | instid1(VALU_DEP_2)
	v_mad_u64_u32 v[4:5], null, v7, s52, v[2:3]
	v_mad_u64_u32 v[1:2], null, v7, s53, v[0:1]
	;; [unrolled: 1-line block ×3, first 2 shown]
	v_mov_b32_e32 v2, v4
	s_delay_alu instid0(VALU_DEP_3) | instskip(NEXT) | instid1(VALU_DEP_3)
	v_mov_b32_e32 v0, v1
	v_mov_b32_e32 v3, v5
	s_branch .LBB151_712
.LBB151_711:
	s_mov_b32 s48, -1
                                        ; implicit-def: $vgpr2
                                        ; implicit-def: $vgpr0
                                        ; implicit-def: $vgpr3
.LBB151_712:
	s_delay_alu instid0(SALU_CYCLE_1)
	s_and_not1_b32 vcc_lo, exec_lo, s48
	s_cbranch_vccnz .LBB151_715
; %bb.713:
	s_waitcnt vmcnt(0)
	v_mul_hi_u32 v0, s17, v8
	s_and_not1_b32 vcc_lo, exec_lo, s35
	s_delay_alu instid0(VALU_DEP_1) | instskip(NEXT) | instid1(VALU_DEP_1)
	v_add_nc_u32_e32 v0, v8, v0
	v_lshrrev_b32_e32 v1, s18, v0
	s_delay_alu instid0(VALU_DEP_1) | instskip(NEXT) | instid1(VALU_DEP_1)
	v_mul_lo_u32 v0, v1, s16
	v_sub_nc_u32_e32 v3, v8, v0
	s_delay_alu instid0(VALU_DEP_1)
	v_mul_lo_u32 v2, v3, s12
	v_mul_lo_u32 v0, v3, s13
	;; [unrolled: 1-line block ×3, first 2 shown]
	s_cbranch_vccnz .LBB151_715
; %bb.714:
	v_mul_hi_u32 v4, s24, v1
	s_delay_alu instid0(VALU_DEP_1) | instskip(NEXT) | instid1(VALU_DEP_1)
	v_add_nc_u32_e32 v4, v1, v4
	v_lshrrev_b32_e32 v4, s25, v4
	s_delay_alu instid0(VALU_DEP_1) | instskip(NEXT) | instid1(VALU_DEP_1)
	v_mul_lo_u32 v4, v4, s19
	v_sub_nc_u32_e32 v7, v1, v4
	s_delay_alu instid0(VALU_DEP_1) | instskip(SKIP_1) | instid1(VALU_DEP_2)
	v_mad_u64_u32 v[4:5], null, v7, s15, v[2:3]
	v_mad_u64_u32 v[1:2], null, v7, s22, v[0:1]
	;; [unrolled: 1-line block ×3, first 2 shown]
	v_mov_b32_e32 v2, v4
	s_delay_alu instid0(VALU_DEP_3) | instskip(NEXT) | instid1(VALU_DEP_3)
	v_mov_b32_e32 v0, v1
	v_mov_b32_e32 v3, v5
.LBB151_715:
	s_waitcnt vmcnt(0)
	v_and_b32_e64 v6, 0xff, s34
	s_delay_alu instid0(VALU_DEP_2) | instskip(NEXT) | instid1(VALU_DEP_1)
	v_add_co_u32 v4, s2, s6, v0
	v_add_co_ci_u32_e64 v5, null, s7, 0, s2
	s_delay_alu instid0(VALU_DEP_3)
	v_cmp_gt_i16_e32 vcc_lo, 11, v6
	s_mov_b32 s2, 0
	s_cbranch_vccnz .LBB151_722
; %bb.716:
	v_cmp_lt_i16_e32 vcc_lo, 25, v6
	s_cbranch_vccz .LBB151_723
; %bb.717:
	v_cmp_lt_i16_e32 vcc_lo, 28, v6
	s_cbranch_vccz .LBB151_725
	;; [unrolled: 3-line block ×4, first 2 shown]
; %bb.720:
	v_cmp_eq_u16_e32 vcc_lo, 46, v6
	s_mov_b32 s3, 0
	s_cbranch_vccz .LBB151_802
; %bb.721:
	global_load_b32 v0, v[4:5], off
	s_mov_b32 s2, -1
	s_mov_b32 s48, 0
	s_waitcnt vmcnt(0)
	v_lshlrev_b32_e32 v0, 16, v0
	s_delay_alu instid0(VALU_DEP_1)
	v_cvt_f64_f32_e32 v[0:1], v0
	s_branch .LBB151_804
.LBB151_722:
	s_mov_b32 s3, -1
	s_mov_b32 s48, s43
                                        ; implicit-def: $vgpr0_vgpr1
	s_branch .LBB151_871
.LBB151_723:
	s_mov_b32 s3, -1
	s_mov_b32 s48, s43
                                        ; implicit-def: $vgpr0_vgpr1
	s_branch .LBB151_837
.LBB151_724:
	s_mov_b32 s2, s39
	s_branch .LBB151_758
.LBB151_725:
	s_mov_b32 s3, -1
	s_mov_b32 s48, s43
                                        ; implicit-def: $vgpr0_vgpr1
	s_branch .LBB151_816
.LBB151_726:
	s_mov_b32 s2, s39
	s_branch .LBB151_741
.LBB151_727:
	s_mov_b32 s3, -1
	s_mov_b32 s48, s43
                                        ; implicit-def: $vgpr0_vgpr1
	s_branch .LBB151_811
.LBB151_728:
	s_mov_b32 s2, s39
	s_branch .LBB151_737
.LBB151_729:
	s_mov_b32 s3, -1
	s_mov_b32 s48, s43
	s_branch .LBB151_803
.LBB151_730:
	s_mov_b32 s2, s39
.LBB151_731:
	s_and_b32 vcc_lo, exec_lo, s45
	s_cbranch_vccz .LBB151_736
; %bb.732:
	v_cmp_eq_u16_e32 vcc_lo, 44, v6
	s_mov_b32 s2, -1
	s_cbranch_vccz .LBB151_736
; %bb.733:
	v_cvt_f32_f64_e32 v2, v[0:1]
	v_mov_b32_e32 v3, 0xff
	s_mov_b32 s44, exec_lo
	s_delay_alu instid0(VALU_DEP_2) | instskip(NEXT) | instid1(VALU_DEP_1)
	v_bfe_u32 v7, v2, 23, 8
	v_cmpx_ne_u32_e32 0xff, v7
; %bb.734:
	v_and_b32_e32 v3, 0x400000, v2
	v_and_or_b32 v7, 0x3fffff, v2, v7
	v_lshrrev_b32_e32 v2, 23, v2
	s_delay_alu instid0(VALU_DEP_3) | instskip(NEXT) | instid1(VALU_DEP_3)
	v_cmp_ne_u32_e32 vcc_lo, 0, v3
	v_cmp_ne_u32_e64 s2, 0, v7
	s_delay_alu instid0(VALU_DEP_1) | instskip(NEXT) | instid1(SALU_CYCLE_1)
	s_and_b32 s2, vcc_lo, s2
	v_cndmask_b32_e64 v3, 0, 1, s2
	s_delay_alu instid0(VALU_DEP_1)
	v_add_nc_u32_e32 v3, v2, v3
; %bb.735:
	s_or_b32 exec_lo, exec_lo, s44
	s_mov_b32 s44, -1
	s_mov_b32 s2, 0
	global_store_b8 v[4:5], v3, off
.LBB151_736:
	s_mov_b32 s45, 0
.LBB151_737:
	s_delay_alu instid0(SALU_CYCLE_1)
	s_and_b32 vcc_lo, exec_lo, s45
	s_cbranch_vccz .LBB151_740
; %bb.738:
	v_cmp_eq_u16_e32 vcc_lo, 29, v6
	s_mov_b32 s2, -1
	s_cbranch_vccz .LBB151_740
; %bb.739:
	v_trunc_f64_e32 v[2:3], v[0:1]
	s_mov_b32 s44, -1
	s_mov_b32 s2, 0
	s_mov_b32 s45, 0
	s_delay_alu instid0(VALU_DEP_1) | instskip(NEXT) | instid1(VALU_DEP_1)
	v_ldexp_f64 v[9:10], v[2:3], 0xffffffe0
	v_floor_f64_e32 v[9:10], v[9:10]
	s_delay_alu instid0(VALU_DEP_1) | instskip(SKIP_1) | instid1(VALU_DEP_2)
	v_fma_f64 v[2:3], 0xc1f00000, v[9:10], v[2:3]
	v_cvt_u32_f64_e32 v10, v[9:10]
	v_cvt_u32_f64_e32 v9, v[2:3]
	global_store_b64 v[4:5], v[9:10], off
	s_branch .LBB151_741
.LBB151_740:
	s_mov_b32 s45, 0
.LBB151_741:
	s_delay_alu instid0(SALU_CYCLE_1)
	s_and_b32 vcc_lo, exec_lo, s45
	s_cbranch_vccz .LBB151_757
; %bb.742:
	v_cmp_gt_i16_e32 vcc_lo, 27, v6
	s_mov_b32 s44, -1
	s_cbranch_vccnz .LBB151_748
; %bb.743:
	v_cmp_lt_i16_e32 vcc_lo, 27, v6
	s_cbranch_vccz .LBB151_745
; %bb.744:
	v_cvt_u32_f64_e32 v2, v[0:1]
	s_mov_b32 s44, 0
	global_store_b32 v[4:5], v2, off
.LBB151_745:
	s_and_not1_b32 vcc_lo, exec_lo, s44
	s_cbranch_vccnz .LBB151_747
; %bb.746:
	v_cvt_u32_f64_e32 v2, v[0:1]
	global_store_b16 v[4:5], v2, off
.LBB151_747:
	s_mov_b32 s44, 0
.LBB151_748:
	s_delay_alu instid0(SALU_CYCLE_1)
	s_and_not1_b32 vcc_lo, exec_lo, s44
	s_cbranch_vccnz .LBB151_756
; %bb.749:
	s_delay_alu instid0(VALU_DEP_4) | instskip(SKIP_2) | instid1(VALU_DEP_2)
	v_cvt_f32_f64_e32 v2, v[0:1]
	v_mov_b32_e32 v7, 0x80
	s_mov_b32 s44, exec_lo
	v_and_b32_e32 v3, 0x7fffffff, v2
	s_delay_alu instid0(VALU_DEP_1)
	v_cmpx_gt_u32_e32 0x43800000, v3
	s_cbranch_execz .LBB151_755
; %bb.750:
	v_cmp_lt_u32_e32 vcc_lo, 0x3bffffff, v3
	s_mov_b32 s45, 0
                                        ; implicit-def: $vgpr3
	s_and_saveexec_b32 s47, vcc_lo
	s_delay_alu instid0(SALU_CYCLE_1)
	s_xor_b32 s47, exec_lo, s47
	s_cbranch_execz .LBB151_807
; %bb.751:
	v_bfe_u32 v3, v2, 20, 1
	s_mov_b32 s45, exec_lo
	s_delay_alu instid0(VALU_DEP_1) | instskip(NEXT) | instid1(VALU_DEP_1)
	v_add3_u32 v3, v2, v3, 0x487ffff
	v_lshrrev_b32_e32 v3, 20, v3
	s_or_saveexec_b32 s47, s47
                                        ; implicit-def: $sgpr48
	s_delay_alu instid0(SALU_CYCLE_1)
	s_xor_b32 exec_lo, exec_lo, s47
	s_cbranch_execnz .LBB151_808
.LBB151_752:
	s_or_b32 exec_lo, exec_lo, s47
	v_mov_b32_e32 v7, s48
	s_and_saveexec_b32 s47, s45
.LBB151_753:
	v_lshrrev_b32_e32 v2, 24, v2
	s_delay_alu instid0(VALU_DEP_1)
	v_and_or_b32 v7, 0x80, v2, v3
.LBB151_754:
	s_or_b32 exec_lo, exec_lo, s47
.LBB151_755:
	s_delay_alu instid0(SALU_CYCLE_1)
	s_or_b32 exec_lo, exec_lo, s44
	global_store_b8 v[4:5], v7, off
.LBB151_756:
	s_mov_b32 s44, -1
.LBB151_757:
	s_mov_b32 s45, 0
.LBB151_758:
	s_delay_alu instid0(SALU_CYCLE_1)
	s_and_b32 vcc_lo, exec_lo, s45
	s_cbranch_vccz .LBB151_799
; %bb.759:
	v_cmp_lt_i16_e32 vcc_lo, 22, v6
	s_mov_b32 s45, -1
	s_cbranch_vccz .LBB151_791
; %bb.760:
	v_cmp_gt_i16_e32 vcc_lo, 24, v6
	s_mov_b32 s44, -1
	s_cbranch_vccnz .LBB151_780
; %bb.761:
	v_cmp_lt_i16_e32 vcc_lo, 24, v6
	s_cbranch_vccz .LBB151_769
; %bb.762:
	v_cvt_f32_f64_e32 v2, v[0:1]
	v_mov_b32_e32 v7, 0x80
	s_mov_b32 s44, exec_lo
	s_delay_alu instid0(VALU_DEP_2) | instskip(NEXT) | instid1(VALU_DEP_1)
	v_and_b32_e32 v3, 0x7fffffff, v2
	v_cmpx_gt_u32_e32 0x47800000, v3
	s_cbranch_execz .LBB151_768
; %bb.763:
	v_cmp_lt_u32_e32 vcc_lo, 0x37ffffff, v3
	s_mov_b32 s45, 0
                                        ; implicit-def: $vgpr3
	s_and_saveexec_b32 s47, vcc_lo
	s_delay_alu instid0(SALU_CYCLE_1)
	s_xor_b32 s47, exec_lo, s47
	s_cbranch_execz .LBB151_934
; %bb.764:
	v_bfe_u32 v3, v2, 21, 1
	s_mov_b32 s45, exec_lo
	s_delay_alu instid0(VALU_DEP_1) | instskip(NEXT) | instid1(VALU_DEP_1)
	v_add3_u32 v3, v2, v3, 0x88fffff
	v_lshrrev_b32_e32 v3, 21, v3
	s_or_saveexec_b32 s47, s47
                                        ; implicit-def: $sgpr48
	s_delay_alu instid0(SALU_CYCLE_1)
	s_xor_b32 exec_lo, exec_lo, s47
	s_cbranch_execnz .LBB151_935
.LBB151_765:
	s_or_b32 exec_lo, exec_lo, s47
	v_mov_b32_e32 v7, s48
	s_and_saveexec_b32 s47, s45
.LBB151_766:
	v_lshrrev_b32_e32 v2, 24, v2
	s_delay_alu instid0(VALU_DEP_1)
	v_and_or_b32 v7, 0x80, v2, v3
.LBB151_767:
	s_or_b32 exec_lo, exec_lo, s47
.LBB151_768:
	s_delay_alu instid0(SALU_CYCLE_1)
	s_or_b32 exec_lo, exec_lo, s44
	s_mov_b32 s44, 0
	global_store_b8 v[4:5], v7, off
.LBB151_769:
	s_and_b32 vcc_lo, exec_lo, s44
	s_cbranch_vccz .LBB151_779
; %bb.770:
	v_cvt_f32_f64_e32 v2, v[0:1]
	s_mov_b32 s44, exec_lo
                                        ; implicit-def: $vgpr3
	s_delay_alu instid0(VALU_DEP_1) | instskip(NEXT) | instid1(VALU_DEP_1)
	v_and_b32_e32 v7, 0x7fffffff, v2
	v_cmpx_gt_u32_e32 0x43f00000, v7
	s_xor_b32 s44, exec_lo, s44
	s_cbranch_execz .LBB151_776
; %bb.771:
	s_mov_b32 s45, exec_lo
                                        ; implicit-def: $vgpr3
	v_cmpx_lt_u32_e32 0x3c7fffff, v7
	s_xor_b32 s45, exec_lo, s45
; %bb.772:
	v_bfe_u32 v3, v2, 20, 1
	s_delay_alu instid0(VALU_DEP_1) | instskip(NEXT) | instid1(VALU_DEP_1)
	v_add3_u32 v3, v2, v3, 0x407ffff
	v_and_b32_e32 v7, 0xff00000, v3
	v_lshrrev_b32_e32 v3, 20, v3
	s_delay_alu instid0(VALU_DEP_2) | instskip(NEXT) | instid1(VALU_DEP_2)
	v_cmp_ne_u32_e32 vcc_lo, 0x7f00000, v7
	v_cndmask_b32_e32 v3, 0x7e, v3, vcc_lo
; %bb.773:
	s_and_not1_saveexec_b32 s45, s45
; %bb.774:
	v_add_f32_e64 v3, 0x46800000, |v2|
; %bb.775:
	s_or_b32 exec_lo, exec_lo, s45
                                        ; implicit-def: $vgpr7
.LBB151_776:
	s_and_not1_saveexec_b32 s44, s44
; %bb.777:
	v_mov_b32_e32 v3, 0x7f
	v_cmp_lt_u32_e32 vcc_lo, 0x7f800000, v7
	s_delay_alu instid0(VALU_DEP_2)
	v_cndmask_b32_e32 v3, 0x7e, v3, vcc_lo
; %bb.778:
	s_or_b32 exec_lo, exec_lo, s44
	v_lshrrev_b32_e32 v2, 24, v2
	s_delay_alu instid0(VALU_DEP_1)
	v_and_or_b32 v2, 0x80, v2, v3
	global_store_b8 v[4:5], v2, off
.LBB151_779:
	s_mov_b32 s44, 0
.LBB151_780:
	s_delay_alu instid0(SALU_CYCLE_1)
	s_and_not1_b32 vcc_lo, exec_lo, s44
	s_cbranch_vccnz .LBB151_790
; %bb.781:
	s_delay_alu instid0(VALU_DEP_4) | instskip(SKIP_1) | instid1(VALU_DEP_1)
	v_cvt_f32_f64_e32 v2, v[0:1]
	s_mov_b32 s44, exec_lo
                                        ; implicit-def: $vgpr3
	v_and_b32_e32 v7, 0x7fffffff, v2
	s_delay_alu instid0(VALU_DEP_1)
	v_cmpx_gt_u32_e32 0x47800000, v7
	s_xor_b32 s44, exec_lo, s44
	s_cbranch_execz .LBB151_787
; %bb.782:
	s_mov_b32 s45, exec_lo
                                        ; implicit-def: $vgpr3
	v_cmpx_lt_u32_e32 0x387fffff, v7
	s_xor_b32 s45, exec_lo, s45
; %bb.783:
	v_bfe_u32 v3, v2, 21, 1
	s_delay_alu instid0(VALU_DEP_1) | instskip(NEXT) | instid1(VALU_DEP_1)
	v_add3_u32 v3, v2, v3, 0x80fffff
	v_lshrrev_b32_e32 v3, 21, v3
; %bb.784:
	s_and_not1_saveexec_b32 s45, s45
; %bb.785:
	v_add_f32_e64 v3, 0x43000000, |v2|
; %bb.786:
	s_or_b32 exec_lo, exec_lo, s45
                                        ; implicit-def: $vgpr7
.LBB151_787:
	s_and_not1_saveexec_b32 s44, s44
; %bb.788:
	v_mov_b32_e32 v3, 0x7f
	v_cmp_lt_u32_e32 vcc_lo, 0x7f800000, v7
	s_delay_alu instid0(VALU_DEP_2)
	v_cndmask_b32_e32 v3, 0x7c, v3, vcc_lo
; %bb.789:
	s_or_b32 exec_lo, exec_lo, s44
	v_lshrrev_b32_e32 v2, 24, v2
	s_delay_alu instid0(VALU_DEP_1)
	v_and_or_b32 v2, 0x80, v2, v3
	global_store_b8 v[4:5], v2, off
.LBB151_790:
	s_mov_b32 s45, 0
	s_mov_b32 s44, -1
.LBB151_791:
	s_and_not1_b32 vcc_lo, exec_lo, s45
	s_cbranch_vccnz .LBB151_799
; %bb.792:
	v_cmp_lt_i16_e32 vcc_lo, 14, v6
	s_mov_b32 s45, -1
	s_cbranch_vccz .LBB151_796
; %bb.793:
	v_cmp_eq_u16_e32 vcc_lo, 15, v6
	s_mov_b32 s2, -1
	s_cbranch_vccz .LBB151_795
; %bb.794:
	v_cvt_f32_f64_e32 v2, v[0:1]
	s_mov_b32 s44, -1
	s_mov_b32 s2, 0
	s_delay_alu instid0(VALU_DEP_1) | instskip(SKIP_1) | instid1(VALU_DEP_2)
	v_bfe_u32 v3, v2, 16, 1
	v_cmp_o_f32_e32 vcc_lo, v2, v2
	v_add3_u32 v3, v2, v3, 0x7fff
	s_delay_alu instid0(VALU_DEP_1) | instskip(NEXT) | instid1(VALU_DEP_1)
	v_lshrrev_b32_e32 v3, 16, v3
	v_cndmask_b32_e32 v2, 0x7fc0, v3, vcc_lo
	global_store_b16 v[4:5], v2, off
.LBB151_795:
	s_mov_b32 s45, 0
.LBB151_796:
	s_delay_alu instid0(SALU_CYCLE_1)
	s_and_b32 vcc_lo, exec_lo, s45
	s_cbranch_vccz .LBB151_799
; %bb.797:
	v_cmp_eq_u16_e32 vcc_lo, 11, v6
	s_mov_b32 s2, -1
	s_cbranch_vccz .LBB151_799
; %bb.798:
	v_cmp_neq_f64_e32 vcc_lo, 0, v[0:1]
	s_mov_b32 s44, -1
	s_mov_b32 s2, 0
	v_cndmask_b32_e64 v2, 0, 1, vcc_lo
	global_store_b8 v[4:5], v2, off
.LBB151_799:
.LBB151_800:
	s_and_not1_b32 vcc_lo, exec_lo, s44
	s_cbranch_vccnz .LBB151_700
.LBB151_801:
	v_add_nc_u32_e32 v8, 0x80, v8
	s_mov_b32 s47, -1
	s_branch .LBB151_702
.LBB151_802:
	s_mov_b32 s48, -1
.LBB151_803:
                                        ; implicit-def: $vgpr0_vgpr1
.LBB151_804:
	s_and_b32 vcc_lo, exec_lo, s3
	s_cbranch_vccz .LBB151_810
; %bb.805:
	v_cmp_eq_u16_e32 vcc_lo, 44, v6
	s_cbranch_vccz .LBB151_809
; %bb.806:
	global_load_u8 v7, v[4:5], off
	s_mov_b32 s48, 0
	s_mov_b32 s2, -1
	s_waitcnt vmcnt(0)
	v_cmp_ne_u32_e32 vcc_lo, 0xff, v7
	v_lshlrev_b32_e32 v0, 23, v7
	s_delay_alu instid0(VALU_DEP_1) | instskip(NEXT) | instid1(VALU_DEP_1)
	v_cvt_f64_f32_e32 v[0:1], v0
	v_cndmask_b32_e32 v1, 0x7ff80000, v1, vcc_lo
	s_delay_alu instid0(VALU_DEP_2) | instskip(SKIP_1) | instid1(VALU_DEP_3)
	v_cndmask_b32_e32 v0, 0x20000000, v0, vcc_lo
	v_cmp_ne_u32_e32 vcc_lo, 0, v7
	v_cndmask_b32_e32 v1, 0x38000000, v1, vcc_lo
	s_delay_alu instid0(VALU_DEP_3)
	v_cndmask_b32_e32 v0, 0, v0, vcc_lo
	s_branch .LBB151_810
.LBB151_807:
	s_or_saveexec_b32 s47, s47
                                        ; implicit-def: $sgpr48
	s_delay_alu instid0(SALU_CYCLE_1)
	s_xor_b32 exec_lo, exec_lo, s47
	s_cbranch_execz .LBB151_752
.LBB151_808:
	v_add_f32_e64 v3, 0x46000000, |v2|
	s_and_not1_b32 s45, s45, exec_lo
	s_mov_b32 s48, 0
	s_delay_alu instid0(VALU_DEP_1) | instskip(NEXT) | instid1(VALU_DEP_1)
	v_and_b32_e32 v3, 0xff, v3
	v_cmp_ne_u32_e32 vcc_lo, 0, v3
	s_and_b32 s49, vcc_lo, exec_lo
	s_delay_alu instid0(SALU_CYCLE_1)
	s_or_b32 s45, s45, s49
	s_or_b32 exec_lo, exec_lo, s47
	v_mov_b32_e32 v7, s48
	s_and_saveexec_b32 s47, s45
	s_cbranch_execnz .LBB151_753
	s_branch .LBB151_754
.LBB151_809:
	s_mov_b32 s48, -1
                                        ; implicit-def: $vgpr0_vgpr1
.LBB151_810:
	s_mov_b32 s3, 0
.LBB151_811:
	s_delay_alu instid0(SALU_CYCLE_1)
	s_and_b32 vcc_lo, exec_lo, s3
	s_cbranch_vccz .LBB151_815
; %bb.812:
	v_cmp_eq_u16_e32 vcc_lo, 29, v6
	s_cbranch_vccz .LBB151_814
; %bb.813:
	global_load_b64 v[0:1], v[4:5], off
	s_mov_b32 s2, -1
	s_mov_b32 s48, 0
	s_mov_b32 s3, 0
	s_waitcnt vmcnt(0)
	v_cvt_f64_u32_e32 v[9:10], v1
	v_cvt_f64_u32_e32 v[0:1], v0
	s_delay_alu instid0(VALU_DEP_2) | instskip(NEXT) | instid1(VALU_DEP_1)
	v_ldexp_f64 v[9:10], v[9:10], 32
	v_add_f64 v[0:1], v[9:10], v[0:1]
	s_branch .LBB151_816
.LBB151_814:
	s_mov_b32 s48, -1
                                        ; implicit-def: $vgpr0_vgpr1
.LBB151_815:
	s_mov_b32 s3, 0
.LBB151_816:
	s_delay_alu instid0(SALU_CYCLE_1)
	s_and_b32 vcc_lo, exec_lo, s3
	s_cbranch_vccz .LBB151_836
; %bb.817:
	v_cmp_gt_i16_e32 vcc_lo, 27, v6
	s_cbranch_vccnz .LBB151_820
; %bb.818:
	v_cmp_lt_i16_e32 vcc_lo, 27, v6
	s_cbranch_vccz .LBB151_821
; %bb.819:
	global_load_b32 v0, v[4:5], off
	s_mov_b32 s2, 0
	s_waitcnt vmcnt(0)
	v_cvt_f64_u32_e32 v[0:1], v0
	s_branch .LBB151_822
.LBB151_820:
	s_mov_b32 s2, -1
                                        ; implicit-def: $vgpr0_vgpr1
	s_branch .LBB151_825
.LBB151_821:
	s_mov_b32 s2, -1
                                        ; implicit-def: $vgpr0_vgpr1
.LBB151_822:
	s_delay_alu instid0(SALU_CYCLE_1)
	s_and_not1_b32 vcc_lo, exec_lo, s2
	s_cbranch_vccnz .LBB151_824
; %bb.823:
	global_load_u16 v0, v[4:5], off
	s_waitcnt vmcnt(0)
	v_cvt_f64_u32_e32 v[0:1], v0
.LBB151_824:
	s_mov_b32 s2, 0
.LBB151_825:
	s_delay_alu instid0(SALU_CYCLE_1)
	s_and_not1_b32 vcc_lo, exec_lo, s2
	s_cbranch_vccnz .LBB151_835
; %bb.826:
	global_load_u8 v7, v[4:5], off
	s_mov_b32 s49, 0
	s_mov_b32 s50, exec_lo
                                        ; implicit-def: $sgpr2_sgpr3
	s_waitcnt vmcnt(0)
	v_cmpx_lt_i16_e32 0x7f, v7
	s_xor_b32 s50, exec_lo, s50
	s_cbranch_execz .LBB151_830
; %bb.827:
	s_mov_b32 s51, -1
	s_mov_b32 s49, exec_lo
                                        ; implicit-def: $sgpr2_sgpr3
	v_cmpx_eq_u16_e32 0x80, v7
; %bb.828:
	s_mov_b32 s3, 0x7ff80000
	s_brev_b32 s2, 4
	s_xor_b32 s51, exec_lo, -1
; %bb.829:
	s_or_b32 exec_lo, exec_lo, s49
	s_delay_alu instid0(SALU_CYCLE_1)
	s_and_b32 s49, s51, exec_lo
.LBB151_830:
	s_or_saveexec_b32 s50, s50
	v_dual_mov_b32 v0, s2 :: v_dual_mov_b32 v1, s3
	s_xor_b32 exec_lo, exec_lo, s50
; %bb.831:
	v_cmp_ne_u16_e32 vcc_lo, 0, v7
	v_mov_b32_e32 v0, 0
	v_mov_b32_e32 v1, 0
	s_and_not1_b32 s2, s49, exec_lo
	s_and_b32 s3, vcc_lo, exec_lo
	s_delay_alu instid0(SALU_CYCLE_1)
	s_or_b32 s49, s2, s3
; %bb.832:
	s_or_b32 exec_lo, exec_lo, s50
	s_and_saveexec_b32 s2, s49
	s_cbranch_execz .LBB151_834
; %bb.833:
	v_and_b32_e32 v0, 0xffff, v7
	v_lshlrev_b32_e32 v7, 24, v7
	s_delay_alu instid0(VALU_DEP_2) | instskip(NEXT) | instid1(VALU_DEP_2)
	v_and_b32_e32 v1, 7, v0
	v_and_b32_e32 v7, 0x80000000, v7
	s_delay_alu instid0(VALU_DEP_2) | instskip(NEXT) | instid1(VALU_DEP_1)
	v_clz_i32_u32_e32 v9, v1
	v_min_u32_e32 v9, 32, v9
	s_delay_alu instid0(VALU_DEP_1) | instskip(SKIP_1) | instid1(VALU_DEP_2)
	v_subrev_nc_u32_e32 v10, 28, v9
	v_sub_nc_u32_e32 v9, 29, v9
	v_lshlrev_b32_e32 v10, v10, v0
	v_bfe_u32 v0, v0, 3, 4
	s_delay_alu instid0(VALU_DEP_2) | instskip(NEXT) | instid1(VALU_DEP_2)
	v_and_b32_e32 v10, 7, v10
	v_cmp_eq_u32_e32 vcc_lo, 0, v0
	s_delay_alu instid0(VALU_DEP_2) | instskip(NEXT) | instid1(VALU_DEP_1)
	v_dual_cndmask_b32 v0, v0, v9 :: v_dual_cndmask_b32 v1, v1, v10
	v_lshl_add_u32 v0, v0, 23, 0x3b800000
	s_delay_alu instid0(VALU_DEP_2) | instskip(NEXT) | instid1(VALU_DEP_1)
	v_lshlrev_b32_e32 v1, 20, v1
	v_or3_b32 v0, v7, v0, v1
	s_delay_alu instid0(VALU_DEP_1)
	v_cvt_f64_f32_e32 v[0:1], v0
.LBB151_834:
	s_or_b32 exec_lo, exec_lo, s2
.LBB151_835:
	s_mov_b32 s2, -1
.LBB151_836:
	s_mov_b32 s3, 0
.LBB151_837:
	s_delay_alu instid0(SALU_CYCLE_1)
	s_and_b32 vcc_lo, exec_lo, s3
	s_cbranch_vccz .LBB151_870
; %bb.838:
	v_cmp_lt_i16_e32 vcc_lo, 22, v6
	s_cbranch_vccz .LBB151_850
; %bb.839:
	v_cmp_gt_i16_e32 vcc_lo, 24, v6
	s_cbranch_vccnz .LBB151_851
; %bb.840:
	v_cmp_lt_i16_e32 vcc_lo, 24, v6
	s_cbranch_vccz .LBB151_852
; %bb.841:
	global_load_u8 v7, v[4:5], off
	s_mov_b32 s49, 0
	s_mov_b32 s50, exec_lo
                                        ; implicit-def: $sgpr2_sgpr3
	s_waitcnt vmcnt(0)
	v_cmpx_lt_i16_e32 0x7f, v7
	s_xor_b32 s50, exec_lo, s50
	s_cbranch_execz .LBB151_845
; %bb.842:
	s_mov_b32 s51, -1
	s_mov_b32 s49, exec_lo
                                        ; implicit-def: $sgpr2_sgpr3
	v_cmpx_eq_u16_e32 0x80, v7
; %bb.843:
	s_mov_b32 s3, 0x7ff80000
	s_brev_b32 s2, 4
	s_xor_b32 s51, exec_lo, -1
; %bb.844:
	s_or_b32 exec_lo, exec_lo, s49
	s_delay_alu instid0(SALU_CYCLE_1)
	s_and_b32 s49, s51, exec_lo
.LBB151_845:
	s_or_saveexec_b32 s50, s50
	v_dual_mov_b32 v0, s2 :: v_dual_mov_b32 v1, s3
	s_xor_b32 exec_lo, exec_lo, s50
; %bb.846:
	v_cmp_ne_u16_e32 vcc_lo, 0, v7
	v_mov_b32_e32 v0, 0
	v_mov_b32_e32 v1, 0
	s_and_not1_b32 s2, s49, exec_lo
	s_and_b32 s3, vcc_lo, exec_lo
	s_delay_alu instid0(SALU_CYCLE_1)
	s_or_b32 s49, s2, s3
; %bb.847:
	s_or_b32 exec_lo, exec_lo, s50
	s_and_saveexec_b32 s2, s49
	s_cbranch_execz .LBB151_849
; %bb.848:
	v_and_b32_e32 v0, 0xffff, v7
	v_lshlrev_b32_e32 v7, 24, v7
	s_delay_alu instid0(VALU_DEP_2) | instskip(NEXT) | instid1(VALU_DEP_2)
	v_and_b32_e32 v1, 3, v0
	v_and_b32_e32 v7, 0x80000000, v7
	s_delay_alu instid0(VALU_DEP_2) | instskip(NEXT) | instid1(VALU_DEP_1)
	v_clz_i32_u32_e32 v9, v1
	v_min_u32_e32 v9, 32, v9
	s_delay_alu instid0(VALU_DEP_1) | instskip(SKIP_1) | instid1(VALU_DEP_2)
	v_subrev_nc_u32_e32 v10, 29, v9
	v_sub_nc_u32_e32 v9, 30, v9
	v_lshlrev_b32_e32 v10, v10, v0
	v_bfe_u32 v0, v0, 2, 5
	s_delay_alu instid0(VALU_DEP_2) | instskip(NEXT) | instid1(VALU_DEP_2)
	v_and_b32_e32 v10, 3, v10
	v_cmp_eq_u32_e32 vcc_lo, 0, v0
	s_delay_alu instid0(VALU_DEP_2) | instskip(NEXT) | instid1(VALU_DEP_1)
	v_dual_cndmask_b32 v0, v0, v9 :: v_dual_cndmask_b32 v1, v1, v10
	v_lshl_add_u32 v0, v0, 23, 0x37800000
	s_delay_alu instid0(VALU_DEP_2) | instskip(NEXT) | instid1(VALU_DEP_1)
	v_lshlrev_b32_e32 v1, 21, v1
	v_or3_b32 v0, v7, v0, v1
	s_delay_alu instid0(VALU_DEP_1)
	v_cvt_f64_f32_e32 v[0:1], v0
.LBB151_849:
	s_or_b32 exec_lo, exec_lo, s2
	s_mov_b32 s2, 0
	s_branch .LBB151_853
.LBB151_850:
	s_mov_b32 s3, -1
                                        ; implicit-def: $vgpr0_vgpr1
	s_branch .LBB151_859
.LBB151_851:
	s_mov_b32 s2, -1
                                        ; implicit-def: $vgpr0_vgpr1
	s_branch .LBB151_856
.LBB151_852:
	s_mov_b32 s2, -1
                                        ; implicit-def: $vgpr0_vgpr1
.LBB151_853:
	s_delay_alu instid0(SALU_CYCLE_1)
	s_and_b32 vcc_lo, exec_lo, s2
	s_cbranch_vccz .LBB151_855
; %bb.854:
	global_load_u8 v0, v[4:5], off
	s_waitcnt vmcnt(0)
	v_lshlrev_b32_e32 v0, 24, v0
	s_delay_alu instid0(VALU_DEP_1) | instskip(NEXT) | instid1(VALU_DEP_1)
	v_and_b32_e32 v1, 0x7f000000, v0
	v_clz_i32_u32_e32 v7, v1
	v_add_nc_u32_e32 v10, 0x1000000, v1
	v_cmp_ne_u32_e32 vcc_lo, 0, v1
	s_delay_alu instid0(VALU_DEP_3) | instskip(NEXT) | instid1(VALU_DEP_1)
	v_min_u32_e32 v7, 32, v7
	v_sub_nc_u32_e64 v7, v7, 4 clamp
	s_delay_alu instid0(VALU_DEP_1) | instskip(SKIP_1) | instid1(VALU_DEP_2)
	v_lshlrev_b32_e32 v9, v7, v1
	v_lshlrev_b32_e32 v7, 23, v7
	v_lshrrev_b32_e32 v9, 4, v9
	s_delay_alu instid0(VALU_DEP_1) | instskip(SKIP_1) | instid1(VALU_DEP_2)
	v_sub_nc_u32_e32 v7, v9, v7
	v_ashrrev_i32_e32 v9, 8, v10
	v_add_nc_u32_e32 v7, 0x3c000000, v7
	s_delay_alu instid0(VALU_DEP_1) | instskip(NEXT) | instid1(VALU_DEP_1)
	v_and_or_b32 v7, 0x7f800000, v9, v7
	v_cndmask_b32_e32 v1, 0, v7, vcc_lo
	s_delay_alu instid0(VALU_DEP_1) | instskip(NEXT) | instid1(VALU_DEP_1)
	v_and_or_b32 v0, 0x80000000, v0, v1
	v_cvt_f64_f32_e32 v[0:1], v0
.LBB151_855:
	s_mov_b32 s2, 0
.LBB151_856:
	s_delay_alu instid0(SALU_CYCLE_1)
	s_and_not1_b32 vcc_lo, exec_lo, s2
	s_cbranch_vccnz .LBB151_858
; %bb.857:
	global_load_u8 v0, v[4:5], off
	s_waitcnt vmcnt(0)
	v_lshlrev_b32_e32 v1, 25, v0
	v_lshlrev_b16 v0, 8, v0
	s_delay_alu instid0(VALU_DEP_2) | instskip(NEXT) | instid1(VALU_DEP_2)
	v_lshrrev_b32_e32 v7, 4, v1
	v_and_or_b32 v9, 0x7f00, v0, 0.5
	v_cmp_gt_u32_e32 vcc_lo, 0x8000000, v1
	v_bfe_i32 v0, v0, 0, 16
	s_delay_alu instid0(VALU_DEP_4) | instskip(NEXT) | instid1(VALU_DEP_4)
	v_or_b32_e32 v7, 0x70000000, v7
	v_add_f32_e32 v9, -0.5, v9
	s_delay_alu instid0(VALU_DEP_2) | instskip(NEXT) | instid1(VALU_DEP_1)
	v_mul_f32_e32 v7, 0x7800000, v7
	v_cndmask_b32_e32 v1, v7, v9, vcc_lo
	s_delay_alu instid0(VALU_DEP_1) | instskip(NEXT) | instid1(VALU_DEP_1)
	v_and_or_b32 v0, 0x80000000, v0, v1
	v_cvt_f64_f32_e32 v[0:1], v0
.LBB151_858:
	s_mov_b32 s3, 0
	s_mov_b32 s2, -1
.LBB151_859:
	s_and_not1_b32 vcc_lo, exec_lo, s3
	s_cbranch_vccnz .LBB151_870
; %bb.860:
	v_cmp_lt_i16_e32 vcc_lo, 14, v6
	s_cbranch_vccz .LBB151_863
; %bb.861:
	v_cmp_eq_u16_e32 vcc_lo, 15, v6
	s_cbranch_vccz .LBB151_864
; %bb.862:
	global_load_u16 v0, v[4:5], off
	s_mov_b32 s2, -1
	s_mov_b32 s48, 0
	s_waitcnt vmcnt(0)
	v_lshlrev_b32_e32 v0, 16, v0
	s_delay_alu instid0(VALU_DEP_1)
	v_cvt_f64_f32_e32 v[0:1], v0
	s_branch .LBB151_865
.LBB151_863:
	s_mov_b32 s3, -1
                                        ; implicit-def: $vgpr0_vgpr1
	s_branch .LBB151_866
.LBB151_864:
	s_mov_b32 s48, -1
                                        ; implicit-def: $vgpr0_vgpr1
.LBB151_865:
	s_mov_b32 s3, 0
.LBB151_866:
	s_delay_alu instid0(SALU_CYCLE_1)
	s_and_b32 vcc_lo, exec_lo, s3
	s_cbranch_vccz .LBB151_870
; %bb.867:
	v_cmp_eq_u16_e32 vcc_lo, 11, v6
	s_cbranch_vccz .LBB151_869
; %bb.868:
	global_load_u8 v0, v[4:5], off
	s_mov_b32 s48, 0
	s_mov_b32 s2, -1
	s_waitcnt vmcnt(0)
	v_cmp_ne_u16_e32 vcc_lo, 0, v0
	v_mov_b32_e32 v0, 0
	v_cndmask_b32_e64 v1, 0, 0x3ff00000, vcc_lo
	s_branch .LBB151_870
.LBB151_869:
	s_mov_b32 s48, -1
                                        ; implicit-def: $vgpr0_vgpr1
.LBB151_870:
	s_mov_b32 s3, 0
.LBB151_871:
	s_delay_alu instid0(SALU_CYCLE_1)
	s_and_b32 vcc_lo, exec_lo, s3
	s_cbranch_vccz .LBB151_920
; %bb.872:
	v_cmp_gt_i16_e32 vcc_lo, 5, v6
	s_cbranch_vccnz .LBB151_877
; %bb.873:
	v_cmp_gt_i16_e32 vcc_lo, 8, v6
	s_cbranch_vccnz .LBB151_878
	;; [unrolled: 3-line block ×3, first 2 shown]
; %bb.875:
	v_cmp_lt_i16_e32 vcc_lo, 9, v6
	s_cbranch_vccz .LBB151_880
; %bb.876:
	global_load_b64 v[0:1], v[4:5], off
	s_mov_b32 s2, 0
	s_branch .LBB151_881
.LBB151_877:
	s_mov_b32 s2, -1
                                        ; implicit-def: $vgpr0_vgpr1
	s_branch .LBB151_899
.LBB151_878:
	s_mov_b32 s2, -1
                                        ; implicit-def: $vgpr0_vgpr1
	s_branch .LBB151_887
.LBB151_879:
	s_mov_b32 s2, -1
                                        ; implicit-def: $vgpr0_vgpr1
	s_branch .LBB151_884
.LBB151_880:
	s_mov_b32 s2, -1
                                        ; implicit-def: $vgpr0_vgpr1
.LBB151_881:
	s_delay_alu instid0(SALU_CYCLE_1)
	s_and_not1_b32 vcc_lo, exec_lo, s2
	s_cbranch_vccnz .LBB151_883
; %bb.882:
	global_load_b32 v0, v[4:5], off
	s_waitcnt vmcnt(0)
	v_cvt_f64_f32_e32 v[0:1], v0
.LBB151_883:
	s_mov_b32 s2, 0
.LBB151_884:
	s_delay_alu instid0(SALU_CYCLE_1)
	s_and_not1_b32 vcc_lo, exec_lo, s2
	s_cbranch_vccnz .LBB151_886
; %bb.885:
	global_load_b32 v0, v[4:5], off
	s_waitcnt vmcnt(0)
	v_cvt_f32_f16_e32 v0, v0
	s_delay_alu instid0(VALU_DEP_1)
	v_cvt_f64_f32_e32 v[0:1], v0
.LBB151_886:
	s_mov_b32 s2, 0
.LBB151_887:
	s_delay_alu instid0(SALU_CYCLE_1)
	s_and_not1_b32 vcc_lo, exec_lo, s2
	s_cbranch_vccnz .LBB151_898
; %bb.888:
	v_cmp_gt_i16_e32 vcc_lo, 6, v6
	s_cbranch_vccnz .LBB151_891
; %bb.889:
	v_cmp_lt_i16_e32 vcc_lo, 6, v6
	s_cbranch_vccz .LBB151_892
; %bb.890:
	global_load_b64 v[0:1], v[4:5], off
	s_mov_b32 s2, 0
	s_branch .LBB151_893
.LBB151_891:
	s_mov_b32 s2, -1
                                        ; implicit-def: $vgpr0_vgpr1
	s_branch .LBB151_896
.LBB151_892:
	s_mov_b32 s2, -1
                                        ; implicit-def: $vgpr0_vgpr1
.LBB151_893:
	s_delay_alu instid0(SALU_CYCLE_1)
	s_and_not1_b32 vcc_lo, exec_lo, s2
	s_cbranch_vccnz .LBB151_895
; %bb.894:
	global_load_b32 v0, v[4:5], off
	s_waitcnt vmcnt(0)
	v_cvt_f64_f32_e32 v[0:1], v0
.LBB151_895:
	s_mov_b32 s2, 0
.LBB151_896:
	s_delay_alu instid0(SALU_CYCLE_1)
	s_and_not1_b32 vcc_lo, exec_lo, s2
	s_cbranch_vccnz .LBB151_898
; %bb.897:
	global_load_u16 v0, v[4:5], off
	s_waitcnt vmcnt(0)
	v_cvt_f32_f16_e32 v0, v0
	s_delay_alu instid0(VALU_DEP_1)
	v_cvt_f64_f32_e32 v[0:1], v0
.LBB151_898:
	s_mov_b32 s2, 0
.LBB151_899:
	s_delay_alu instid0(SALU_CYCLE_1)
	s_and_not1_b32 vcc_lo, exec_lo, s2
	s_cbranch_vccnz .LBB151_919
; %bb.900:
	v_cmp_gt_i16_e32 vcc_lo, 2, v6
	s_cbranch_vccnz .LBB151_904
; %bb.901:
	v_cmp_gt_i16_e32 vcc_lo, 3, v6
	s_cbranch_vccnz .LBB151_905
; %bb.902:
	v_cmp_lt_i16_e32 vcc_lo, 3, v6
	s_cbranch_vccz .LBB151_906
; %bb.903:
	global_load_b64 v[0:1], v[4:5], off
	s_mov_b32 s2, 0
	s_waitcnt vmcnt(0)
	v_cvt_f64_i32_e32 v[9:10], v1
	v_cvt_f64_u32_e32 v[0:1], v0
	s_delay_alu instid0(VALU_DEP_2) | instskip(NEXT) | instid1(VALU_DEP_1)
	v_ldexp_f64 v[9:10], v[9:10], 32
	v_add_f64 v[0:1], v[9:10], v[0:1]
	s_branch .LBB151_907
.LBB151_904:
	s_mov_b32 s2, -1
                                        ; implicit-def: $vgpr0_vgpr1
	s_branch .LBB151_913
.LBB151_905:
	s_mov_b32 s2, -1
                                        ; implicit-def: $vgpr0_vgpr1
	s_branch .LBB151_910
.LBB151_906:
	s_mov_b32 s2, -1
                                        ; implicit-def: $vgpr0_vgpr1
.LBB151_907:
	s_delay_alu instid0(SALU_CYCLE_1)
	s_and_not1_b32 vcc_lo, exec_lo, s2
	s_cbranch_vccnz .LBB151_909
; %bb.908:
	global_load_b32 v0, v[4:5], off
	s_waitcnt vmcnt(0)
	v_cvt_f64_i32_e32 v[0:1], v0
.LBB151_909:
	s_mov_b32 s2, 0
.LBB151_910:
	s_delay_alu instid0(SALU_CYCLE_1)
	s_and_not1_b32 vcc_lo, exec_lo, s2
	s_cbranch_vccnz .LBB151_912
; %bb.911:
	global_load_i16 v0, v[4:5], off
	s_waitcnt vmcnt(0)
	v_cvt_f64_i32_e32 v[0:1], v0
.LBB151_912:
	s_mov_b32 s2, 0
.LBB151_913:
	s_delay_alu instid0(SALU_CYCLE_1)
	s_and_not1_b32 vcc_lo, exec_lo, s2
	s_cbranch_vccnz .LBB151_919
; %bb.914:
	v_cmp_lt_i16_e32 vcc_lo, 0, v6
	s_mov_b32 s2, 0
	s_cbranch_vccz .LBB151_916
; %bb.915:
	global_load_i8 v0, v[4:5], off
	s_waitcnt vmcnt(0)
	v_cvt_f64_i32_e32 v[0:1], v0
	s_branch .LBB151_917
.LBB151_916:
	s_mov_b32 s2, -1
                                        ; implicit-def: $vgpr0_vgpr1
.LBB151_917:
	s_delay_alu instid0(SALU_CYCLE_1)
	s_and_not1_b32 vcc_lo, exec_lo, s2
	s_cbranch_vccnz .LBB151_919
; %bb.918:
	global_load_u8 v0, v[4:5], off
	s_waitcnt vmcnt(0)
	v_cvt_f64_u32_e32 v[0:1], v0
.LBB151_919:
	s_mov_b32 s2, -1
.LBB151_920:
	s_delay_alu instid0(SALU_CYCLE_1)
	s_and_not1_b32 vcc_lo, exec_lo, s2
	s_cbranch_vccnz .LBB151_928
; %bb.921:
	v_and_b32_e64 v7, 0xff, s33
	v_add_co_u32 v3, s2, s8, v3
	s_delay_alu instid0(VALU_DEP_1) | instskip(NEXT) | instid1(VALU_DEP_3)
	v_add_co_ci_u32_e64 v4, null, s9, 0, s2
	v_cmp_gt_i16_e32 vcc_lo, 11, v7
	s_mov_b32 s2, 0
	s_cbranch_vccnz .LBB151_929
; %bb.922:
	v_cmp_lt_i16_e32 vcc_lo, 25, v7
	s_cbranch_vccz .LBB151_930
; %bb.923:
	v_cmp_lt_i16_e32 vcc_lo, 28, v7
	s_cbranch_vccz .LBB151_931
	;; [unrolled: 3-line block ×4, first 2 shown]
; %bb.926:
	v_cmp_eq_u16_e32 vcc_lo, 46, v7
	s_mov_b32 s49, 0
	s_cbranch_vccz .LBB151_936
; %bb.927:
	global_load_b32 v5, v[3:4], off
	s_mov_b32 s2, -1
	s_mov_b32 s3, 0
	s_waitcnt vmcnt(0)
	v_lshlrev_b32_e32 v5, 16, v5
	s_delay_alu instid0(VALU_DEP_1) | instskip(NEXT) | instid1(VALU_DEP_1)
	v_trunc_f32_e32 v5, v5
	v_mul_f32_e64 v6, 0x2f800000, |v5|
	s_delay_alu instid0(VALU_DEP_1) | instskip(NEXT) | instid1(VALU_DEP_1)
	v_floor_f32_e32 v6, v6
	v_fma_f32 v6, 0xcf800000, v6, |v5|
	v_ashrrev_i32_e32 v5, 31, v5
	s_delay_alu instid0(VALU_DEP_2) | instskip(NEXT) | instid1(VALU_DEP_1)
	v_cvt_u32_f32_e32 v6, v6
	v_xor_b32_e32 v6, v6, v5
	s_delay_alu instid0(VALU_DEP_1)
	v_sub_nc_u32_e32 v5, v6, v5
	s_branch .LBB151_938
.LBB151_928:
	s_mov_b32 s51, 0
	s_mov_b32 s2, s44
	;; [unrolled: 1-line block ×3, first 2 shown]
	s_branch .LBB151_1097
.LBB151_929:
	s_mov_b32 s49, -1
	s_mov_b32 s3, s45
                                        ; implicit-def: $vgpr5
	s_branch .LBB151_999
.LBB151_930:
	s_mov_b32 s49, -1
	s_mov_b32 s3, s45
                                        ; implicit-def: $vgpr5
	s_branch .LBB151_965
.LBB151_931:
	s_mov_b32 s49, -1
	s_mov_b32 s3, s45
                                        ; implicit-def: $vgpr5
	s_branch .LBB151_948
.LBB151_932:
	s_mov_b32 s49, -1
	s_mov_b32 s3, s45
                                        ; implicit-def: $vgpr5
	s_branch .LBB151_943
.LBB151_933:
	s_mov_b32 s49, -1
	s_mov_b32 s3, s45
	s_branch .LBB151_937
.LBB151_934:
	s_or_saveexec_b32 s47, s47
                                        ; implicit-def: $sgpr48
	s_delay_alu instid0(SALU_CYCLE_1)
	s_xor_b32 exec_lo, exec_lo, s47
	s_cbranch_execz .LBB151_765
.LBB151_935:
	v_add_f32_e64 v3, 0x42800000, |v2|
	s_and_not1_b32 s45, s45, exec_lo
	s_mov_b32 s48, 0
	s_delay_alu instid0(VALU_DEP_1) | instskip(NEXT) | instid1(VALU_DEP_1)
	v_and_b32_e32 v3, 0xff, v3
	v_cmp_ne_u32_e32 vcc_lo, 0, v3
	s_and_b32 s49, vcc_lo, exec_lo
	s_delay_alu instid0(SALU_CYCLE_1)
	s_or_b32 s45, s45, s49
	s_or_b32 exec_lo, exec_lo, s47
	v_mov_b32_e32 v7, s48
	s_and_saveexec_b32 s47, s45
	s_cbranch_execnz .LBB151_766
	s_branch .LBB151_767
.LBB151_936:
	s_mov_b32 s3, -1
.LBB151_937:
                                        ; implicit-def: $vgpr5
.LBB151_938:
	s_and_b32 vcc_lo, exec_lo, s49
	s_cbranch_vccz .LBB151_942
; %bb.939:
	v_cmp_eq_u16_e32 vcc_lo, 44, v7
	s_cbranch_vccz .LBB151_941
; %bb.940:
	global_load_u8 v5, v[3:4], off
	s_mov_b32 s3, 0
	s_mov_b32 s2, -1
	s_waitcnt vmcnt(0)
	v_lshlrev_b32_e32 v6, 23, v5
	v_cmp_ne_u32_e32 vcc_lo, 0, v5
	s_delay_alu instid0(VALU_DEP_2) | instskip(NEXT) | instid1(VALU_DEP_1)
	v_trunc_f32_e32 v6, v6
	v_mul_f32_e64 v9, 0x2f800000, |v6|
	s_delay_alu instid0(VALU_DEP_1) | instskip(NEXT) | instid1(VALU_DEP_1)
	v_floor_f32_e32 v9, v9
	v_fma_f32 v9, 0xcf800000, v9, |v6|
	v_ashrrev_i32_e32 v6, 31, v6
	s_delay_alu instid0(VALU_DEP_2) | instskip(NEXT) | instid1(VALU_DEP_1)
	v_cvt_u32_f32_e32 v9, v9
	v_xor_b32_e32 v9, v9, v6
	s_delay_alu instid0(VALU_DEP_1) | instskip(NEXT) | instid1(VALU_DEP_1)
	v_sub_nc_u32_e32 v6, v9, v6
	v_cndmask_b32_e32 v5, 0, v6, vcc_lo
	s_branch .LBB151_942
.LBB151_941:
	s_mov_b32 s3, -1
                                        ; implicit-def: $vgpr5
.LBB151_942:
	s_mov_b32 s49, 0
.LBB151_943:
	s_delay_alu instid0(SALU_CYCLE_1)
	s_and_b32 vcc_lo, exec_lo, s49
	s_cbranch_vccz .LBB151_947
; %bb.944:
	v_cmp_eq_u16_e32 vcc_lo, 29, v7
	s_cbranch_vccz .LBB151_946
; %bb.945:
	global_load_b64 v[5:6], v[3:4], off
	s_mov_b32 s2, -1
	s_mov_b32 s3, 0
	s_branch .LBB151_947
.LBB151_946:
	s_mov_b32 s3, -1
                                        ; implicit-def: $vgpr5
.LBB151_947:
	s_mov_b32 s49, 0
.LBB151_948:
	s_delay_alu instid0(SALU_CYCLE_1)
	s_and_b32 vcc_lo, exec_lo, s49
	s_cbranch_vccz .LBB151_964
; %bb.949:
	v_cmp_gt_i16_e32 vcc_lo, 27, v7
	s_cbranch_vccnz .LBB151_952
; %bb.950:
	v_cmp_lt_i16_e32 vcc_lo, 27, v7
	s_cbranch_vccz .LBB151_953
; %bb.951:
	global_load_b32 v5, v[3:4], off
	s_mov_b32 s2, 0
	s_branch .LBB151_954
.LBB151_952:
	s_mov_b32 s2, -1
                                        ; implicit-def: $vgpr5
	s_branch .LBB151_957
.LBB151_953:
	s_mov_b32 s2, -1
                                        ; implicit-def: $vgpr5
.LBB151_954:
	s_delay_alu instid0(SALU_CYCLE_1)
	s_and_not1_b32 vcc_lo, exec_lo, s2
	s_cbranch_vccnz .LBB151_956
; %bb.955:
	global_load_u16 v5, v[3:4], off
.LBB151_956:
	s_mov_b32 s2, 0
.LBB151_957:
	s_delay_alu instid0(SALU_CYCLE_1)
	s_and_not1_b32 vcc_lo, exec_lo, s2
	s_cbranch_vccnz .LBB151_963
; %bb.958:
	global_load_u8 v6, v[3:4], off
	s_mov_b32 s49, 0
	s_mov_b32 s2, exec_lo
                                        ; implicit-def: $sgpr50
	s_waitcnt vmcnt(0)
	v_cmpx_lt_i16_e32 0x7f, v6
	s_xor_b32 s2, exec_lo, s2
	s_cbranch_execz .LBB151_975
; %bb.959:
	v_cmp_ne_u16_e32 vcc_lo, 0x80, v6
	s_mov_b32 s50, 0
	s_and_b32 s49, vcc_lo, exec_lo
	s_or_saveexec_b32 s2, s2
	v_mov_b32_e32 v5, s50
	s_xor_b32 exec_lo, exec_lo, s2
	s_cbranch_execnz .LBB151_976
.LBB151_960:
	s_or_b32 exec_lo, exec_lo, s2
	s_and_saveexec_b32 s2, s49
	s_cbranch_execz .LBB151_962
.LBB151_961:
	v_and_b32_e32 v5, 0xffff, v6
	s_delay_alu instid0(VALU_DEP_1) | instskip(NEXT) | instid1(VALU_DEP_1)
	v_and_b32_e32 v9, 7, v5
	v_clz_i32_u32_e32 v10, v9
	s_delay_alu instid0(VALU_DEP_1) | instskip(NEXT) | instid1(VALU_DEP_1)
	v_min_u32_e32 v10, 32, v10
	v_subrev_nc_u32_e32 v11, 28, v10
	v_sub_nc_u32_e32 v10, 29, v10
	s_delay_alu instid0(VALU_DEP_2) | instskip(SKIP_1) | instid1(VALU_DEP_2)
	v_lshlrev_b32_e32 v11, v11, v5
	v_bfe_u32 v5, v5, 3, 4
	v_and_b32_e32 v11, 7, v11
	s_delay_alu instid0(VALU_DEP_2) | instskip(NEXT) | instid1(VALU_DEP_2)
	v_cmp_eq_u32_e32 vcc_lo, 0, v5
	v_dual_cndmask_b32 v9, v9, v11 :: v_dual_lshlrev_b32 v6, 24, v6
	v_cndmask_b32_e32 v5, v5, v10, vcc_lo
	s_delay_alu instid0(VALU_DEP_2) | instskip(NEXT) | instid1(VALU_DEP_3)
	v_and_b32_e32 v6, 0x80000000, v6
	v_lshlrev_b32_e32 v9, 20, v9
	s_delay_alu instid0(VALU_DEP_3) | instskip(NEXT) | instid1(VALU_DEP_1)
	v_lshl_add_u32 v5, v5, 23, 0x3b800000
	v_or3_b32 v5, v6, v5, v9
	s_delay_alu instid0(VALU_DEP_1) | instskip(NEXT) | instid1(VALU_DEP_1)
	v_trunc_f32_e32 v5, v5
	v_mul_f32_e64 v6, 0x2f800000, |v5|
	s_delay_alu instid0(VALU_DEP_1) | instskip(NEXT) | instid1(VALU_DEP_1)
	v_floor_f32_e32 v6, v6
	v_fma_f32 v6, 0xcf800000, v6, |v5|
	v_ashrrev_i32_e32 v5, 31, v5
	s_delay_alu instid0(VALU_DEP_2) | instskip(NEXT) | instid1(VALU_DEP_1)
	v_cvt_u32_f32_e32 v6, v6
	v_xor_b32_e32 v6, v6, v5
	s_delay_alu instid0(VALU_DEP_1)
	v_sub_nc_u32_e32 v5, v6, v5
.LBB151_962:
	s_or_b32 exec_lo, exec_lo, s2
.LBB151_963:
	s_mov_b32 s2, -1
.LBB151_964:
	s_mov_b32 s49, 0
.LBB151_965:
	s_delay_alu instid0(SALU_CYCLE_1)
	s_and_b32 vcc_lo, exec_lo, s49
	s_cbranch_vccz .LBB151_998
; %bb.966:
	v_cmp_lt_i16_e32 vcc_lo, 22, v7
	s_cbranch_vccz .LBB151_974
; %bb.967:
	v_cmp_gt_i16_e32 vcc_lo, 24, v7
	s_cbranch_vccnz .LBB151_977
; %bb.968:
	v_cmp_lt_i16_e32 vcc_lo, 24, v7
	s_cbranch_vccz .LBB151_978
; %bb.969:
	global_load_u8 v6, v[3:4], off
	s_mov_b32 s49, 0
	s_mov_b32 s2, exec_lo
                                        ; implicit-def: $sgpr50
	s_waitcnt vmcnt(0)
	v_cmpx_lt_i16_e32 0x7f, v6
	s_xor_b32 s2, exec_lo, s2
	s_cbranch_execz .LBB151_990
; %bb.970:
	v_cmp_ne_u16_e32 vcc_lo, 0x80, v6
	s_mov_b32 s50, 0
	s_and_b32 s49, vcc_lo, exec_lo
	s_or_saveexec_b32 s2, s2
	v_mov_b32_e32 v5, s50
	s_xor_b32 exec_lo, exec_lo, s2
	s_cbranch_execnz .LBB151_991
.LBB151_971:
	s_or_b32 exec_lo, exec_lo, s2
	s_and_saveexec_b32 s2, s49
	s_cbranch_execz .LBB151_973
.LBB151_972:
	v_and_b32_e32 v5, 0xffff, v6
	s_delay_alu instid0(VALU_DEP_1) | instskip(NEXT) | instid1(VALU_DEP_1)
	v_and_b32_e32 v9, 3, v5
	v_clz_i32_u32_e32 v10, v9
	s_delay_alu instid0(VALU_DEP_1) | instskip(NEXT) | instid1(VALU_DEP_1)
	v_min_u32_e32 v10, 32, v10
	v_subrev_nc_u32_e32 v11, 29, v10
	v_sub_nc_u32_e32 v10, 30, v10
	s_delay_alu instid0(VALU_DEP_2) | instskip(SKIP_1) | instid1(VALU_DEP_2)
	v_lshlrev_b32_e32 v11, v11, v5
	v_bfe_u32 v5, v5, 2, 5
	v_and_b32_e32 v11, 3, v11
	s_delay_alu instid0(VALU_DEP_2) | instskip(NEXT) | instid1(VALU_DEP_2)
	v_cmp_eq_u32_e32 vcc_lo, 0, v5
	v_dual_cndmask_b32 v9, v9, v11 :: v_dual_lshlrev_b32 v6, 24, v6
	v_cndmask_b32_e32 v5, v5, v10, vcc_lo
	s_delay_alu instid0(VALU_DEP_2) | instskip(NEXT) | instid1(VALU_DEP_3)
	v_and_b32_e32 v6, 0x80000000, v6
	v_lshlrev_b32_e32 v9, 21, v9
	s_delay_alu instid0(VALU_DEP_3) | instskip(NEXT) | instid1(VALU_DEP_1)
	v_lshl_add_u32 v5, v5, 23, 0x37800000
	v_or3_b32 v5, v6, v5, v9
	s_delay_alu instid0(VALU_DEP_1) | instskip(NEXT) | instid1(VALU_DEP_1)
	v_trunc_f32_e32 v5, v5
	v_mul_f32_e64 v6, 0x2f800000, |v5|
	s_delay_alu instid0(VALU_DEP_1) | instskip(NEXT) | instid1(VALU_DEP_1)
	v_floor_f32_e32 v6, v6
	v_fma_f32 v6, 0xcf800000, v6, |v5|
	v_ashrrev_i32_e32 v5, 31, v5
	s_delay_alu instid0(VALU_DEP_2) | instskip(NEXT) | instid1(VALU_DEP_1)
	v_cvt_u32_f32_e32 v6, v6
	v_xor_b32_e32 v6, v6, v5
	s_delay_alu instid0(VALU_DEP_1)
	v_sub_nc_u32_e32 v5, v6, v5
.LBB151_973:
	s_or_b32 exec_lo, exec_lo, s2
	s_mov_b32 s2, 0
	s_branch .LBB151_979
.LBB151_974:
	s_mov_b32 s49, -1
                                        ; implicit-def: $vgpr5
	s_branch .LBB151_985
.LBB151_975:
	s_or_saveexec_b32 s2, s2
	v_mov_b32_e32 v5, s50
	s_xor_b32 exec_lo, exec_lo, s2
	s_cbranch_execz .LBB151_960
.LBB151_976:
	v_cmp_ne_u16_e32 vcc_lo, 0, v6
	v_mov_b32_e32 v5, 0
	s_and_not1_b32 s49, s49, exec_lo
	s_and_b32 s50, vcc_lo, exec_lo
	s_delay_alu instid0(SALU_CYCLE_1)
	s_or_b32 s49, s49, s50
	s_or_b32 exec_lo, exec_lo, s2
	s_and_saveexec_b32 s2, s49
	s_cbranch_execnz .LBB151_961
	s_branch .LBB151_962
.LBB151_977:
	s_mov_b32 s2, -1
                                        ; implicit-def: $vgpr5
	s_branch .LBB151_982
.LBB151_978:
	s_mov_b32 s2, -1
                                        ; implicit-def: $vgpr5
.LBB151_979:
	s_delay_alu instid0(SALU_CYCLE_1)
	s_and_b32 vcc_lo, exec_lo, s2
	s_cbranch_vccz .LBB151_981
; %bb.980:
	global_load_u8 v5, v[3:4], off
	s_waitcnt vmcnt(0)
	v_lshlrev_b32_e32 v5, 24, v5
	s_delay_alu instid0(VALU_DEP_1) | instskip(NEXT) | instid1(VALU_DEP_1)
	v_and_b32_e32 v6, 0x7f000000, v5
	v_clz_i32_u32_e32 v9, v6
	v_cmp_ne_u32_e32 vcc_lo, 0, v6
	v_add_nc_u32_e32 v11, 0x1000000, v6
	s_delay_alu instid0(VALU_DEP_3) | instskip(NEXT) | instid1(VALU_DEP_1)
	v_min_u32_e32 v9, 32, v9
	v_sub_nc_u32_e64 v9, v9, 4 clamp
	s_delay_alu instid0(VALU_DEP_1) | instskip(SKIP_1) | instid1(VALU_DEP_2)
	v_lshlrev_b32_e32 v10, v9, v6
	v_lshlrev_b32_e32 v9, 23, v9
	v_lshrrev_b32_e32 v10, 4, v10
	s_delay_alu instid0(VALU_DEP_1) | instskip(SKIP_1) | instid1(VALU_DEP_2)
	v_sub_nc_u32_e32 v9, v10, v9
	v_ashrrev_i32_e32 v10, 8, v11
	v_add_nc_u32_e32 v9, 0x3c000000, v9
	s_delay_alu instid0(VALU_DEP_1) | instskip(NEXT) | instid1(VALU_DEP_1)
	v_and_or_b32 v9, 0x7f800000, v10, v9
	v_cndmask_b32_e32 v6, 0, v9, vcc_lo
	s_delay_alu instid0(VALU_DEP_1) | instskip(NEXT) | instid1(VALU_DEP_1)
	v_and_or_b32 v5, 0x80000000, v5, v6
	v_trunc_f32_e32 v5, v5
	s_delay_alu instid0(VALU_DEP_1) | instskip(NEXT) | instid1(VALU_DEP_1)
	v_mul_f32_e64 v6, 0x2f800000, |v5|
	v_floor_f32_e32 v6, v6
	s_delay_alu instid0(VALU_DEP_1) | instskip(SKIP_1) | instid1(VALU_DEP_2)
	v_fma_f32 v6, 0xcf800000, v6, |v5|
	v_ashrrev_i32_e32 v5, 31, v5
	v_cvt_u32_f32_e32 v6, v6
	s_delay_alu instid0(VALU_DEP_1) | instskip(NEXT) | instid1(VALU_DEP_1)
	v_xor_b32_e32 v6, v6, v5
	v_sub_nc_u32_e32 v5, v6, v5
.LBB151_981:
	s_mov_b32 s2, 0
.LBB151_982:
	s_delay_alu instid0(SALU_CYCLE_1)
	s_and_not1_b32 vcc_lo, exec_lo, s2
	s_cbranch_vccnz .LBB151_984
; %bb.983:
	global_load_u8 v5, v[3:4], off
	s_waitcnt vmcnt(0)
	v_lshlrev_b32_e32 v6, 25, v5
	v_lshlrev_b16 v5, 8, v5
	s_delay_alu instid0(VALU_DEP_2) | instskip(NEXT) | instid1(VALU_DEP_2)
	v_lshrrev_b32_e32 v9, 4, v6
	v_and_or_b32 v10, 0x7f00, v5, 0.5
	v_cmp_gt_u32_e32 vcc_lo, 0x8000000, v6
	v_bfe_i32 v5, v5, 0, 16
	s_delay_alu instid0(VALU_DEP_4) | instskip(NEXT) | instid1(VALU_DEP_1)
	v_or_b32_e32 v9, 0x70000000, v9
	v_dual_add_f32 v10, -0.5, v10 :: v_dual_mul_f32 v9, 0x7800000, v9
	s_delay_alu instid0(VALU_DEP_1) | instskip(NEXT) | instid1(VALU_DEP_1)
	v_cndmask_b32_e32 v6, v9, v10, vcc_lo
	v_and_or_b32 v5, 0x80000000, v5, v6
	s_delay_alu instid0(VALU_DEP_1) | instskip(NEXT) | instid1(VALU_DEP_1)
	v_trunc_f32_e32 v5, v5
	v_mul_f32_e64 v6, 0x2f800000, |v5|
	s_delay_alu instid0(VALU_DEP_1) | instskip(NEXT) | instid1(VALU_DEP_1)
	v_floor_f32_e32 v6, v6
	v_fma_f32 v6, 0xcf800000, v6, |v5|
	v_ashrrev_i32_e32 v5, 31, v5
	s_delay_alu instid0(VALU_DEP_2) | instskip(NEXT) | instid1(VALU_DEP_1)
	v_cvt_u32_f32_e32 v6, v6
	v_xor_b32_e32 v6, v6, v5
	s_delay_alu instid0(VALU_DEP_1)
	v_sub_nc_u32_e32 v5, v6, v5
.LBB151_984:
	s_mov_b32 s49, 0
	s_mov_b32 s2, -1
.LBB151_985:
	s_and_not1_b32 vcc_lo, exec_lo, s49
	s_cbranch_vccnz .LBB151_998
; %bb.986:
	v_cmp_lt_i16_e32 vcc_lo, 14, v7
	s_cbranch_vccz .LBB151_989
; %bb.987:
	v_cmp_eq_u16_e32 vcc_lo, 15, v7
	s_cbranch_vccz .LBB151_992
; %bb.988:
	global_load_u16 v5, v[3:4], off
	s_mov_b32 s2, -1
	s_mov_b32 s3, 0
	s_waitcnt vmcnt(0)
	v_lshlrev_b32_e32 v5, 16, v5
	s_delay_alu instid0(VALU_DEP_1) | instskip(NEXT) | instid1(VALU_DEP_1)
	v_trunc_f32_e32 v5, v5
	v_mul_f32_e64 v6, 0x2f800000, |v5|
	s_delay_alu instid0(VALU_DEP_1) | instskip(NEXT) | instid1(VALU_DEP_1)
	v_floor_f32_e32 v6, v6
	v_fma_f32 v6, 0xcf800000, v6, |v5|
	v_ashrrev_i32_e32 v5, 31, v5
	s_delay_alu instid0(VALU_DEP_2) | instskip(NEXT) | instid1(VALU_DEP_1)
	v_cvt_u32_f32_e32 v6, v6
	v_xor_b32_e32 v6, v6, v5
	s_delay_alu instid0(VALU_DEP_1)
	v_sub_nc_u32_e32 v5, v6, v5
	s_branch .LBB151_993
.LBB151_989:
	s_mov_b32 s49, -1
                                        ; implicit-def: $vgpr5
	s_branch .LBB151_994
.LBB151_990:
	s_or_saveexec_b32 s2, s2
	v_mov_b32_e32 v5, s50
	s_xor_b32 exec_lo, exec_lo, s2
	s_cbranch_execz .LBB151_971
.LBB151_991:
	v_cmp_ne_u16_e32 vcc_lo, 0, v6
	v_mov_b32_e32 v5, 0
	s_and_not1_b32 s49, s49, exec_lo
	s_and_b32 s50, vcc_lo, exec_lo
	s_delay_alu instid0(SALU_CYCLE_1)
	s_or_b32 s49, s49, s50
	s_or_b32 exec_lo, exec_lo, s2
	s_and_saveexec_b32 s2, s49
	s_cbranch_execnz .LBB151_972
	s_branch .LBB151_973
.LBB151_992:
	s_mov_b32 s3, -1
                                        ; implicit-def: $vgpr5
.LBB151_993:
	s_mov_b32 s49, 0
.LBB151_994:
	s_delay_alu instid0(SALU_CYCLE_1)
	s_and_b32 vcc_lo, exec_lo, s49
	s_cbranch_vccz .LBB151_998
; %bb.995:
	v_cmp_eq_u16_e32 vcc_lo, 11, v7
	s_cbranch_vccz .LBB151_997
; %bb.996:
	global_load_u8 v5, v[3:4], off
	s_mov_b32 s3, 0
	s_mov_b32 s2, -1
	s_waitcnt vmcnt(0)
	v_cmp_ne_u16_e32 vcc_lo, 0, v5
	v_cndmask_b32_e64 v5, 0, 1, vcc_lo
	s_branch .LBB151_998
.LBB151_997:
	s_mov_b32 s3, -1
                                        ; implicit-def: $vgpr5
.LBB151_998:
	s_mov_b32 s49, 0
.LBB151_999:
	s_delay_alu instid0(SALU_CYCLE_1)
	s_and_b32 vcc_lo, exec_lo, s49
	s_cbranch_vccz .LBB151_1048
; %bb.1000:
	v_cmp_gt_i16_e32 vcc_lo, 5, v7
	s_cbranch_vccnz .LBB151_1005
; %bb.1001:
	v_cmp_gt_i16_e32 vcc_lo, 8, v7
	s_cbranch_vccnz .LBB151_1006
	;; [unrolled: 3-line block ×3, first 2 shown]
; %bb.1003:
	v_cmp_lt_i16_e32 vcc_lo, 9, v7
	s_cbranch_vccz .LBB151_1008
; %bb.1004:
	global_load_b64 v[5:6], v[3:4], off
	s_mov_b32 s2, 0
	s_waitcnt vmcnt(0)
	v_trunc_f64_e32 v[5:6], v[5:6]
	s_delay_alu instid0(VALU_DEP_1) | instskip(NEXT) | instid1(VALU_DEP_1)
	v_ldexp_f64 v[9:10], v[5:6], 0xffffffe0
	v_floor_f64_e32 v[9:10], v[9:10]
	s_delay_alu instid0(VALU_DEP_1) | instskip(NEXT) | instid1(VALU_DEP_1)
	v_fma_f64 v[5:6], 0xc1f00000, v[9:10], v[5:6]
	v_cvt_u32_f64_e32 v5, v[5:6]
	s_branch .LBB151_1009
.LBB151_1005:
	s_mov_b32 s2, -1
                                        ; implicit-def: $vgpr5
	s_branch .LBB151_1027
.LBB151_1006:
	s_mov_b32 s2, -1
                                        ; implicit-def: $vgpr5
	s_branch .LBB151_1015
.LBB151_1007:
	s_mov_b32 s2, -1
                                        ; implicit-def: $vgpr5
	s_branch .LBB151_1012
.LBB151_1008:
	s_mov_b32 s2, -1
                                        ; implicit-def: $vgpr5
.LBB151_1009:
	s_delay_alu instid0(SALU_CYCLE_1)
	s_and_not1_b32 vcc_lo, exec_lo, s2
	s_cbranch_vccnz .LBB151_1011
; %bb.1010:
	global_load_b32 v5, v[3:4], off
	s_waitcnt vmcnt(0)
	v_trunc_f32_e32 v5, v5
	s_delay_alu instid0(VALU_DEP_1) | instskip(NEXT) | instid1(VALU_DEP_1)
	v_mul_f32_e64 v6, 0x2f800000, |v5|
	v_floor_f32_e32 v6, v6
	s_delay_alu instid0(VALU_DEP_1) | instskip(SKIP_1) | instid1(VALU_DEP_2)
	v_fma_f32 v6, 0xcf800000, v6, |v5|
	v_ashrrev_i32_e32 v5, 31, v5
	v_cvt_u32_f32_e32 v6, v6
	s_delay_alu instid0(VALU_DEP_1) | instskip(NEXT) | instid1(VALU_DEP_1)
	v_xor_b32_e32 v6, v6, v5
	v_sub_nc_u32_e32 v5, v6, v5
.LBB151_1011:
	s_mov_b32 s2, 0
.LBB151_1012:
	s_delay_alu instid0(SALU_CYCLE_1)
	s_and_not1_b32 vcc_lo, exec_lo, s2
	s_cbranch_vccnz .LBB151_1014
; %bb.1013:
	global_load_b32 v5, v[3:4], off
	s_waitcnt vmcnt(0)
	v_cvt_f32_f16_e32 v5, v5
	s_delay_alu instid0(VALU_DEP_1)
	v_cvt_i32_f32_e32 v5, v5
.LBB151_1014:
	s_mov_b32 s2, 0
.LBB151_1015:
	s_delay_alu instid0(SALU_CYCLE_1)
	s_and_not1_b32 vcc_lo, exec_lo, s2
	s_cbranch_vccnz .LBB151_1026
; %bb.1016:
	v_cmp_gt_i16_e32 vcc_lo, 6, v7
	s_cbranch_vccnz .LBB151_1019
; %bb.1017:
	v_cmp_lt_i16_e32 vcc_lo, 6, v7
	s_cbranch_vccz .LBB151_1020
; %bb.1018:
	global_load_b64 v[5:6], v[3:4], off
	s_mov_b32 s2, 0
	s_waitcnt vmcnt(0)
	v_trunc_f64_e32 v[5:6], v[5:6]
	s_delay_alu instid0(VALU_DEP_1) | instskip(NEXT) | instid1(VALU_DEP_1)
	v_ldexp_f64 v[9:10], v[5:6], 0xffffffe0
	v_floor_f64_e32 v[9:10], v[9:10]
	s_delay_alu instid0(VALU_DEP_1) | instskip(NEXT) | instid1(VALU_DEP_1)
	v_fma_f64 v[5:6], 0xc1f00000, v[9:10], v[5:6]
	v_cvt_u32_f64_e32 v5, v[5:6]
	s_branch .LBB151_1021
.LBB151_1019:
	s_mov_b32 s2, -1
                                        ; implicit-def: $vgpr5
	s_branch .LBB151_1024
.LBB151_1020:
	s_mov_b32 s2, -1
                                        ; implicit-def: $vgpr5
.LBB151_1021:
	s_delay_alu instid0(SALU_CYCLE_1)
	s_and_not1_b32 vcc_lo, exec_lo, s2
	s_cbranch_vccnz .LBB151_1023
; %bb.1022:
	global_load_b32 v5, v[3:4], off
	s_waitcnt vmcnt(0)
	v_trunc_f32_e32 v5, v5
	s_delay_alu instid0(VALU_DEP_1) | instskip(NEXT) | instid1(VALU_DEP_1)
	v_mul_f32_e64 v6, 0x2f800000, |v5|
	v_floor_f32_e32 v6, v6
	s_delay_alu instid0(VALU_DEP_1) | instskip(SKIP_1) | instid1(VALU_DEP_2)
	v_fma_f32 v6, 0xcf800000, v6, |v5|
	v_ashrrev_i32_e32 v5, 31, v5
	v_cvt_u32_f32_e32 v6, v6
	s_delay_alu instid0(VALU_DEP_1) | instskip(NEXT) | instid1(VALU_DEP_1)
	v_xor_b32_e32 v6, v6, v5
	v_sub_nc_u32_e32 v5, v6, v5
.LBB151_1023:
	s_mov_b32 s2, 0
.LBB151_1024:
	s_delay_alu instid0(SALU_CYCLE_1)
	s_and_not1_b32 vcc_lo, exec_lo, s2
	s_cbranch_vccnz .LBB151_1026
; %bb.1025:
	global_load_u16 v5, v[3:4], off
	s_waitcnt vmcnt(0)
	v_cvt_f32_f16_e32 v5, v5
	s_delay_alu instid0(VALU_DEP_1)
	v_cvt_i32_f32_e32 v5, v5
.LBB151_1026:
	s_mov_b32 s2, 0
.LBB151_1027:
	s_delay_alu instid0(SALU_CYCLE_1)
	s_and_not1_b32 vcc_lo, exec_lo, s2
	s_cbranch_vccnz .LBB151_1047
; %bb.1028:
	v_cmp_gt_i16_e32 vcc_lo, 2, v7
	s_cbranch_vccnz .LBB151_1032
; %bb.1029:
	v_cmp_gt_i16_e32 vcc_lo, 3, v7
	s_cbranch_vccnz .LBB151_1033
; %bb.1030:
	v_cmp_lt_i16_e32 vcc_lo, 3, v7
	s_cbranch_vccz .LBB151_1034
; %bb.1031:
	global_load_b64 v[5:6], v[3:4], off
	s_mov_b32 s2, 0
	s_branch .LBB151_1035
.LBB151_1032:
	s_mov_b32 s2, -1
                                        ; implicit-def: $vgpr5
	s_branch .LBB151_1041
.LBB151_1033:
	s_mov_b32 s2, -1
                                        ; implicit-def: $vgpr5
	s_branch .LBB151_1038
.LBB151_1034:
	s_mov_b32 s2, -1
                                        ; implicit-def: $vgpr5
.LBB151_1035:
	s_delay_alu instid0(SALU_CYCLE_1)
	s_and_not1_b32 vcc_lo, exec_lo, s2
	s_cbranch_vccnz .LBB151_1037
; %bb.1036:
	global_load_b32 v5, v[3:4], off
.LBB151_1037:
	s_mov_b32 s2, 0
.LBB151_1038:
	s_delay_alu instid0(SALU_CYCLE_1)
	s_and_not1_b32 vcc_lo, exec_lo, s2
	s_cbranch_vccnz .LBB151_1040
; %bb.1039:
	global_load_u16 v5, v[3:4], off
.LBB151_1040:
	s_mov_b32 s2, 0
.LBB151_1041:
	s_delay_alu instid0(SALU_CYCLE_1)
	s_and_not1_b32 vcc_lo, exec_lo, s2
	s_cbranch_vccnz .LBB151_1047
; %bb.1042:
	v_cmp_lt_i16_e32 vcc_lo, 0, v7
	s_mov_b32 s2, 0
	s_cbranch_vccz .LBB151_1044
; %bb.1043:
	global_load_u8 v5, v[3:4], off
	s_branch .LBB151_1045
.LBB151_1044:
	s_mov_b32 s2, -1
                                        ; implicit-def: $vgpr5
.LBB151_1045:
	s_delay_alu instid0(SALU_CYCLE_1)
	s_and_not1_b32 vcc_lo, exec_lo, s2
	s_cbranch_vccnz .LBB151_1047
; %bb.1046:
	global_load_u8 v5, v[3:4], off
.LBB151_1047:
	s_mov_b32 s2, -1
.LBB151_1048:
	s_delay_alu instid0(SALU_CYCLE_1)
	s_and_not1_b32 vcc_lo, exec_lo, s2
	s_cbranch_vccnz .LBB151_1056
; %bb.1049:
	s_waitcnt vmcnt(0)
	s_delay_alu instid0(VALU_DEP_1) | instskip(SKIP_3) | instid1(VALU_DEP_2)
	v_and_b32_e32 v3, 0xff, v5
	v_and_b32_e64 v6, 0xff, s31
	s_mov_b32 s49, 0
	s_mov_b32 s50, -1
	v_and_b32_e32 v3, 0xffff, v3
	s_delay_alu instid0(VALU_DEP_2) | instskip(NEXT) | instid1(VALU_DEP_2)
	v_cmp_gt_i16_e32 vcc_lo, 11, v6
	v_cvt_f64_u32_e32 v[3:4], v3
	s_and_b32 vcc_lo, exec_lo, vcc_lo
	s_delay_alu instid0(VALU_DEP_1) | instskip(SKIP_1) | instid1(VALU_DEP_1)
	v_mul_f64 v[0:1], v[0:1], v[3:4]
	v_add_co_u32 v4, s2, s4, v2
	v_add_co_ci_u32_e64 v5, null, s5, 0, s2
	s_mov_b32 s2, s44
	s_delay_alu instid0(VALU_DEP_3)
	v_mul_f64 v[0:1], s[10:11], v[0:1]
	s_cbranch_vccnz .LBB151_1057
; %bb.1050:
	v_cmp_lt_i16_e32 vcc_lo, 25, v6
	s_cbranch_vccz .LBB151_1120
; %bb.1051:
	v_cmp_lt_i16_e32 vcc_lo, 28, v6
	s_cbranch_vccz .LBB151_1122
	;; [unrolled: 3-line block ×4, first 2 shown]
; %bb.1054:
	v_cmp_eq_u16_e32 vcc_lo, 46, v6
	s_mov_b32 s50, 0
	s_mov_b32 s2, -1
	s_cbranch_vccz .LBB151_1127
; %bb.1055:
	v_cvt_f32_f64_e32 v2, v[0:1]
	s_mov_b32 s49, -1
	s_mov_b32 s2, 0
	s_delay_alu instid0(VALU_DEP_1) | instskip(SKIP_1) | instid1(VALU_DEP_2)
	v_bfe_u32 v3, v2, 16, 1
	v_cmp_o_f32_e32 vcc_lo, v2, v2
	v_add3_u32 v3, v2, v3, 0x7fff
	s_delay_alu instid0(VALU_DEP_1) | instskip(NEXT) | instid1(VALU_DEP_1)
	v_lshrrev_b32_e32 v3, 16, v3
	v_cndmask_b32_e32 v2, 0x7fc0, v3, vcc_lo
	global_store_b32 v[4:5], v2, off
	s_branch .LBB151_1127
.LBB151_1056:
	s_mov_b32 s51, 0
	s_mov_b32 s2, s44
	s_branch .LBB151_1097
.LBB151_1057:
	s_and_b32 vcc_lo, exec_lo, s50
	s_cbranch_vccz .LBB151_1196
; %bb.1058:
	v_cmp_gt_i16_e32 vcc_lo, 5, v6
	s_mov_b32 s49, -1
	s_cbranch_vccnz .LBB151_1079
; %bb.1059:
	v_cmp_gt_i16_e32 vcc_lo, 8, v6
	s_cbranch_vccnz .LBB151_1069
; %bb.1060:
	v_cmp_gt_i16_e32 vcc_lo, 9, v6
	s_cbranch_vccnz .LBB151_1066
; %bb.1061:
	v_cmp_lt_i16_e32 vcc_lo, 9, v6
	s_cbranch_vccz .LBB151_1063
; %bb.1062:
	v_mov_b32_e32 v2, 0
	s_mov_b32 s49, 0
	s_delay_alu instid0(VALU_DEP_1)
	v_mov_b32_e32 v3, v2
	global_store_b128 v[4:5], v[0:3], off
.LBB151_1063:
	s_and_not1_b32 vcc_lo, exec_lo, s49
	s_cbranch_vccnz .LBB151_1065
; %bb.1064:
	v_cvt_f32_f64_e32 v2, v[0:1]
	v_mov_b32_e32 v3, 0
	global_store_b64 v[4:5], v[2:3], off
.LBB151_1065:
	s_mov_b32 s49, 0
.LBB151_1066:
	s_delay_alu instid0(SALU_CYCLE_1)
	s_and_not1_b32 vcc_lo, exec_lo, s49
	s_cbranch_vccnz .LBB151_1068
; %bb.1067:
	s_delay_alu instid0(VALU_DEP_4) | instskip(NEXT) | instid1(VALU_DEP_1)
	v_cvt_f32_f64_e32 v2, v[0:1]
	v_cvt_f16_f32_e32 v2, v2
	s_delay_alu instid0(VALU_DEP_1)
	v_and_b32_e32 v2, 0xffff, v2
	global_store_b32 v[4:5], v2, off
.LBB151_1068:
	s_mov_b32 s49, 0
.LBB151_1069:
	s_delay_alu instid0(SALU_CYCLE_1)
	s_and_not1_b32 vcc_lo, exec_lo, s49
	s_cbranch_vccnz .LBB151_1078
; %bb.1070:
	v_cmp_gt_i16_e32 vcc_lo, 6, v6
	s_mov_b32 s49, -1
	s_cbranch_vccnz .LBB151_1076
; %bb.1071:
	v_cmp_lt_i16_e32 vcc_lo, 6, v6
	s_cbranch_vccz .LBB151_1073
; %bb.1072:
	s_mov_b32 s49, 0
	global_store_b64 v[4:5], v[0:1], off
.LBB151_1073:
	s_and_not1_b32 vcc_lo, exec_lo, s49
	s_cbranch_vccnz .LBB151_1075
; %bb.1074:
	v_cvt_f32_f64_e32 v2, v[0:1]
	global_store_b32 v[4:5], v2, off
.LBB151_1075:
	s_mov_b32 s49, 0
.LBB151_1076:
	s_delay_alu instid0(SALU_CYCLE_1)
	s_and_not1_b32 vcc_lo, exec_lo, s49
	s_cbranch_vccnz .LBB151_1078
; %bb.1077:
	s_delay_alu instid0(VALU_DEP_4) | instskip(NEXT) | instid1(VALU_DEP_1)
	v_cvt_f32_f64_e32 v2, v[0:1]
	v_cvt_f16_f32_e32 v2, v2
	global_store_b16 v[4:5], v2, off
.LBB151_1078:
	s_mov_b32 s49, 0
.LBB151_1079:
	s_delay_alu instid0(SALU_CYCLE_1)
	s_and_not1_b32 vcc_lo, exec_lo, s49
	s_cbranch_vccnz .LBB151_1095
; %bb.1080:
	v_cmp_gt_i16_e32 vcc_lo, 2, v6
	s_mov_b32 s49, -1
	s_cbranch_vccnz .LBB151_1090
; %bb.1081:
	v_cmp_gt_i16_e32 vcc_lo, 3, v6
	s_cbranch_vccnz .LBB151_1087
; %bb.1082:
	v_cmp_lt_i16_e32 vcc_lo, 3, v6
	s_cbranch_vccz .LBB151_1084
; %bb.1083:
	v_trunc_f64_e32 v[2:3], v[0:1]
	s_mov_b32 s49, 0
	s_delay_alu instid0(VALU_DEP_1) | instskip(NEXT) | instid1(VALU_DEP_1)
	v_ldexp_f64 v[9:10], v[2:3], 0xffffffe0
	v_floor_f64_e32 v[9:10], v[9:10]
	s_delay_alu instid0(VALU_DEP_1) | instskip(SKIP_1) | instid1(VALU_DEP_2)
	v_fma_f64 v[2:3], 0xc1f00000, v[9:10], v[2:3]
	v_cvt_i32_f64_e32 v10, v[9:10]
	v_cvt_u32_f64_e32 v9, v[2:3]
	global_store_b64 v[4:5], v[9:10], off
.LBB151_1084:
	s_and_not1_b32 vcc_lo, exec_lo, s49
	s_cbranch_vccnz .LBB151_1086
; %bb.1085:
	v_cvt_i32_f64_e32 v2, v[0:1]
	global_store_b32 v[4:5], v2, off
.LBB151_1086:
	s_mov_b32 s49, 0
.LBB151_1087:
	s_delay_alu instid0(SALU_CYCLE_1)
	s_and_not1_b32 vcc_lo, exec_lo, s49
	s_cbranch_vccnz .LBB151_1089
; %bb.1088:
	s_delay_alu instid0(VALU_DEP_4)
	v_cvt_i32_f64_e32 v2, v[0:1]
	global_store_b16 v[4:5], v2, off
.LBB151_1089:
	s_mov_b32 s49, 0
.LBB151_1090:
	s_delay_alu instid0(SALU_CYCLE_1)
	s_and_not1_b32 vcc_lo, exec_lo, s49
	s_cbranch_vccnz .LBB151_1095
; %bb.1091:
	v_cmp_lt_i16_e32 vcc_lo, 0, v6
	s_mov_b32 s49, -1
	s_cbranch_vccz .LBB151_1093
; %bb.1092:
	s_delay_alu instid0(VALU_DEP_4)
	v_cvt_i32_f64_e32 v2, v[0:1]
	s_mov_b32 s49, 0
	global_store_b8 v[4:5], v2, off
.LBB151_1093:
	s_and_not1_b32 vcc_lo, exec_lo, s49
	s_cbranch_vccnz .LBB151_1095
; %bb.1094:
	s_delay_alu instid0(VALU_DEP_4) | instskip(NEXT) | instid1(VALU_DEP_1)
	v_trunc_f64_e32 v[0:1], v[0:1]
	v_ldexp_f64 v[2:3], v[0:1], 0xffffffe0
	s_delay_alu instid0(VALU_DEP_1) | instskip(NEXT) | instid1(VALU_DEP_1)
	v_floor_f64_e32 v[2:3], v[2:3]
	v_fma_f64 v[0:1], 0xc1f00000, v[2:3], v[0:1]
	s_delay_alu instid0(VALU_DEP_1)
	v_cvt_u32_f64_e32 v0, v[0:1]
	global_store_b8 v[4:5], v0, off
.LBB151_1095:
	s_branch .LBB151_1197
.LBB151_1096:
	s_mov_b32 s51, 0
.LBB151_1097:
                                        ; implicit-def: $vgpr8
.LBB151_1098:
	s_and_not1_b32 s49, s44, exec_lo
	s_and_b32 s2, s2, exec_lo
	s_and_b32 s3, s3, exec_lo
	s_or_b32 s49, s49, s2
	s_and_not1_b32 s2, s45, exec_lo
	s_and_not1_b32 s52, s43, exec_lo
	s_and_b32 s48, s48, exec_lo
	s_or_b32 s50, s2, s3
	s_or_b32 s48, s52, s48
	s_or_not1_b32 s52, s51, exec_lo
.LBB151_1099:
	s_or_b32 exec_lo, exec_lo, s47
	s_mov_b32 s2, 0
	s_mov_b32 s3, 0
	;; [unrolled: 1-line block ×3, first 2 shown]
                                        ; implicit-def: $vgpr7
                                        ; implicit-def: $vgpr5_vgpr6
                                        ; implicit-def: $vgpr2
                                        ; implicit-def: $vgpr0
                                        ; implicit-def: $vgpr3_vgpr4
	s_and_saveexec_b32 s47, s52
	s_cbranch_execz .LBB151_1267
; %bb.1100:
	v_cmp_gt_i32_e32 vcc_lo, s37, v8
	s_mov_b32 s52, s48
                                        ; implicit-def: $vgpr7
                                        ; implicit-def: $vgpr5_vgpr6
                                        ; implicit-def: $vgpr2
                                        ; implicit-def: $vgpr0
                                        ; implicit-def: $vgpr3_vgpr4
	s_and_saveexec_b32 s37, vcc_lo
	s_cbranch_execz .LBB151_1266
; %bb.1101:
	s_and_not1_b32 vcc_lo, exec_lo, s29
	s_cbranch_vccnz .LBB151_1107
; %bb.1102:
	s_waitcnt vmcnt(0)
	v_dual_mov_b32 v2, 0 :: v_dual_mov_b32 v1, 0
	v_mov_b32_e32 v0, 0
	s_and_not1_b32 vcc_lo, exec_lo, s38
	s_mov_b32 s38, 0
	s_cbranch_vccnz .LBB151_1108
; %bb.1103:
	s_add_i32 s2, s36, 1
	v_dual_mov_b32 v0, 0 :: v_dual_mov_b32 v1, 0
	v_dual_mov_b32 v2, 0 :: v_dual_mov_b32 v3, v8
	s_and_b32 s51, s2, 30
	s_add_u32 s2, s20, 0xffffffec
	s_addc_u32 s3, s21, -1
	s_set_inst_prefetch_distance 0x1
	.p2align	6
.LBB151_1104:                           ; =>This Inner Loop Header: Depth=1
	s_clause 0x2
	s_load_b128 s[52:55], s[2:3], 0x18
	s_load_b64 s[60:61], s[2:3], 0x28
	s_load_b128 s[56:59], s[2:3], 0xd8
	s_waitcnt lgkmcnt(0)
	v_mul_hi_u32 v4, s53, v3
	s_delay_alu instid0(VALU_DEP_1) | instskip(NEXT) | instid1(VALU_DEP_1)
	v_add_nc_u32_e32 v4, v3, v4
	v_lshrrev_b32_e32 v4, s54, v4
	s_delay_alu instid0(VALU_DEP_1)
	v_mul_hi_u32 v5, s60, v4
	v_mul_lo_u32 v6, v4, s52
	s_load_b64 s[52:53], s[2:3], 0xe8
	s_add_u32 s2, s2, 24
	s_addc_u32 s3, s3, 0
	s_add_i32 s51, s51, -2
	s_delay_alu instid0(SALU_CYCLE_1) | instskip(NEXT) | instid1(VALU_DEP_2)
	s_cmp_eq_u32 s51, 0
	v_add_nc_u32_e32 v5, v4, v5
	s_delay_alu instid0(VALU_DEP_2) | instskip(NEXT) | instid1(VALU_DEP_2)
	v_sub_nc_u32_e32 v6, v3, v6
	v_lshrrev_b32_e32 v3, s61, v5
	s_delay_alu instid0(VALU_DEP_2) | instskip(NEXT) | instid1(VALU_DEP_2)
	v_mul_lo_u32 v7, v6, s56
	v_mul_lo_u32 v5, v3, s55
	s_delay_alu instid0(VALU_DEP_1) | instskip(SKIP_2) | instid1(VALU_DEP_3)
	v_sub_nc_u32_e32 v4, v4, v5
	v_mul_lo_u32 v5, v6, s57
	v_mul_lo_u32 v6, v6, s58
	;; [unrolled: 1-line block ×3, first 2 shown]
	s_waitcnt lgkmcnt(0)
	v_mul_lo_u32 v10, v4, s52
	v_mul_lo_u32 v4, v4, s53
	s_delay_alu instid0(VALU_DEP_3) | instskip(NEXT) | instid1(VALU_DEP_3)
	v_add3_u32 v2, v7, v2, v9
	v_add3_u32 v1, v5, v1, v10
	s_delay_alu instid0(VALU_DEP_3)
	v_add3_u32 v0, v6, v0, v4
	s_cbranch_scc0 .LBB151_1104
; %bb.1105:
	s_set_inst_prefetch_distance 0x2
	s_bitcmp1_b32 s36, 0
	s_cselect_b32 s36, -1, 0
	s_delay_alu instid0(SALU_CYCLE_1)
	s_and_b32 vcc_lo, exec_lo, s36
	s_cbranch_vccnz .LBB151_1108
; %bb.1106:
	s_clause 0x3
	s_load_b64 s[52:53], s[2:3], 0x18
	s_load_b32 s36, s[2:3], 0x20
	s_load_b64 s[54:55], s[2:3], 0xd8
	s_load_b32 s2, s[2:3], 0xe0
	s_waitcnt lgkmcnt(0)
	v_mul_hi_u32 v4, s53, v3
	s_delay_alu instid0(VALU_DEP_1) | instskip(NEXT) | instid1(VALU_DEP_1)
	v_add_nc_u32_e32 v4, v3, v4
	v_lshrrev_b32_e32 v4, s36, v4
	s_delay_alu instid0(VALU_DEP_1) | instskip(NEXT) | instid1(VALU_DEP_1)
	v_mul_lo_u32 v4, v4, s52
	v_sub_nc_u32_e32 v7, v3, v4
	s_delay_alu instid0(VALU_DEP_1) | instskip(SKIP_2) | instid1(VALU_DEP_2)
	v_mad_u64_u32 v[3:4], null, v7, s54, v[2:3]
	v_mad_u64_u32 v[4:5], null, v7, s55, v[1:2]
	;; [unrolled: 1-line block ×3, first 2 shown]
	v_dual_mov_b32 v2, v3 :: v_dual_mov_b32 v1, v4
	s_delay_alu instid0(VALU_DEP_2)
	v_mov_b32_e32 v0, v5
	s_branch .LBB151_1108
.LBB151_1107:
	s_mov_b32 s38, -1
                                        ; implicit-def: $vgpr2
                                        ; implicit-def: $vgpr1
                                        ; implicit-def: $vgpr0
.LBB151_1108:
	s_delay_alu instid0(SALU_CYCLE_1)
	s_and_not1_b32 vcc_lo, exec_lo, s38
	s_cbranch_vccnz .LBB151_1111
; %bb.1109:
	s_waitcnt vmcnt(0)
	v_mul_hi_u32 v0, s17, v8
	s_and_not1_b32 vcc_lo, exec_lo, s35
	s_delay_alu instid0(VALU_DEP_1) | instskip(NEXT) | instid1(VALU_DEP_1)
	v_add_nc_u32_e32 v0, v8, v0
	v_lshrrev_b32_e32 v3, s18, v0
	s_delay_alu instid0(VALU_DEP_1) | instskip(NEXT) | instid1(VALU_DEP_1)
	v_mul_lo_u32 v0, v3, s16
	v_sub_nc_u32_e32 v0, v8, v0
	s_delay_alu instid0(VALU_DEP_1)
	v_mul_lo_u32 v2, v0, s12
	v_mul_lo_u32 v1, v0, s13
	;; [unrolled: 1-line block ×3, first 2 shown]
	s_cbranch_vccnz .LBB151_1111
; %bb.1110:
	v_mul_hi_u32 v4, s24, v3
	s_delay_alu instid0(VALU_DEP_1) | instskip(NEXT) | instid1(VALU_DEP_1)
	v_add_nc_u32_e32 v4, v3, v4
	v_lshrrev_b32_e32 v4, s25, v4
	s_delay_alu instid0(VALU_DEP_1) | instskip(NEXT) | instid1(VALU_DEP_1)
	v_mul_lo_u32 v4, v4, s19
	v_sub_nc_u32_e32 v7, v3, v4
	s_delay_alu instid0(VALU_DEP_1) | instskip(SKIP_2) | instid1(VALU_DEP_2)
	v_mad_u64_u32 v[3:4], null, v7, s15, v[2:3]
	v_mad_u64_u32 v[4:5], null, v7, s22, v[1:2]
	;; [unrolled: 1-line block ×3, first 2 shown]
	v_dual_mov_b32 v2, v3 :: v_dual_mov_b32 v1, v4
	s_delay_alu instid0(VALU_DEP_2)
	v_mov_b32_e32 v0, v5
.LBB151_1111:
	v_and_b32_e64 v7, 0xff, s34
	s_waitcnt vmcnt(0)
	s_delay_alu instid0(VALU_DEP_3) | instskip(NEXT) | instid1(VALU_DEP_1)
	v_add_co_u32 v5, s2, s6, v1
	v_add_co_ci_u32_e64 v6, null, s7, 0, s2
	s_delay_alu instid0(VALU_DEP_3)
	v_cmp_gt_i16_e32 vcc_lo, 11, v7
	s_mov_b32 s2, 0
	s_cbranch_vccnz .LBB151_1118
; %bb.1112:
	v_cmp_lt_i16_e32 vcc_lo, 25, v7
	s_mov_b32 s7, 0
	s_cbranch_vccz .LBB151_1119
; %bb.1113:
	v_cmp_lt_i16_e32 vcc_lo, 28, v7
	s_cbranch_vccz .LBB151_1121
; %bb.1114:
	v_cmp_lt_i16_e32 vcc_lo, 43, v7
	;; [unrolled: 3-line block ×3, first 2 shown]
	s_cbranch_vccz .LBB151_1125
; %bb.1116:
	v_cmp_eq_u16_e32 vcc_lo, 46, v7
	s_mov_b32 s3, 0
	s_cbranch_vccz .LBB151_1198
; %bb.1117:
	global_load_b32 v1, v[5:6], off
	s_mov_b32 s6, 0
	s_mov_b32 s2, -1
	s_waitcnt vmcnt(0)
	v_lshlrev_b32_e32 v1, 16, v1
	s_delay_alu instid0(VALU_DEP_1)
	v_cvt_f64_f32_e32 v[3:4], v1
	s_branch .LBB151_1200
.LBB151_1118:
	s_mov_b32 s3, -1
	s_mov_b32 s7, 0
	s_mov_b32 s6, s48
                                        ; implicit-def: $vgpr3_vgpr4
	s_branch .LBB151_1265
.LBB151_1119:
	s_mov_b32 s3, -1
	s_mov_b32 s6, s48
                                        ; implicit-def: $vgpr3_vgpr4
	s_branch .LBB151_1233
.LBB151_1120:
	s_mov_b32 s2, s44
	s_branch .LBB151_1154
.LBB151_1121:
	s_mov_b32 s3, -1
	s_mov_b32 s6, s48
                                        ; implicit-def: $vgpr3_vgpr4
	s_branch .LBB151_1212
.LBB151_1122:
	s_mov_b32 s2, s44
	s_branch .LBB151_1137
.LBB151_1123:
	s_mov_b32 s3, -1
	s_mov_b32 s6, s48
                                        ; implicit-def: $vgpr3_vgpr4
	s_branch .LBB151_1207
.LBB151_1124:
	s_mov_b32 s2, s44
	s_branch .LBB151_1133
.LBB151_1125:
	s_mov_b32 s3, -1
	s_mov_b32 s6, s48
	s_branch .LBB151_1199
.LBB151_1126:
	s_mov_b32 s2, s44
.LBB151_1127:
	s_and_b32 vcc_lo, exec_lo, s50
	s_cbranch_vccz .LBB151_1132
; %bb.1128:
	v_cmp_eq_u16_e32 vcc_lo, 44, v6
	s_mov_b32 s2, -1
	s_cbranch_vccz .LBB151_1132
; %bb.1129:
	v_cvt_f32_f64_e32 v2, v[0:1]
	v_mov_b32_e32 v3, 0xff
	s_mov_b32 s49, exec_lo
	s_delay_alu instid0(VALU_DEP_2) | instskip(NEXT) | instid1(VALU_DEP_1)
	v_bfe_u32 v7, v2, 23, 8
	v_cmpx_ne_u32_e32 0xff, v7
; %bb.1130:
	v_and_b32_e32 v3, 0x400000, v2
	v_and_or_b32 v7, 0x3fffff, v2, v7
	v_lshrrev_b32_e32 v2, 23, v2
	s_delay_alu instid0(VALU_DEP_3) | instskip(NEXT) | instid1(VALU_DEP_3)
	v_cmp_ne_u32_e32 vcc_lo, 0, v3
	v_cmp_ne_u32_e64 s2, 0, v7
	s_delay_alu instid0(VALU_DEP_1) | instskip(NEXT) | instid1(SALU_CYCLE_1)
	s_and_b32 s2, vcc_lo, s2
	v_cndmask_b32_e64 v3, 0, 1, s2
	s_delay_alu instid0(VALU_DEP_1)
	v_add_nc_u32_e32 v3, v2, v3
; %bb.1131:
	s_or_b32 exec_lo, exec_lo, s49
	s_mov_b32 s49, -1
	s_mov_b32 s2, 0
	global_store_b8 v[4:5], v3, off
.LBB151_1132:
	s_mov_b32 s50, 0
.LBB151_1133:
	s_delay_alu instid0(SALU_CYCLE_1)
	s_and_b32 vcc_lo, exec_lo, s50
	s_cbranch_vccz .LBB151_1136
; %bb.1134:
	v_cmp_eq_u16_e32 vcc_lo, 29, v6
	s_mov_b32 s2, -1
	s_cbranch_vccz .LBB151_1136
; %bb.1135:
	v_trunc_f64_e32 v[2:3], v[0:1]
	s_mov_b32 s49, -1
	s_mov_b32 s2, 0
	s_mov_b32 s50, 0
	s_delay_alu instid0(VALU_DEP_1) | instskip(NEXT) | instid1(VALU_DEP_1)
	v_ldexp_f64 v[9:10], v[2:3], 0xffffffe0
	v_floor_f64_e32 v[9:10], v[9:10]
	s_delay_alu instid0(VALU_DEP_1) | instskip(SKIP_1) | instid1(VALU_DEP_2)
	v_fma_f64 v[2:3], 0xc1f00000, v[9:10], v[2:3]
	v_cvt_u32_f64_e32 v10, v[9:10]
	v_cvt_u32_f64_e32 v9, v[2:3]
	global_store_b64 v[4:5], v[9:10], off
	s_branch .LBB151_1137
.LBB151_1136:
	s_mov_b32 s50, 0
.LBB151_1137:
	s_delay_alu instid0(SALU_CYCLE_1)
	s_and_b32 vcc_lo, exec_lo, s50
	s_cbranch_vccz .LBB151_1153
; %bb.1138:
	v_cmp_gt_i16_e32 vcc_lo, 27, v6
	s_mov_b32 s49, -1
	s_cbranch_vccnz .LBB151_1144
; %bb.1139:
	s_delay_alu instid0(VALU_DEP_4)
	v_cvt_u32_f64_e32 v2, v[0:1]
	v_cmp_lt_i16_e32 vcc_lo, 27, v6
	s_cbranch_vccz .LBB151_1141
; %bb.1140:
	s_mov_b32 s49, 0
	global_store_b32 v[4:5], v2, off
.LBB151_1141:
	s_and_not1_b32 vcc_lo, exec_lo, s49
	s_cbranch_vccnz .LBB151_1143
; %bb.1142:
	global_store_b16 v[4:5], v2, off
.LBB151_1143:
	s_mov_b32 s49, 0
.LBB151_1144:
	s_delay_alu instid0(SALU_CYCLE_1)
	s_and_not1_b32 vcc_lo, exec_lo, s49
	s_cbranch_vccnz .LBB151_1152
; %bb.1145:
	s_delay_alu instid0(VALU_DEP_4) | instskip(SKIP_2) | instid1(VALU_DEP_2)
	v_cvt_f32_f64_e32 v2, v[0:1]
	v_mov_b32_e32 v7, 0x80
	s_mov_b32 s49, exec_lo
	v_and_b32_e32 v3, 0x7fffffff, v2
	s_delay_alu instid0(VALU_DEP_1)
	v_cmpx_gt_u32_e32 0x43800000, v3
	s_cbranch_execz .LBB151_1151
; %bb.1146:
	v_cmp_lt_u32_e32 vcc_lo, 0x3bffffff, v3
	s_mov_b32 s50, 0
                                        ; implicit-def: $vgpr3
	s_and_saveexec_b32 s51, vcc_lo
	s_delay_alu instid0(SALU_CYCLE_1)
	s_xor_b32 s51, exec_lo, s51
	s_cbranch_execz .LBB151_1203
; %bb.1147:
	v_bfe_u32 v3, v2, 20, 1
	s_mov_b32 s50, exec_lo
	s_delay_alu instid0(VALU_DEP_1) | instskip(NEXT) | instid1(VALU_DEP_1)
	v_add3_u32 v3, v2, v3, 0x487ffff
	v_lshrrev_b32_e32 v3, 20, v3
	s_or_saveexec_b32 s51, s51
                                        ; implicit-def: $sgpr52
	s_delay_alu instid0(SALU_CYCLE_1)
	s_xor_b32 exec_lo, exec_lo, s51
	s_cbranch_execnz .LBB151_1204
.LBB151_1148:
	s_or_b32 exec_lo, exec_lo, s51
	v_mov_b32_e32 v7, s52
	s_and_saveexec_b32 s51, s50
.LBB151_1149:
	v_lshrrev_b32_e32 v2, 24, v2
	s_delay_alu instid0(VALU_DEP_1)
	v_and_or_b32 v7, 0x80, v2, v3
.LBB151_1150:
	s_or_b32 exec_lo, exec_lo, s51
.LBB151_1151:
	s_delay_alu instid0(SALU_CYCLE_1)
	s_or_b32 exec_lo, exec_lo, s49
	global_store_b8 v[4:5], v7, off
.LBB151_1152:
	s_mov_b32 s49, -1
.LBB151_1153:
	s_mov_b32 s50, 0
.LBB151_1154:
	s_delay_alu instid0(SALU_CYCLE_1)
	s_and_b32 vcc_lo, exec_lo, s50
	s_cbranch_vccz .LBB151_1195
; %bb.1155:
	v_cmp_lt_i16_e32 vcc_lo, 22, v6
	s_mov_b32 s50, -1
	s_cbranch_vccz .LBB151_1187
; %bb.1156:
	v_cmp_gt_i16_e32 vcc_lo, 24, v6
	s_mov_b32 s49, -1
	s_cbranch_vccnz .LBB151_1176
; %bb.1157:
	v_cmp_lt_i16_e32 vcc_lo, 24, v6
	s_cbranch_vccz .LBB151_1165
; %bb.1158:
	v_cvt_f32_f64_e32 v2, v[0:1]
	v_mov_b32_e32 v7, 0x80
	s_mov_b32 s49, exec_lo
	s_delay_alu instid0(VALU_DEP_2) | instskip(NEXT) | instid1(VALU_DEP_1)
	v_and_b32_e32 v3, 0x7fffffff, v2
	v_cmpx_gt_u32_e32 0x47800000, v3
	s_cbranch_execz .LBB151_1164
; %bb.1159:
	v_cmp_lt_u32_e32 vcc_lo, 0x37ffffff, v3
	s_mov_b32 s50, 0
                                        ; implicit-def: $vgpr3
	s_and_saveexec_b32 s51, vcc_lo
	s_delay_alu instid0(SALU_CYCLE_1)
	s_xor_b32 s51, exec_lo, s51
	s_cbranch_execz .LBB151_2280
; %bb.1160:
	v_bfe_u32 v3, v2, 21, 1
	s_mov_b32 s50, exec_lo
	s_delay_alu instid0(VALU_DEP_1) | instskip(NEXT) | instid1(VALU_DEP_1)
	v_add3_u32 v3, v2, v3, 0x88fffff
	v_lshrrev_b32_e32 v3, 21, v3
	s_or_saveexec_b32 s51, s51
                                        ; implicit-def: $sgpr52
	s_delay_alu instid0(SALU_CYCLE_1)
	s_xor_b32 exec_lo, exec_lo, s51
	s_cbranch_execnz .LBB151_2281
.LBB151_1161:
	s_or_b32 exec_lo, exec_lo, s51
	v_mov_b32_e32 v7, s52
	s_and_saveexec_b32 s51, s50
.LBB151_1162:
	v_lshrrev_b32_e32 v2, 24, v2
	s_delay_alu instid0(VALU_DEP_1)
	v_and_or_b32 v7, 0x80, v2, v3
.LBB151_1163:
	s_or_b32 exec_lo, exec_lo, s51
.LBB151_1164:
	s_delay_alu instid0(SALU_CYCLE_1)
	s_or_b32 exec_lo, exec_lo, s49
	s_mov_b32 s49, 0
	global_store_b8 v[4:5], v7, off
.LBB151_1165:
	s_and_b32 vcc_lo, exec_lo, s49
	s_cbranch_vccz .LBB151_1175
; %bb.1166:
	v_cvt_f32_f64_e32 v2, v[0:1]
	s_mov_b32 s49, exec_lo
                                        ; implicit-def: $vgpr3
	s_delay_alu instid0(VALU_DEP_1) | instskip(NEXT) | instid1(VALU_DEP_1)
	v_and_b32_e32 v7, 0x7fffffff, v2
	v_cmpx_gt_u32_e32 0x43f00000, v7
	s_xor_b32 s49, exec_lo, s49
	s_cbranch_execz .LBB151_1172
; %bb.1167:
	s_mov_b32 s50, exec_lo
                                        ; implicit-def: $vgpr3
	v_cmpx_lt_u32_e32 0x3c7fffff, v7
	s_xor_b32 s50, exec_lo, s50
; %bb.1168:
	v_bfe_u32 v3, v2, 20, 1
	s_delay_alu instid0(VALU_DEP_1) | instskip(NEXT) | instid1(VALU_DEP_1)
	v_add3_u32 v3, v2, v3, 0x407ffff
	v_and_b32_e32 v7, 0xff00000, v3
	v_lshrrev_b32_e32 v3, 20, v3
	s_delay_alu instid0(VALU_DEP_2) | instskip(NEXT) | instid1(VALU_DEP_2)
	v_cmp_ne_u32_e32 vcc_lo, 0x7f00000, v7
	v_cndmask_b32_e32 v3, 0x7e, v3, vcc_lo
; %bb.1169:
	s_and_not1_saveexec_b32 s50, s50
; %bb.1170:
	v_add_f32_e64 v3, 0x46800000, |v2|
; %bb.1171:
	s_or_b32 exec_lo, exec_lo, s50
                                        ; implicit-def: $vgpr7
.LBB151_1172:
	s_and_not1_saveexec_b32 s49, s49
; %bb.1173:
	v_mov_b32_e32 v3, 0x7f
	v_cmp_lt_u32_e32 vcc_lo, 0x7f800000, v7
	s_delay_alu instid0(VALU_DEP_2)
	v_cndmask_b32_e32 v3, 0x7e, v3, vcc_lo
; %bb.1174:
	s_or_b32 exec_lo, exec_lo, s49
	v_lshrrev_b32_e32 v2, 24, v2
	s_delay_alu instid0(VALU_DEP_1)
	v_and_or_b32 v2, 0x80, v2, v3
	global_store_b8 v[4:5], v2, off
.LBB151_1175:
	s_mov_b32 s49, 0
.LBB151_1176:
	s_delay_alu instid0(SALU_CYCLE_1)
	s_and_not1_b32 vcc_lo, exec_lo, s49
	s_cbranch_vccnz .LBB151_1186
; %bb.1177:
	s_delay_alu instid0(VALU_DEP_4) | instskip(SKIP_1) | instid1(VALU_DEP_1)
	v_cvt_f32_f64_e32 v2, v[0:1]
	s_mov_b32 s49, exec_lo
                                        ; implicit-def: $vgpr3
	v_and_b32_e32 v7, 0x7fffffff, v2
	s_delay_alu instid0(VALU_DEP_1)
	v_cmpx_gt_u32_e32 0x47800000, v7
	s_xor_b32 s49, exec_lo, s49
	s_cbranch_execz .LBB151_1183
; %bb.1178:
	s_mov_b32 s50, exec_lo
                                        ; implicit-def: $vgpr3
	v_cmpx_lt_u32_e32 0x387fffff, v7
	s_xor_b32 s50, exec_lo, s50
; %bb.1179:
	v_bfe_u32 v3, v2, 21, 1
	s_delay_alu instid0(VALU_DEP_1) | instskip(NEXT) | instid1(VALU_DEP_1)
	v_add3_u32 v3, v2, v3, 0x80fffff
	v_lshrrev_b32_e32 v3, 21, v3
; %bb.1180:
	s_and_not1_saveexec_b32 s50, s50
; %bb.1181:
	v_add_f32_e64 v3, 0x43000000, |v2|
; %bb.1182:
	s_or_b32 exec_lo, exec_lo, s50
                                        ; implicit-def: $vgpr7
.LBB151_1183:
	s_and_not1_saveexec_b32 s49, s49
; %bb.1184:
	v_mov_b32_e32 v3, 0x7f
	v_cmp_lt_u32_e32 vcc_lo, 0x7f800000, v7
	s_delay_alu instid0(VALU_DEP_2)
	v_cndmask_b32_e32 v3, 0x7c, v3, vcc_lo
; %bb.1185:
	s_or_b32 exec_lo, exec_lo, s49
	v_lshrrev_b32_e32 v2, 24, v2
	s_delay_alu instid0(VALU_DEP_1)
	v_and_or_b32 v2, 0x80, v2, v3
	global_store_b8 v[4:5], v2, off
.LBB151_1186:
	s_mov_b32 s50, 0
	s_mov_b32 s49, -1
.LBB151_1187:
	s_and_not1_b32 vcc_lo, exec_lo, s50
	s_cbranch_vccnz .LBB151_1195
; %bb.1188:
	v_cmp_lt_i16_e32 vcc_lo, 14, v6
	s_mov_b32 s50, -1
	s_cbranch_vccz .LBB151_1192
; %bb.1189:
	v_cmp_eq_u16_e32 vcc_lo, 15, v6
	s_mov_b32 s2, -1
	s_cbranch_vccz .LBB151_1191
; %bb.1190:
	v_cvt_f32_f64_e32 v2, v[0:1]
	s_mov_b32 s49, -1
	s_mov_b32 s2, 0
	s_delay_alu instid0(VALU_DEP_1) | instskip(SKIP_1) | instid1(VALU_DEP_2)
	v_bfe_u32 v3, v2, 16, 1
	v_cmp_o_f32_e32 vcc_lo, v2, v2
	v_add3_u32 v3, v2, v3, 0x7fff
	s_delay_alu instid0(VALU_DEP_1) | instskip(NEXT) | instid1(VALU_DEP_1)
	v_lshrrev_b32_e32 v3, 16, v3
	v_cndmask_b32_e32 v2, 0x7fc0, v3, vcc_lo
	global_store_b16 v[4:5], v2, off
.LBB151_1191:
	s_mov_b32 s50, 0
.LBB151_1192:
	s_delay_alu instid0(SALU_CYCLE_1)
	s_and_b32 vcc_lo, exec_lo, s50
	s_cbranch_vccz .LBB151_1195
; %bb.1193:
	v_cmp_eq_u16_e32 vcc_lo, 11, v6
	s_mov_b32 s2, -1
	s_cbranch_vccz .LBB151_1195
; %bb.1194:
	v_cmp_neq_f64_e32 vcc_lo, 0, v[0:1]
	s_mov_b32 s49, -1
	s_mov_b32 s2, 0
	v_cndmask_b32_e64 v2, 0, 1, vcc_lo
	global_store_b8 v[4:5], v2, off
.LBB151_1195:
.LBB151_1196:
	s_and_not1_b32 vcc_lo, exec_lo, s49
	s_cbranch_vccnz .LBB151_1096
.LBB151_1197:
	v_add_nc_u32_e32 v8, 0x80, v8
	s_mov_b32 s51, -1
	s_branch .LBB151_1098
.LBB151_1198:
	s_mov_b32 s6, -1
.LBB151_1199:
                                        ; implicit-def: $vgpr3_vgpr4
.LBB151_1200:
	s_and_b32 vcc_lo, exec_lo, s3
	s_cbranch_vccz .LBB151_1206
; %bb.1201:
	v_cmp_eq_u16_e32 vcc_lo, 44, v7
	s_cbranch_vccz .LBB151_1205
; %bb.1202:
	global_load_u8 v1, v[5:6], off
	s_mov_b32 s6, 0
	s_mov_b32 s2, -1
	s_waitcnt vmcnt(0)
	v_cmp_ne_u32_e32 vcc_lo, 0xff, v1
	v_lshlrev_b32_e32 v3, 23, v1
	s_delay_alu instid0(VALU_DEP_1) | instskip(NEXT) | instid1(VALU_DEP_1)
	v_cvt_f64_f32_e32 v[3:4], v3
	v_cndmask_b32_e32 v4, 0x7ff80000, v4, vcc_lo
	s_delay_alu instid0(VALU_DEP_2) | instskip(SKIP_1) | instid1(VALU_DEP_3)
	v_cndmask_b32_e32 v3, 0x20000000, v3, vcc_lo
	v_cmp_ne_u32_e32 vcc_lo, 0, v1
	v_cndmask_b32_e32 v4, 0x38000000, v4, vcc_lo
	s_delay_alu instid0(VALU_DEP_3)
	v_cndmask_b32_e32 v3, 0, v3, vcc_lo
	s_branch .LBB151_1206
.LBB151_1203:
	s_or_saveexec_b32 s51, s51
                                        ; implicit-def: $sgpr52
	s_delay_alu instid0(SALU_CYCLE_1)
	s_xor_b32 exec_lo, exec_lo, s51
	s_cbranch_execz .LBB151_1148
.LBB151_1204:
	v_add_f32_e64 v3, 0x46000000, |v2|
	s_and_not1_b32 s50, s50, exec_lo
	s_mov_b32 s52, 0
	s_delay_alu instid0(VALU_DEP_1) | instskip(NEXT) | instid1(VALU_DEP_1)
	v_and_b32_e32 v3, 0xff, v3
	v_cmp_ne_u32_e32 vcc_lo, 0, v3
	s_and_b32 s53, vcc_lo, exec_lo
	s_delay_alu instid0(SALU_CYCLE_1)
	s_or_b32 s50, s50, s53
	s_or_b32 exec_lo, exec_lo, s51
	v_mov_b32_e32 v7, s52
	s_and_saveexec_b32 s51, s50
	s_cbranch_execnz .LBB151_1149
	s_branch .LBB151_1150
.LBB151_1205:
	s_mov_b32 s6, -1
                                        ; implicit-def: $vgpr3_vgpr4
.LBB151_1206:
	s_mov_b32 s3, 0
.LBB151_1207:
	s_delay_alu instid0(SALU_CYCLE_1)
	s_and_b32 vcc_lo, exec_lo, s3
	s_cbranch_vccz .LBB151_1211
; %bb.1208:
	v_cmp_eq_u16_e32 vcc_lo, 29, v7
	s_cbranch_vccz .LBB151_1210
; %bb.1209:
	global_load_b64 v[3:4], v[5:6], off
	s_mov_b32 s6, 0
	s_mov_b32 s2, -1
	s_mov_b32 s3, 0
	s_waitcnt vmcnt(0)
	v_cvt_f64_u32_e32 v[8:9], v4
	v_cvt_f64_u32_e32 v[3:4], v3
	s_delay_alu instid0(VALU_DEP_2) | instskip(NEXT) | instid1(VALU_DEP_1)
	v_ldexp_f64 v[8:9], v[8:9], 32
	v_add_f64 v[3:4], v[8:9], v[3:4]
	s_branch .LBB151_1212
.LBB151_1210:
	s_mov_b32 s6, -1
                                        ; implicit-def: $vgpr3_vgpr4
.LBB151_1211:
	s_mov_b32 s3, 0
.LBB151_1212:
	s_delay_alu instid0(SALU_CYCLE_1)
	s_and_b32 vcc_lo, exec_lo, s3
	s_cbranch_vccz .LBB151_1232
; %bb.1213:
	v_cmp_gt_i16_e32 vcc_lo, 27, v7
	s_cbranch_vccnz .LBB151_1216
; %bb.1214:
	v_cmp_lt_i16_e32 vcc_lo, 27, v7
	s_cbranch_vccz .LBB151_1217
; %bb.1215:
	global_load_b32 v1, v[5:6], off
	s_mov_b32 s2, 0
	s_waitcnt vmcnt(0)
	v_cvt_f64_u32_e32 v[3:4], v1
	s_branch .LBB151_1218
.LBB151_1216:
	s_mov_b32 s2, -1
                                        ; implicit-def: $vgpr3_vgpr4
	s_branch .LBB151_1221
.LBB151_1217:
	s_mov_b32 s2, -1
                                        ; implicit-def: $vgpr3_vgpr4
.LBB151_1218:
	s_delay_alu instid0(SALU_CYCLE_1)
	s_and_not1_b32 vcc_lo, exec_lo, s2
	s_cbranch_vccnz .LBB151_1220
; %bb.1219:
	global_load_u16 v1, v[5:6], off
	s_waitcnt vmcnt(0)
	v_cvt_f64_u32_e32 v[3:4], v1
.LBB151_1220:
	s_mov_b32 s2, 0
.LBB151_1221:
	s_delay_alu instid0(SALU_CYCLE_1)
	s_and_not1_b32 vcc_lo, exec_lo, s2
	s_cbranch_vccnz .LBB151_1231
; %bb.1222:
	global_load_u8 v1, v[5:6], off
	s_mov_b32 s12, 0
	s_mov_b32 s13, exec_lo
                                        ; implicit-def: $sgpr2_sgpr3
	s_waitcnt vmcnt(0)
	v_cmpx_lt_i16_e32 0x7f, v1
	s_xor_b32 s13, exec_lo, s13
	s_cbranch_execz .LBB151_1226
; %bb.1223:
	s_mov_b32 s14, -1
	s_mov_b32 s12, exec_lo
                                        ; implicit-def: $sgpr2_sgpr3
	v_cmpx_eq_u16_e32 0x80, v1
; %bb.1224:
	s_mov_b32 s3, 0x7ff80000
	s_brev_b32 s2, 4
	s_xor_b32 s14, exec_lo, -1
; %bb.1225:
	s_or_b32 exec_lo, exec_lo, s12
	s_delay_alu instid0(SALU_CYCLE_1)
	s_and_b32 s12, s14, exec_lo
.LBB151_1226:
	s_or_saveexec_b32 s13, s13
	v_dual_mov_b32 v4, s3 :: v_dual_mov_b32 v3, s2
	s_xor_b32 exec_lo, exec_lo, s13
; %bb.1227:
	v_cmp_ne_u16_e32 vcc_lo, 0, v1
	v_mov_b32_e32 v3, 0
	v_mov_b32_e32 v4, 0
	s_and_not1_b32 s2, s12, exec_lo
	s_and_b32 s3, vcc_lo, exec_lo
	s_delay_alu instid0(SALU_CYCLE_1)
	s_or_b32 s12, s2, s3
; %bb.1228:
	s_or_b32 exec_lo, exec_lo, s13
	s_and_saveexec_b32 s2, s12
	s_cbranch_execz .LBB151_1230
; %bb.1229:
	v_and_b32_e32 v3, 0xffff, v1
	v_lshlrev_b32_e32 v1, 24, v1
	s_delay_alu instid0(VALU_DEP_2) | instskip(NEXT) | instid1(VALU_DEP_2)
	v_and_b32_e32 v4, 7, v3
	v_and_b32_e32 v1, 0x80000000, v1
	s_delay_alu instid0(VALU_DEP_2) | instskip(NEXT) | instid1(VALU_DEP_1)
	v_clz_i32_u32_e32 v8, v4
	v_min_u32_e32 v8, 32, v8
	s_delay_alu instid0(VALU_DEP_1) | instskip(SKIP_1) | instid1(VALU_DEP_2)
	v_subrev_nc_u32_e32 v9, 28, v8
	v_sub_nc_u32_e32 v8, 29, v8
	v_lshlrev_b32_e32 v9, v9, v3
	v_bfe_u32 v3, v3, 3, 4
	s_delay_alu instid0(VALU_DEP_2) | instskip(NEXT) | instid1(VALU_DEP_2)
	v_and_b32_e32 v9, 7, v9
	v_cmp_eq_u32_e32 vcc_lo, 0, v3
	s_delay_alu instid0(VALU_DEP_2) | instskip(NEXT) | instid1(VALU_DEP_1)
	v_dual_cndmask_b32 v3, v3, v8 :: v_dual_cndmask_b32 v4, v4, v9
	v_lshl_add_u32 v3, v3, 23, 0x3b800000
	s_delay_alu instid0(VALU_DEP_2) | instskip(NEXT) | instid1(VALU_DEP_1)
	v_lshlrev_b32_e32 v4, 20, v4
	v_or3_b32 v1, v1, v3, v4
	s_delay_alu instid0(VALU_DEP_1)
	v_cvt_f64_f32_e32 v[3:4], v1
.LBB151_1230:
	s_or_b32 exec_lo, exec_lo, s2
.LBB151_1231:
	s_mov_b32 s2, -1
.LBB151_1232:
	s_mov_b32 s3, 0
.LBB151_1233:
	s_delay_alu instid0(SALU_CYCLE_1)
	s_and_b32 vcc_lo, exec_lo, s3
	s_cbranch_vccz .LBB151_1264
; %bb.1234:
	v_cmp_lt_i16_e32 vcc_lo, 22, v7
	s_cbranch_vccz .LBB151_1246
; %bb.1235:
	v_cmp_gt_i16_e32 vcc_lo, 24, v7
	s_cbranch_vccnz .LBB151_1247
; %bb.1236:
	v_cmp_lt_i16_e32 vcc_lo, 24, v7
	s_cbranch_vccz .LBB151_1248
; %bb.1237:
	global_load_u8 v1, v[5:6], off
	s_mov_b32 s12, exec_lo
                                        ; implicit-def: $sgpr2_sgpr3
	s_waitcnt vmcnt(0)
	v_cmpx_lt_i16_e32 0x7f, v1
	s_xor_b32 s12, exec_lo, s12
	s_cbranch_execz .LBB151_1241
; %bb.1238:
	s_mov_b32 s13, -1
	s_mov_b32 s7, exec_lo
                                        ; implicit-def: $sgpr2_sgpr3
	v_cmpx_eq_u16_e32 0x80, v1
; %bb.1239:
	s_mov_b32 s3, 0x7ff80000
	s_brev_b32 s2, 4
	s_xor_b32 s13, exec_lo, -1
; %bb.1240:
	s_or_b32 exec_lo, exec_lo, s7
	s_delay_alu instid0(SALU_CYCLE_1)
	s_and_b32 s7, s13, exec_lo
.LBB151_1241:
	s_or_saveexec_b32 s12, s12
	v_dual_mov_b32 v4, s3 :: v_dual_mov_b32 v3, s2
	s_xor_b32 exec_lo, exec_lo, s12
; %bb.1242:
	v_cmp_ne_u16_e32 vcc_lo, 0, v1
	v_mov_b32_e32 v3, 0
	v_mov_b32_e32 v4, 0
	s_and_not1_b32 s2, s7, exec_lo
	s_and_b32 s3, vcc_lo, exec_lo
	s_delay_alu instid0(SALU_CYCLE_1)
	s_or_b32 s7, s2, s3
; %bb.1243:
	s_or_b32 exec_lo, exec_lo, s12
	s_and_saveexec_b32 s2, s7
	s_cbranch_execz .LBB151_1245
; %bb.1244:
	v_and_b32_e32 v3, 0xffff, v1
	v_lshlrev_b32_e32 v1, 24, v1
	s_delay_alu instid0(VALU_DEP_2) | instskip(NEXT) | instid1(VALU_DEP_2)
	v_and_b32_e32 v4, 3, v3
	v_and_b32_e32 v1, 0x80000000, v1
	s_delay_alu instid0(VALU_DEP_2) | instskip(NEXT) | instid1(VALU_DEP_1)
	v_clz_i32_u32_e32 v8, v4
	v_min_u32_e32 v8, 32, v8
	s_delay_alu instid0(VALU_DEP_1) | instskip(SKIP_1) | instid1(VALU_DEP_2)
	v_subrev_nc_u32_e32 v9, 29, v8
	v_sub_nc_u32_e32 v8, 30, v8
	v_lshlrev_b32_e32 v9, v9, v3
	v_bfe_u32 v3, v3, 2, 5
	s_delay_alu instid0(VALU_DEP_2) | instskip(NEXT) | instid1(VALU_DEP_2)
	v_and_b32_e32 v9, 3, v9
	v_cmp_eq_u32_e32 vcc_lo, 0, v3
	s_delay_alu instid0(VALU_DEP_2) | instskip(NEXT) | instid1(VALU_DEP_1)
	v_dual_cndmask_b32 v3, v3, v8 :: v_dual_cndmask_b32 v4, v4, v9
	v_lshl_add_u32 v3, v3, 23, 0x37800000
	s_delay_alu instid0(VALU_DEP_2) | instskip(NEXT) | instid1(VALU_DEP_1)
	v_lshlrev_b32_e32 v4, 21, v4
	v_or3_b32 v1, v1, v3, v4
	s_delay_alu instid0(VALU_DEP_1)
	v_cvt_f64_f32_e32 v[3:4], v1
.LBB151_1245:
	s_or_b32 exec_lo, exec_lo, s2
	s_mov_b32 s2, 0
	s_branch .LBB151_1249
.LBB151_1246:
	s_mov_b32 s3, -1
                                        ; implicit-def: $vgpr3_vgpr4
	s_branch .LBB151_1255
.LBB151_1247:
	s_mov_b32 s2, -1
                                        ; implicit-def: $vgpr3_vgpr4
	s_branch .LBB151_1252
.LBB151_1248:
	s_mov_b32 s2, -1
                                        ; implicit-def: $vgpr3_vgpr4
.LBB151_1249:
	s_delay_alu instid0(SALU_CYCLE_1)
	s_and_b32 vcc_lo, exec_lo, s2
	s_cbranch_vccz .LBB151_1251
; %bb.1250:
	global_load_u8 v1, v[5:6], off
	s_waitcnt vmcnt(0)
	v_lshlrev_b32_e32 v1, 24, v1
	s_delay_alu instid0(VALU_DEP_1) | instskip(NEXT) | instid1(VALU_DEP_1)
	v_and_b32_e32 v3, 0x7f000000, v1
	v_clz_i32_u32_e32 v4, v3
	v_cmp_ne_u32_e32 vcc_lo, 0, v3
	v_add_nc_u32_e32 v9, 0x1000000, v3
	s_delay_alu instid0(VALU_DEP_3) | instskip(NEXT) | instid1(VALU_DEP_1)
	v_min_u32_e32 v4, 32, v4
	v_sub_nc_u32_e64 v4, v4, 4 clamp
	s_delay_alu instid0(VALU_DEP_1) | instskip(SKIP_1) | instid1(VALU_DEP_2)
	v_lshlrev_b32_e32 v8, v4, v3
	v_lshlrev_b32_e32 v4, 23, v4
	v_lshrrev_b32_e32 v8, 4, v8
	s_delay_alu instid0(VALU_DEP_1) | instskip(SKIP_1) | instid1(VALU_DEP_2)
	v_sub_nc_u32_e32 v4, v8, v4
	v_ashrrev_i32_e32 v8, 8, v9
	v_add_nc_u32_e32 v4, 0x3c000000, v4
	s_delay_alu instid0(VALU_DEP_1) | instskip(NEXT) | instid1(VALU_DEP_1)
	v_and_or_b32 v4, 0x7f800000, v8, v4
	v_cndmask_b32_e32 v3, 0, v4, vcc_lo
	s_delay_alu instid0(VALU_DEP_1) | instskip(NEXT) | instid1(VALU_DEP_1)
	v_and_or_b32 v1, 0x80000000, v1, v3
	v_cvt_f64_f32_e32 v[3:4], v1
.LBB151_1251:
	s_mov_b32 s2, 0
.LBB151_1252:
	s_delay_alu instid0(SALU_CYCLE_1)
	s_and_not1_b32 vcc_lo, exec_lo, s2
	s_cbranch_vccnz .LBB151_1254
; %bb.1253:
	global_load_u8 v1, v[5:6], off
	s_waitcnt vmcnt(0)
	v_lshlrev_b32_e32 v3, 25, v1
	v_lshlrev_b16 v1, 8, v1
	s_delay_alu instid0(VALU_DEP_1) | instskip(SKIP_1) | instid1(VALU_DEP_2)
	v_and_or_b32 v8, 0x7f00, v1, 0.5
	v_bfe_i32 v1, v1, 0, 16
	v_add_f32_e32 v8, -0.5, v8
	v_lshrrev_b32_e32 v4, 4, v3
	v_cmp_gt_u32_e32 vcc_lo, 0x8000000, v3
	s_delay_alu instid0(VALU_DEP_2) | instskip(NEXT) | instid1(VALU_DEP_1)
	v_or_b32_e32 v4, 0x70000000, v4
	v_mul_f32_e32 v4, 0x7800000, v4
	s_delay_alu instid0(VALU_DEP_1) | instskip(NEXT) | instid1(VALU_DEP_1)
	v_cndmask_b32_e32 v3, v4, v8, vcc_lo
	v_and_or_b32 v1, 0x80000000, v1, v3
	s_delay_alu instid0(VALU_DEP_1)
	v_cvt_f64_f32_e32 v[3:4], v1
.LBB151_1254:
	s_mov_b32 s3, 0
	s_mov_b32 s2, -1
.LBB151_1255:
	s_and_not1_b32 vcc_lo, exec_lo, s3
	s_mov_b32 s7, 0
	s_cbranch_vccnz .LBB151_1264
; %bb.1256:
	v_cmp_lt_i16_e32 vcc_lo, 14, v7
	s_cbranch_vccz .LBB151_1259
; %bb.1257:
	v_cmp_eq_u16_e32 vcc_lo, 15, v7
	s_cbranch_vccz .LBB151_1260
; %bb.1258:
	global_load_u16 v1, v[5:6], off
	s_mov_b32 s6, 0
	s_mov_b32 s2, -1
	s_waitcnt vmcnt(0)
	v_lshlrev_b32_e32 v1, 16, v1
	s_delay_alu instid0(VALU_DEP_1)
	v_cvt_f64_f32_e32 v[3:4], v1
	s_branch .LBB151_1261
.LBB151_1259:
	s_mov_b32 s3, -1
                                        ; implicit-def: $vgpr3_vgpr4
	s_branch .LBB151_1262
.LBB151_1260:
	s_mov_b32 s6, -1
                                        ; implicit-def: $vgpr3_vgpr4
.LBB151_1261:
	s_mov_b32 s3, 0
.LBB151_1262:
	s_delay_alu instid0(SALU_CYCLE_1)
	s_and_b32 vcc_lo, exec_lo, s3
	s_cbranch_vccz .LBB151_1264
; %bb.1263:
	v_cmp_ne_u16_e32 vcc_lo, 11, v7
	s_and_not1_b32 s3, s6, exec_lo
	s_mov_b32 s7, -1
                                        ; implicit-def: $vgpr3_vgpr4
	s_and_b32 s6, vcc_lo, exec_lo
	s_delay_alu instid0(SALU_CYCLE_1)
	s_or_b32 s6, s3, s6
.LBB151_1264:
	s_mov_b32 s3, 0
.LBB151_1265:
	s_and_not1_b32 s12, s48, exec_lo
	s_and_b32 s6, s6, exec_lo
	s_and_b32 s51, s2, exec_lo
	;; [unrolled: 1-line block ×4, first 2 shown]
	s_or_b32 s52, s12, s6
.LBB151_1266:
	s_or_b32 exec_lo, exec_lo, s37
	s_delay_alu instid0(SALU_CYCLE_1)
	s_and_not1_b32 s6, s48, exec_lo
	s_and_b32 s7, s52, exec_lo
	s_and_b32 s51, s51, exec_lo
	;; [unrolled: 1-line block ×4, first 2 shown]
	s_or_b32 s48, s6, s7
.LBB151_1267:
	s_or_b32 exec_lo, exec_lo, s47
	s_delay_alu instid0(SALU_CYCLE_1)
	s_and_not1_b32 s6, s44, exec_lo
	s_and_b32 s7, s49, exec_lo
	s_and_not1_b32 s12, s45, exec_lo
	s_and_b32 s13, s50, exec_lo
	s_or_b32 s44, s6, s7
	s_and_not1_b32 s6, s43, exec_lo
	s_and_b32 s7, s48, exec_lo
	s_or_b32 s45, s12, s13
	s_and_b32 s47, s51, exec_lo
	s_and_b32 s3, s3, exec_lo
	;; [unrolled: 1-line block ×3, first 2 shown]
	s_or_b32 s43, s6, s7
.LBB151_1268:
	s_or_b32 exec_lo, exec_lo, s46
	s_delay_alu instid0(SALU_CYCLE_1)
	s_and_not1_b32 s6, s39, exec_lo
	s_and_b32 s7, s44, exec_lo
	s_and_not1_b32 s12, s40, exec_lo
	s_and_b32 s13, s45, exec_lo
	s_or_b32 s39, s6, s7
	s_and_b32 s45, s3, exec_lo
	s_and_not1_b32 s3, s41, exec_lo
	s_and_b32 s6, s43, exec_lo
	s_or_b32 s40, s12, s13
	s_and_b32 s44, s47, exec_lo
	s_and_b32 s43, s2, exec_lo
	s_or_b32 s41, s3, s6
.LBB151_1269:
	s_or_b32 exec_lo, exec_lo, s42
	s_mov_b32 s3, 0
	s_and_saveexec_b32 s2, s41
	s_cbranch_execnz .LBB151_1281
; %bb.1270:
	s_or_b32 exec_lo, exec_lo, s2
	s_and_saveexec_b32 s2, s43
	s_delay_alu instid0(SALU_CYCLE_1)
	s_xor_b32 s2, exec_lo, s2
	s_cbranch_execz .LBB151_1272
.LBB151_1271:
	s_waitcnt vmcnt(0)
	global_load_u8 v1, v[5:6], off
	v_mov_b32_e32 v3, 0
	s_or_b32 s44, s44, exec_lo
	s_waitcnt vmcnt(0)
	v_cmp_ne_u16_e32 vcc_lo, 0, v1
	v_cndmask_b32_e64 v4, 0, 0x3ff00000, vcc_lo
.LBB151_1272:
	s_or_b32 exec_lo, exec_lo, s2
	s_and_saveexec_b32 s2, s45
	s_cbranch_execz .LBB151_1320
; %bb.1273:
	v_cmp_gt_i16_e32 vcc_lo, 5, v7
	s_cbranch_vccnz .LBB151_1278
; %bb.1274:
	v_cmp_gt_i16_e32 vcc_lo, 8, v7
	s_cbranch_vccnz .LBB151_1279
	;; [unrolled: 3-line block ×3, first 2 shown]
; %bb.1276:
	v_cmp_lt_i16_e32 vcc_lo, 9, v7
	s_cbranch_vccz .LBB151_1283
; %bb.1277:
	s_waitcnt vmcnt(0)
	global_load_b64 v[3:4], v[5:6], off
	s_mov_b32 s6, 0
	s_branch .LBB151_1284
.LBB151_1278:
                                        ; implicit-def: $vgpr3_vgpr4
	s_branch .LBB151_1301
.LBB151_1279:
                                        ; implicit-def: $vgpr3_vgpr4
	s_branch .LBB151_1290
.LBB151_1280:
	s_mov_b32 s6, -1
                                        ; implicit-def: $vgpr3_vgpr4
	s_branch .LBB151_1287
.LBB151_1281:
	s_cbranch_execnz .LBB151_1332
; %bb.1282:
	s_mov_b32 s3, exec_lo
	s_and_not1_b32 s43, s43, exec_lo
                                        ; implicit-def: $vgpr3_vgpr4
	s_or_b32 exec_lo, exec_lo, s2
	s_and_saveexec_b32 s2, s43
	s_delay_alu instid0(SALU_CYCLE_1)
	s_xor_b32 s2, exec_lo, s2
	s_cbranch_execnz .LBB151_1271
	s_branch .LBB151_1272
.LBB151_1283:
	s_mov_b32 s6, -1
                                        ; implicit-def: $vgpr3_vgpr4
.LBB151_1284:
	s_delay_alu instid0(SALU_CYCLE_1)
	s_and_not1_b32 vcc_lo, exec_lo, s6
	s_cbranch_vccnz .LBB151_1286
; %bb.1285:
	s_waitcnt vmcnt(0)
	global_load_b32 v1, v[5:6], off
	s_waitcnt vmcnt(0)
	v_cvt_f64_f32_e32 v[3:4], v1
.LBB151_1286:
	s_mov_b32 s6, 0
.LBB151_1287:
	s_delay_alu instid0(SALU_CYCLE_1)
	s_and_not1_b32 vcc_lo, exec_lo, s6
	s_cbranch_vccnz .LBB151_1289
; %bb.1288:
	s_waitcnt vmcnt(0)
	global_load_b32 v1, v[5:6], off
	s_waitcnt vmcnt(0)
	v_cvt_f32_f16_e32 v1, v1
	s_delay_alu instid0(VALU_DEP_1)
	v_cvt_f64_f32_e32 v[3:4], v1
.LBB151_1289:
	s_cbranch_execnz .LBB151_1300
.LBB151_1290:
	v_cmp_gt_i16_e32 vcc_lo, 6, v7
	s_cbranch_vccnz .LBB151_1293
; %bb.1291:
	v_cmp_lt_i16_e32 vcc_lo, 6, v7
	s_cbranch_vccz .LBB151_1294
; %bb.1292:
	s_waitcnt vmcnt(0)
	global_load_b64 v[3:4], v[5:6], off
	s_mov_b32 s6, 0
	s_branch .LBB151_1295
.LBB151_1293:
	s_mov_b32 s6, -1
                                        ; implicit-def: $vgpr3_vgpr4
	s_branch .LBB151_1298
.LBB151_1294:
	s_mov_b32 s6, -1
                                        ; implicit-def: $vgpr3_vgpr4
.LBB151_1295:
	s_delay_alu instid0(SALU_CYCLE_1)
	s_and_not1_b32 vcc_lo, exec_lo, s6
	s_cbranch_vccnz .LBB151_1297
; %bb.1296:
	s_waitcnt vmcnt(0)
	global_load_b32 v1, v[5:6], off
	s_waitcnt vmcnt(0)
	v_cvt_f64_f32_e32 v[3:4], v1
.LBB151_1297:
	s_mov_b32 s6, 0
.LBB151_1298:
	s_delay_alu instid0(SALU_CYCLE_1)
	s_and_not1_b32 vcc_lo, exec_lo, s6
	s_cbranch_vccnz .LBB151_1300
; %bb.1299:
	s_waitcnt vmcnt(0)
	global_load_u16 v1, v[5:6], off
	s_waitcnt vmcnt(0)
	v_cvt_f32_f16_e32 v1, v1
	s_delay_alu instid0(VALU_DEP_1)
	v_cvt_f64_f32_e32 v[3:4], v1
.LBB151_1300:
	s_cbranch_execnz .LBB151_1319
.LBB151_1301:
	v_cmp_gt_i16_e32 vcc_lo, 2, v7
	s_cbranch_vccnz .LBB151_1305
; %bb.1302:
	v_cmp_gt_i16_e32 vcc_lo, 3, v7
	s_cbranch_vccnz .LBB151_1306
; %bb.1303:
	v_cmp_lt_i16_e32 vcc_lo, 3, v7
	s_cbranch_vccz .LBB151_1307
; %bb.1304:
	s_waitcnt vmcnt(0)
	global_load_b64 v[3:4], v[5:6], off
	s_mov_b32 s6, 0
	s_waitcnt vmcnt(0)
	v_cvt_f64_i32_e32 v[8:9], v4
	v_cvt_f64_u32_e32 v[3:4], v3
	s_delay_alu instid0(VALU_DEP_2) | instskip(NEXT) | instid1(VALU_DEP_1)
	v_ldexp_f64 v[8:9], v[8:9], 32
	v_add_f64 v[3:4], v[8:9], v[3:4]
	s_branch .LBB151_1308
.LBB151_1305:
                                        ; implicit-def: $vgpr3_vgpr4
	s_branch .LBB151_1314
.LBB151_1306:
	s_mov_b32 s6, -1
                                        ; implicit-def: $vgpr3_vgpr4
	s_branch .LBB151_1311
.LBB151_1307:
	s_mov_b32 s6, -1
                                        ; implicit-def: $vgpr3_vgpr4
.LBB151_1308:
	s_delay_alu instid0(SALU_CYCLE_1)
	s_and_not1_b32 vcc_lo, exec_lo, s6
	s_cbranch_vccnz .LBB151_1310
; %bb.1309:
	s_waitcnt vmcnt(0)
	global_load_b32 v1, v[5:6], off
	s_waitcnt vmcnt(0)
	v_cvt_f64_i32_e32 v[3:4], v1
.LBB151_1310:
	s_mov_b32 s6, 0
.LBB151_1311:
	s_delay_alu instid0(SALU_CYCLE_1)
	s_and_not1_b32 vcc_lo, exec_lo, s6
	s_cbranch_vccnz .LBB151_1313
; %bb.1312:
	s_waitcnt vmcnt(0)
	global_load_i16 v1, v[5:6], off
	s_waitcnt vmcnt(0)
	v_cvt_f64_i32_e32 v[3:4], v1
.LBB151_1313:
	s_cbranch_execnz .LBB151_1319
.LBB151_1314:
	v_cmp_lt_i16_e32 vcc_lo, 0, v7
	s_mov_b32 s6, 0
	s_cbranch_vccz .LBB151_1316
; %bb.1315:
	s_waitcnt vmcnt(0)
	global_load_i8 v1, v[5:6], off
	s_waitcnt vmcnt(0)
	v_cvt_f64_i32_e32 v[3:4], v1
	s_branch .LBB151_1317
.LBB151_1316:
	s_mov_b32 s6, -1
                                        ; implicit-def: $vgpr3_vgpr4
.LBB151_1317:
	s_delay_alu instid0(SALU_CYCLE_1)
	s_and_not1_b32 vcc_lo, exec_lo, s6
	s_cbranch_vccnz .LBB151_1319
; %bb.1318:
	s_waitcnt vmcnt(0)
	global_load_u8 v1, v[5:6], off
	s_waitcnt vmcnt(0)
	v_cvt_f64_u32_e32 v[3:4], v1
.LBB151_1319:
	s_or_b32 s44, s44, exec_lo
.LBB151_1320:
	s_or_b32 exec_lo, exec_lo, s2
	s_mov_b32 s6, 0
	s_mov_b32 s12, 0
	;; [unrolled: 1-line block ×3, first 2 shown]
                                        ; implicit-def: $vgpr1
                                        ; implicit-def: $vgpr5_vgpr6
                                        ; implicit-def: $vgpr7
	s_and_saveexec_b32 s2, s44
	s_cbranch_execz .LBB151_1396
; %bb.1321:
	s_waitcnt vmcnt(0)
	v_and_b32_e64 v1, 0xff, s33
	s_delay_alu instid0(VALU_DEP_2) | instskip(NEXT) | instid1(VALU_DEP_1)
	v_add_co_u32 v5, s6, s8, v0
	v_add_co_ci_u32_e64 v6, null, s9, 0, s6
	s_delay_alu instid0(VALU_DEP_3)
	v_cmp_gt_i16_e32 vcc_lo, 11, v1
	s_cbranch_vccnz .LBB151_1328
; %bb.1322:
	v_cmp_lt_i16_e32 vcc_lo, 25, v1
	s_mov_b32 s8, 0
	s_cbranch_vccz .LBB151_1329
; %bb.1323:
	v_cmp_lt_i16_e32 vcc_lo, 28, v1
	s_cbranch_vccz .LBB151_1330
; %bb.1324:
	v_cmp_lt_i16_e32 vcc_lo, 43, v1
	;; [unrolled: 3-line block ×3, first 2 shown]
	s_cbranch_vccz .LBB151_1334
; %bb.1326:
	v_cmp_eq_u16_e32 vcc_lo, 46, v1
	s_mov_b32 s9, 0
	s_cbranch_vccz .LBB151_1335
; %bb.1327:
	global_load_b32 v0, v[5:6], off
	s_mov_b32 s6, 0
	s_mov_b32 s7, -1
	s_waitcnt vmcnt(0)
	v_lshlrev_b32_e32 v0, 16, v0
	s_delay_alu instid0(VALU_DEP_1) | instskip(NEXT) | instid1(VALU_DEP_1)
	v_trunc_f32_e32 v0, v0
	v_mul_f32_e64 v7, 0x2f800000, |v0|
	s_delay_alu instid0(VALU_DEP_1) | instskip(NEXT) | instid1(VALU_DEP_1)
	v_floor_f32_e32 v7, v7
	v_fma_f32 v7, 0xcf800000, v7, |v0|
	v_ashrrev_i32_e32 v0, 31, v0
	s_delay_alu instid0(VALU_DEP_2) | instskip(NEXT) | instid1(VALU_DEP_1)
	v_cvt_u32_f32_e32 v7, v7
	v_xor_b32_e32 v7, v7, v0
	s_delay_alu instid0(VALU_DEP_1)
	v_sub_nc_u32_e32 v7, v7, v0
	s_branch .LBB151_1337
.LBB151_1328:
	s_mov_b32 s9, -1
	s_mov_b32 s8, 0
	s_mov_b32 s6, s40
                                        ; implicit-def: $vgpr7
	s_branch .LBB151_1395
.LBB151_1329:
	s_mov_b32 s6, s40
                                        ; implicit-def: $vgpr7
	s_cbranch_execnz .LBB151_1364
	s_branch .LBB151_1394
.LBB151_1330:
	s_mov_b32 s9, -1
	s_mov_b32 s6, s40
                                        ; implicit-def: $vgpr7
	s_branch .LBB151_1347
.LBB151_1331:
	s_mov_b32 s9, -1
	s_mov_b32 s6, s40
                                        ; implicit-def: $vgpr7
	s_branch .LBB151_1342
.LBB151_1332:
	s_trap 2
	s_sendmsg_rtn_b32 s0, sendmsg(MSG_RTN_GET_DOORBELL)
	s_mov_b32 ttmp2, m0
	s_waitcnt lgkmcnt(0)
	s_and_b32 s0, s0, 0x3ff
	s_delay_alu instid0(SALU_CYCLE_1) | instskip(NEXT) | instid1(SALU_CYCLE_1)
	s_bitset1_b32 s0, 10
	s_mov_b32 m0, s0
	s_sendmsg sendmsg(MSG_INTERRUPT)
	s_mov_b32 m0, ttmp2
.LBB151_1333:                           ; =>This Inner Loop Header: Depth=1
	s_sethalt 5
	s_branch .LBB151_1333
.LBB151_1334:
	s_mov_b32 s9, -1
	s_mov_b32 s6, s40
	s_branch .LBB151_1336
.LBB151_1335:
	s_mov_b32 s6, -1
.LBB151_1336:
                                        ; implicit-def: $vgpr7
.LBB151_1337:
	s_and_b32 vcc_lo, exec_lo, s9
	s_cbranch_vccz .LBB151_1341
; %bb.1338:
	v_cmp_eq_u16_e32 vcc_lo, 44, v1
	s_cbranch_vccz .LBB151_1340
; %bb.1339:
	global_load_u8 v0, v[5:6], off
	s_mov_b32 s6, 0
	s_mov_b32 s7, -1
	s_waitcnt vmcnt(0)
	v_lshlrev_b32_e32 v7, 23, v0
	v_cmp_ne_u32_e32 vcc_lo, 0, v0
	s_delay_alu instid0(VALU_DEP_2) | instskip(NEXT) | instid1(VALU_DEP_1)
	v_trunc_f32_e32 v7, v7
	v_mul_f32_e64 v8, 0x2f800000, |v7|
	s_delay_alu instid0(VALU_DEP_1) | instskip(NEXT) | instid1(VALU_DEP_1)
	v_floor_f32_e32 v8, v8
	v_fma_f32 v8, 0xcf800000, v8, |v7|
	v_ashrrev_i32_e32 v7, 31, v7
	s_delay_alu instid0(VALU_DEP_2) | instskip(NEXT) | instid1(VALU_DEP_1)
	v_cvt_u32_f32_e32 v8, v8
	v_xor_b32_e32 v8, v8, v7
	s_delay_alu instid0(VALU_DEP_1) | instskip(NEXT) | instid1(VALU_DEP_1)
	v_sub_nc_u32_e32 v7, v8, v7
	v_cndmask_b32_e32 v7, 0, v7, vcc_lo
	s_branch .LBB151_1341
.LBB151_1340:
	s_mov_b32 s6, -1
                                        ; implicit-def: $vgpr7
.LBB151_1341:
	s_mov_b32 s9, 0
.LBB151_1342:
	s_delay_alu instid0(SALU_CYCLE_1)
	s_and_b32 vcc_lo, exec_lo, s9
	s_cbranch_vccz .LBB151_1346
; %bb.1343:
	v_cmp_eq_u16_e32 vcc_lo, 29, v1
	s_cbranch_vccz .LBB151_1345
; %bb.1344:
	global_load_b64 v[7:8], v[5:6], off
	s_mov_b32 s6, 0
	s_mov_b32 s7, -1
	s_branch .LBB151_1346
.LBB151_1345:
	s_mov_b32 s6, -1
                                        ; implicit-def: $vgpr7
.LBB151_1346:
	s_mov_b32 s9, 0
.LBB151_1347:
	s_delay_alu instid0(SALU_CYCLE_1)
	s_and_b32 vcc_lo, exec_lo, s9
	s_cbranch_vccz .LBB151_1363
; %bb.1348:
	v_cmp_gt_i16_e32 vcc_lo, 27, v1
	s_cbranch_vccnz .LBB151_1351
; %bb.1349:
	v_cmp_lt_i16_e32 vcc_lo, 27, v1
	s_cbranch_vccz .LBB151_1352
; %bb.1350:
	global_load_b32 v7, v[5:6], off
	s_mov_b32 s7, 0
	s_branch .LBB151_1353
.LBB151_1351:
	s_mov_b32 s7, -1
                                        ; implicit-def: $vgpr7
	s_branch .LBB151_1356
.LBB151_1352:
	s_mov_b32 s7, -1
                                        ; implicit-def: $vgpr7
.LBB151_1353:
	s_delay_alu instid0(SALU_CYCLE_1)
	s_and_not1_b32 vcc_lo, exec_lo, s7
	s_cbranch_vccnz .LBB151_1355
; %bb.1354:
	global_load_u16 v7, v[5:6], off
.LBB151_1355:
	s_mov_b32 s7, 0
.LBB151_1356:
	s_delay_alu instid0(SALU_CYCLE_1)
	s_and_not1_b32 vcc_lo, exec_lo, s7
	s_cbranch_vccnz .LBB151_1362
; %bb.1357:
	global_load_u8 v0, v[5:6], off
	s_mov_b32 s9, 0
	s_mov_b32 s7, exec_lo
                                        ; implicit-def: $sgpr12
	s_waitcnt vmcnt(0)
	v_cmpx_lt_i16_e32 0x7f, v0
	s_xor_b32 s7, exec_lo, s7
	s_cbranch_execz .LBB151_1373
; %bb.1358:
	v_cmp_ne_u16_e32 vcc_lo, 0x80, v0
	s_mov_b32 s12, 0
	s_and_b32 s9, vcc_lo, exec_lo
	s_or_saveexec_b32 s7, s7
	v_mov_b32_e32 v7, s12
	s_xor_b32 exec_lo, exec_lo, s7
	s_cbranch_execnz .LBB151_1374
.LBB151_1359:
	s_or_b32 exec_lo, exec_lo, s7
	s_and_saveexec_b32 s7, s9
	s_cbranch_execz .LBB151_1361
.LBB151_1360:
	v_and_b32_e32 v7, 0xffff, v0
	v_lshlrev_b32_e32 v0, 24, v0
	s_delay_alu instid0(VALU_DEP_2) | instskip(NEXT) | instid1(VALU_DEP_2)
	v_and_b32_e32 v8, 7, v7
	v_and_b32_e32 v0, 0x80000000, v0
	s_delay_alu instid0(VALU_DEP_2) | instskip(NEXT) | instid1(VALU_DEP_1)
	v_clz_i32_u32_e32 v9, v8
	v_min_u32_e32 v9, 32, v9
	s_delay_alu instid0(VALU_DEP_1) | instskip(SKIP_1) | instid1(VALU_DEP_2)
	v_subrev_nc_u32_e32 v10, 28, v9
	v_sub_nc_u32_e32 v9, 29, v9
	v_lshlrev_b32_e32 v10, v10, v7
	v_bfe_u32 v7, v7, 3, 4
	s_delay_alu instid0(VALU_DEP_2) | instskip(NEXT) | instid1(VALU_DEP_2)
	v_and_b32_e32 v10, 7, v10
	v_cmp_eq_u32_e32 vcc_lo, 0, v7
	s_delay_alu instid0(VALU_DEP_2) | instskip(NEXT) | instid1(VALU_DEP_1)
	v_dual_cndmask_b32 v7, v7, v9 :: v_dual_cndmask_b32 v8, v8, v10
	v_lshl_add_u32 v7, v7, 23, 0x3b800000
	s_delay_alu instid0(VALU_DEP_2) | instskip(NEXT) | instid1(VALU_DEP_1)
	v_lshlrev_b32_e32 v8, 20, v8
	v_or3_b32 v0, v0, v7, v8
	s_delay_alu instid0(VALU_DEP_1) | instskip(NEXT) | instid1(VALU_DEP_1)
	v_trunc_f32_e32 v0, v0
	v_mul_f32_e64 v7, 0x2f800000, |v0|
	s_delay_alu instid0(VALU_DEP_1) | instskip(NEXT) | instid1(VALU_DEP_1)
	v_floor_f32_e32 v7, v7
	v_fma_f32 v7, 0xcf800000, v7, |v0|
	v_ashrrev_i32_e32 v0, 31, v0
	s_delay_alu instid0(VALU_DEP_2) | instskip(NEXT) | instid1(VALU_DEP_1)
	v_cvt_u32_f32_e32 v7, v7
	v_xor_b32_e32 v7, v7, v0
	s_delay_alu instid0(VALU_DEP_1)
	v_sub_nc_u32_e32 v7, v7, v0
.LBB151_1361:
	s_or_b32 exec_lo, exec_lo, s7
.LBB151_1362:
	s_mov_b32 s7, -1
.LBB151_1363:
	s_branch .LBB151_1394
.LBB151_1364:
	v_cmp_lt_i16_e32 vcc_lo, 22, v1
	s_cbranch_vccz .LBB151_1372
; %bb.1365:
	v_cmp_gt_i16_e32 vcc_lo, 24, v1
	s_cbranch_vccnz .LBB151_1375
; %bb.1366:
	v_cmp_lt_i16_e32 vcc_lo, 24, v1
	s_cbranch_vccz .LBB151_1376
; %bb.1367:
	global_load_u8 v0, v[5:6], off
	s_mov_b32 s7, exec_lo
                                        ; implicit-def: $sgpr9
	s_waitcnt vmcnt(0)
	v_cmpx_lt_i16_e32 0x7f, v0
	s_xor_b32 s7, exec_lo, s7
	s_cbranch_execz .LBB151_1388
; %bb.1368:
	v_cmp_ne_u16_e32 vcc_lo, 0x80, v0
	s_mov_b32 s9, 0
	s_and_b32 s8, vcc_lo, exec_lo
	s_or_saveexec_b32 s7, s7
	v_mov_b32_e32 v7, s9
	s_xor_b32 exec_lo, exec_lo, s7
	s_cbranch_execnz .LBB151_1389
.LBB151_1369:
	s_or_b32 exec_lo, exec_lo, s7
	s_and_saveexec_b32 s7, s8
	s_cbranch_execz .LBB151_1371
.LBB151_1370:
	v_and_b32_e32 v7, 0xffff, v0
	v_lshlrev_b32_e32 v0, 24, v0
	s_delay_alu instid0(VALU_DEP_2) | instskip(NEXT) | instid1(VALU_DEP_2)
	v_and_b32_e32 v8, 3, v7
	v_and_b32_e32 v0, 0x80000000, v0
	s_delay_alu instid0(VALU_DEP_2) | instskip(NEXT) | instid1(VALU_DEP_1)
	v_clz_i32_u32_e32 v9, v8
	v_min_u32_e32 v9, 32, v9
	s_delay_alu instid0(VALU_DEP_1) | instskip(SKIP_1) | instid1(VALU_DEP_2)
	v_subrev_nc_u32_e32 v10, 29, v9
	v_sub_nc_u32_e32 v9, 30, v9
	v_lshlrev_b32_e32 v10, v10, v7
	v_bfe_u32 v7, v7, 2, 5
	s_delay_alu instid0(VALU_DEP_2) | instskip(NEXT) | instid1(VALU_DEP_2)
	v_and_b32_e32 v10, 3, v10
	v_cmp_eq_u32_e32 vcc_lo, 0, v7
	s_delay_alu instid0(VALU_DEP_2) | instskip(NEXT) | instid1(VALU_DEP_1)
	v_dual_cndmask_b32 v7, v7, v9 :: v_dual_cndmask_b32 v8, v8, v10
	v_lshl_add_u32 v7, v7, 23, 0x37800000
	s_delay_alu instid0(VALU_DEP_2) | instskip(NEXT) | instid1(VALU_DEP_1)
	v_lshlrev_b32_e32 v8, 21, v8
	v_or3_b32 v0, v0, v7, v8
	s_delay_alu instid0(VALU_DEP_1) | instskip(NEXT) | instid1(VALU_DEP_1)
	v_trunc_f32_e32 v0, v0
	v_mul_f32_e64 v7, 0x2f800000, |v0|
	s_delay_alu instid0(VALU_DEP_1) | instskip(NEXT) | instid1(VALU_DEP_1)
	v_floor_f32_e32 v7, v7
	v_fma_f32 v7, 0xcf800000, v7, |v0|
	v_ashrrev_i32_e32 v0, 31, v0
	s_delay_alu instid0(VALU_DEP_2) | instskip(NEXT) | instid1(VALU_DEP_1)
	v_cvt_u32_f32_e32 v7, v7
	v_xor_b32_e32 v7, v7, v0
	s_delay_alu instid0(VALU_DEP_1)
	v_sub_nc_u32_e32 v7, v7, v0
.LBB151_1371:
	s_or_b32 exec_lo, exec_lo, s7
	s_mov_b32 s7, 0
	s_branch .LBB151_1377
.LBB151_1372:
	s_mov_b32 s8, -1
                                        ; implicit-def: $vgpr7
	s_branch .LBB151_1383
.LBB151_1373:
	s_or_saveexec_b32 s7, s7
	v_mov_b32_e32 v7, s12
	s_xor_b32 exec_lo, exec_lo, s7
	s_cbranch_execz .LBB151_1359
.LBB151_1374:
	v_cmp_ne_u16_e32 vcc_lo, 0, v0
	v_mov_b32_e32 v7, 0
	s_and_not1_b32 s9, s9, exec_lo
	s_and_b32 s12, vcc_lo, exec_lo
	s_delay_alu instid0(SALU_CYCLE_1)
	s_or_b32 s9, s9, s12
	s_or_b32 exec_lo, exec_lo, s7
	s_and_saveexec_b32 s7, s9
	s_cbranch_execnz .LBB151_1360
	s_branch .LBB151_1361
.LBB151_1375:
	s_mov_b32 s7, -1
                                        ; implicit-def: $vgpr7
	s_branch .LBB151_1380
.LBB151_1376:
	s_mov_b32 s7, -1
                                        ; implicit-def: $vgpr7
.LBB151_1377:
	s_delay_alu instid0(SALU_CYCLE_1)
	s_and_b32 vcc_lo, exec_lo, s7
	s_cbranch_vccz .LBB151_1379
; %bb.1378:
	global_load_u8 v0, v[5:6], off
	s_waitcnt vmcnt(0)
	v_lshlrev_b32_e32 v0, 24, v0
	s_delay_alu instid0(VALU_DEP_1) | instskip(NEXT) | instid1(VALU_DEP_1)
	v_and_b32_e32 v7, 0x7f000000, v0
	v_clz_i32_u32_e32 v8, v7
	v_cmp_ne_u32_e32 vcc_lo, 0, v7
	v_add_nc_u32_e32 v10, 0x1000000, v7
	s_delay_alu instid0(VALU_DEP_3) | instskip(NEXT) | instid1(VALU_DEP_1)
	v_min_u32_e32 v8, 32, v8
	v_sub_nc_u32_e64 v8, v8, 4 clamp
	s_delay_alu instid0(VALU_DEP_1) | instskip(SKIP_1) | instid1(VALU_DEP_2)
	v_lshlrev_b32_e32 v9, v8, v7
	v_lshlrev_b32_e32 v8, 23, v8
	v_lshrrev_b32_e32 v9, 4, v9
	s_delay_alu instid0(VALU_DEP_1) | instskip(SKIP_1) | instid1(VALU_DEP_2)
	v_sub_nc_u32_e32 v8, v9, v8
	v_ashrrev_i32_e32 v9, 8, v10
	v_add_nc_u32_e32 v8, 0x3c000000, v8
	s_delay_alu instid0(VALU_DEP_1) | instskip(NEXT) | instid1(VALU_DEP_1)
	v_and_or_b32 v8, 0x7f800000, v9, v8
	v_cndmask_b32_e32 v7, 0, v8, vcc_lo
	s_delay_alu instid0(VALU_DEP_1) | instskip(NEXT) | instid1(VALU_DEP_1)
	v_and_or_b32 v0, 0x80000000, v0, v7
	v_trunc_f32_e32 v0, v0
	s_delay_alu instid0(VALU_DEP_1) | instskip(NEXT) | instid1(VALU_DEP_1)
	v_mul_f32_e64 v7, 0x2f800000, |v0|
	v_floor_f32_e32 v7, v7
	s_delay_alu instid0(VALU_DEP_1) | instskip(SKIP_1) | instid1(VALU_DEP_2)
	v_fma_f32 v7, 0xcf800000, v7, |v0|
	v_ashrrev_i32_e32 v0, 31, v0
	v_cvt_u32_f32_e32 v7, v7
	s_delay_alu instid0(VALU_DEP_1) | instskip(NEXT) | instid1(VALU_DEP_1)
	v_xor_b32_e32 v7, v7, v0
	v_sub_nc_u32_e32 v7, v7, v0
.LBB151_1379:
	s_mov_b32 s7, 0
.LBB151_1380:
	s_delay_alu instid0(SALU_CYCLE_1)
	s_and_not1_b32 vcc_lo, exec_lo, s7
	s_cbranch_vccnz .LBB151_1382
; %bb.1381:
	global_load_u8 v0, v[5:6], off
	s_waitcnt vmcnt(0)
	v_lshlrev_b32_e32 v7, 25, v0
	v_lshlrev_b16 v0, 8, v0
	s_delay_alu instid0(VALU_DEP_2) | instskip(NEXT) | instid1(VALU_DEP_2)
	v_lshrrev_b32_e32 v8, 4, v7
	v_and_or_b32 v9, 0x7f00, v0, 0.5
	v_cmp_gt_u32_e32 vcc_lo, 0x8000000, v7
	v_bfe_i32 v0, v0, 0, 16
	s_delay_alu instid0(VALU_DEP_4) | instskip(NEXT) | instid1(VALU_DEP_1)
	v_or_b32_e32 v8, 0x70000000, v8
	v_dual_add_f32 v9, -0.5, v9 :: v_dual_mul_f32 v8, 0x7800000, v8
	s_delay_alu instid0(VALU_DEP_1) | instskip(NEXT) | instid1(VALU_DEP_1)
	v_cndmask_b32_e32 v7, v8, v9, vcc_lo
	v_and_or_b32 v0, 0x80000000, v0, v7
	s_delay_alu instid0(VALU_DEP_1) | instskip(NEXT) | instid1(VALU_DEP_1)
	v_trunc_f32_e32 v0, v0
	v_mul_f32_e64 v7, 0x2f800000, |v0|
	s_delay_alu instid0(VALU_DEP_1) | instskip(NEXT) | instid1(VALU_DEP_1)
	v_floor_f32_e32 v7, v7
	v_fma_f32 v7, 0xcf800000, v7, |v0|
	v_ashrrev_i32_e32 v0, 31, v0
	s_delay_alu instid0(VALU_DEP_2) | instskip(NEXT) | instid1(VALU_DEP_1)
	v_cvt_u32_f32_e32 v7, v7
	v_xor_b32_e32 v7, v7, v0
	s_delay_alu instid0(VALU_DEP_1)
	v_sub_nc_u32_e32 v7, v7, v0
.LBB151_1382:
	s_mov_b32 s8, 0
	s_mov_b32 s7, -1
.LBB151_1383:
	s_and_not1_b32 vcc_lo, exec_lo, s8
	s_mov_b32 s8, 0
	s_cbranch_vccnz .LBB151_1394
; %bb.1384:
	v_cmp_lt_i16_e32 vcc_lo, 14, v1
	s_cbranch_vccz .LBB151_1387
; %bb.1385:
	v_cmp_eq_u16_e32 vcc_lo, 15, v1
	s_cbranch_vccz .LBB151_1390
; %bb.1386:
	global_load_u16 v0, v[5:6], off
	s_mov_b32 s6, 0
	s_mov_b32 s7, -1
	s_waitcnt vmcnt(0)
	v_lshlrev_b32_e32 v0, 16, v0
	s_delay_alu instid0(VALU_DEP_1) | instskip(NEXT) | instid1(VALU_DEP_1)
	v_trunc_f32_e32 v0, v0
	v_mul_f32_e64 v7, 0x2f800000, |v0|
	s_delay_alu instid0(VALU_DEP_1) | instskip(NEXT) | instid1(VALU_DEP_1)
	v_floor_f32_e32 v7, v7
	v_fma_f32 v7, 0xcf800000, v7, |v0|
	v_ashrrev_i32_e32 v0, 31, v0
	s_delay_alu instid0(VALU_DEP_2) | instskip(NEXT) | instid1(VALU_DEP_1)
	v_cvt_u32_f32_e32 v7, v7
	v_xor_b32_e32 v7, v7, v0
	s_delay_alu instid0(VALU_DEP_1)
	v_sub_nc_u32_e32 v7, v7, v0
	s_branch .LBB151_1392
.LBB151_1387:
	s_mov_b32 s8, -1
	s_branch .LBB151_1391
.LBB151_1388:
	s_or_saveexec_b32 s7, s7
	v_mov_b32_e32 v7, s9
	s_xor_b32 exec_lo, exec_lo, s7
	s_cbranch_execz .LBB151_1369
.LBB151_1389:
	v_cmp_ne_u16_e32 vcc_lo, 0, v0
	v_mov_b32_e32 v7, 0
	s_and_not1_b32 s8, s8, exec_lo
	s_and_b32 s9, vcc_lo, exec_lo
	s_delay_alu instid0(SALU_CYCLE_1)
	s_or_b32 s8, s8, s9
	s_or_b32 exec_lo, exec_lo, s7
	s_and_saveexec_b32 s7, s8
	s_cbranch_execnz .LBB151_1370
	s_branch .LBB151_1371
.LBB151_1390:
	s_mov_b32 s6, -1
.LBB151_1391:
                                        ; implicit-def: $vgpr7
.LBB151_1392:
	s_and_b32 vcc_lo, exec_lo, s8
	s_mov_b32 s8, 0
	s_cbranch_vccz .LBB151_1394
; %bb.1393:
	v_cmp_ne_u16_e32 vcc_lo, 11, v1
	s_and_not1_b32 s6, s6, exec_lo
	s_mov_b32 s8, -1
                                        ; implicit-def: $vgpr7
	s_and_b32 s9, vcc_lo, exec_lo
	s_delay_alu instid0(SALU_CYCLE_1)
	s_or_b32 s6, s6, s9
.LBB151_1394:
	s_mov_b32 s9, 0
.LBB151_1395:
	s_delay_alu instid0(SALU_CYCLE_1)
	s_and_b32 s12, s9, exec_lo
	s_and_not1_b32 s9, s40, exec_lo
	s_and_b32 s13, s6, exec_lo
	s_and_b32 s7, s7, exec_lo
	s_and_b32 s6, s8, exec_lo
	s_or_b32 s40, s9, s13
.LBB151_1396:
	s_or_b32 exec_lo, exec_lo, s2
	s_and_saveexec_b32 s2, s40
	s_cbranch_execnz .LBB151_1408
; %bb.1397:
	s_or_b32 exec_lo, exec_lo, s2
	s_and_saveexec_b32 s2, s6
	s_delay_alu instid0(SALU_CYCLE_1)
	s_xor_b32 s2, exec_lo, s2
	s_cbranch_execz .LBB151_1399
.LBB151_1398:
	s_waitcnt vmcnt(0)
	global_load_u8 v0, v[5:6], off
	s_or_b32 s7, s7, exec_lo
	s_waitcnt vmcnt(0)
	v_cmp_ne_u16_e32 vcc_lo, 0, v0
	v_cndmask_b32_e64 v7, 0, 1, vcc_lo
.LBB151_1399:
	s_or_b32 exec_lo, exec_lo, s2
	s_and_saveexec_b32 s2, s12
	s_cbranch_execz .LBB151_1447
; %bb.1400:
	s_waitcnt vmcnt(0)
	v_cmp_gt_i16_e32 vcc_lo, 5, v1
	s_cbranch_vccnz .LBB151_1405
; %bb.1401:
	v_cmp_gt_i16_e32 vcc_lo, 8, v1
	s_cbranch_vccnz .LBB151_1406
; %bb.1402:
	;; [unrolled: 3-line block ×3, first 2 shown]
	v_cmp_lt_i16_e32 vcc_lo, 9, v1
	s_cbranch_vccz .LBB151_1410
; %bb.1404:
	global_load_b64 v[7:8], v[5:6], off
	s_mov_b32 s6, 0
	s_waitcnt vmcnt(0)
	v_trunc_f64_e32 v[7:8], v[7:8]
	s_delay_alu instid0(VALU_DEP_1) | instskip(NEXT) | instid1(VALU_DEP_1)
	v_ldexp_f64 v[9:10], v[7:8], 0xffffffe0
	v_floor_f64_e32 v[9:10], v[9:10]
	s_delay_alu instid0(VALU_DEP_1) | instskip(NEXT) | instid1(VALU_DEP_1)
	v_fma_f64 v[7:8], 0xc1f00000, v[9:10], v[7:8]
	v_cvt_u32_f64_e32 v7, v[7:8]
	s_branch .LBB151_1411
.LBB151_1405:
                                        ; implicit-def: $vgpr7
	s_branch .LBB151_1428
.LBB151_1406:
                                        ; implicit-def: $vgpr7
	s_branch .LBB151_1417
.LBB151_1407:
	s_mov_b32 s6, -1
                                        ; implicit-def: $vgpr7
	s_branch .LBB151_1414
.LBB151_1408:
	s_cbranch_execnz .LBB151_1666
; %bb.1409:
	s_or_b32 s3, s3, exec_lo
	s_and_not1_b32 s6, s6, exec_lo
                                        ; implicit-def: $vgpr7
	s_or_b32 exec_lo, exec_lo, s2
	s_and_saveexec_b32 s2, s6
	s_delay_alu instid0(SALU_CYCLE_1)
	s_xor_b32 s2, exec_lo, s2
	s_cbranch_execnz .LBB151_1398
	s_branch .LBB151_1399
.LBB151_1410:
	s_mov_b32 s6, -1
                                        ; implicit-def: $vgpr7
.LBB151_1411:
	s_delay_alu instid0(SALU_CYCLE_1)
	s_and_not1_b32 vcc_lo, exec_lo, s6
	s_cbranch_vccnz .LBB151_1413
; %bb.1412:
	global_load_b32 v0, v[5:6], off
	s_waitcnt vmcnt(0)
	v_trunc_f32_e32 v0, v0
	s_delay_alu instid0(VALU_DEP_1) | instskip(NEXT) | instid1(VALU_DEP_1)
	v_mul_f32_e64 v7, 0x2f800000, |v0|
	v_floor_f32_e32 v7, v7
	s_delay_alu instid0(VALU_DEP_1) | instskip(SKIP_1) | instid1(VALU_DEP_2)
	v_fma_f32 v7, 0xcf800000, v7, |v0|
	v_ashrrev_i32_e32 v0, 31, v0
	v_cvt_u32_f32_e32 v7, v7
	s_delay_alu instid0(VALU_DEP_1) | instskip(NEXT) | instid1(VALU_DEP_1)
	v_xor_b32_e32 v7, v7, v0
	v_sub_nc_u32_e32 v7, v7, v0
.LBB151_1413:
	s_mov_b32 s6, 0
.LBB151_1414:
	s_delay_alu instid0(SALU_CYCLE_1)
	s_and_not1_b32 vcc_lo, exec_lo, s6
	s_cbranch_vccnz .LBB151_1416
; %bb.1415:
	global_load_b32 v0, v[5:6], off
	s_waitcnt vmcnt(0)
	v_cvt_f32_f16_e32 v0, v0
	s_delay_alu instid0(VALU_DEP_1)
	v_cvt_i32_f32_e32 v7, v0
.LBB151_1416:
	s_cbranch_execnz .LBB151_1427
.LBB151_1417:
	v_cmp_gt_i16_e32 vcc_lo, 6, v1
	s_cbranch_vccnz .LBB151_1420
; %bb.1418:
	v_cmp_lt_i16_e32 vcc_lo, 6, v1
	s_cbranch_vccz .LBB151_1421
; %bb.1419:
	global_load_b64 v[7:8], v[5:6], off
	s_mov_b32 s6, 0
	s_waitcnt vmcnt(0)
	v_trunc_f64_e32 v[7:8], v[7:8]
	s_delay_alu instid0(VALU_DEP_1) | instskip(NEXT) | instid1(VALU_DEP_1)
	v_ldexp_f64 v[9:10], v[7:8], 0xffffffe0
	v_floor_f64_e32 v[9:10], v[9:10]
	s_delay_alu instid0(VALU_DEP_1) | instskip(NEXT) | instid1(VALU_DEP_1)
	v_fma_f64 v[7:8], 0xc1f00000, v[9:10], v[7:8]
	v_cvt_u32_f64_e32 v7, v[7:8]
	s_branch .LBB151_1422
.LBB151_1420:
	s_mov_b32 s6, -1
                                        ; implicit-def: $vgpr7
	s_branch .LBB151_1425
.LBB151_1421:
	s_mov_b32 s6, -1
                                        ; implicit-def: $vgpr7
.LBB151_1422:
	s_delay_alu instid0(SALU_CYCLE_1)
	s_and_not1_b32 vcc_lo, exec_lo, s6
	s_cbranch_vccnz .LBB151_1424
; %bb.1423:
	global_load_b32 v0, v[5:6], off
	s_waitcnt vmcnt(0)
	v_trunc_f32_e32 v0, v0
	s_delay_alu instid0(VALU_DEP_1) | instskip(NEXT) | instid1(VALU_DEP_1)
	v_mul_f32_e64 v7, 0x2f800000, |v0|
	v_floor_f32_e32 v7, v7
	s_delay_alu instid0(VALU_DEP_1) | instskip(SKIP_1) | instid1(VALU_DEP_2)
	v_fma_f32 v7, 0xcf800000, v7, |v0|
	v_ashrrev_i32_e32 v0, 31, v0
	v_cvt_u32_f32_e32 v7, v7
	s_delay_alu instid0(VALU_DEP_1) | instskip(NEXT) | instid1(VALU_DEP_1)
	v_xor_b32_e32 v7, v7, v0
	v_sub_nc_u32_e32 v7, v7, v0
.LBB151_1424:
	s_mov_b32 s6, 0
.LBB151_1425:
	s_delay_alu instid0(SALU_CYCLE_1)
	s_and_not1_b32 vcc_lo, exec_lo, s6
	s_cbranch_vccnz .LBB151_1427
; %bb.1426:
	global_load_u16 v0, v[5:6], off
	s_waitcnt vmcnt(0)
	v_cvt_f32_f16_e32 v0, v0
	s_delay_alu instid0(VALU_DEP_1)
	v_cvt_i32_f32_e32 v7, v0
.LBB151_1427:
	s_cbranch_execnz .LBB151_1446
.LBB151_1428:
	v_cmp_gt_i16_e32 vcc_lo, 2, v1
	s_cbranch_vccnz .LBB151_1432
; %bb.1429:
	v_cmp_gt_i16_e32 vcc_lo, 3, v1
	s_cbranch_vccnz .LBB151_1433
; %bb.1430:
	v_cmp_lt_i16_e32 vcc_lo, 3, v1
	s_cbranch_vccz .LBB151_1434
; %bb.1431:
	global_load_b64 v[7:8], v[5:6], off
	s_mov_b32 s6, 0
	s_branch .LBB151_1435
.LBB151_1432:
                                        ; implicit-def: $vgpr7
	s_branch .LBB151_1441
.LBB151_1433:
	s_mov_b32 s6, -1
                                        ; implicit-def: $vgpr7
	s_branch .LBB151_1438
.LBB151_1434:
	s_mov_b32 s6, -1
                                        ; implicit-def: $vgpr7
.LBB151_1435:
	s_delay_alu instid0(SALU_CYCLE_1)
	s_and_not1_b32 vcc_lo, exec_lo, s6
	s_cbranch_vccnz .LBB151_1437
; %bb.1436:
	global_load_b32 v7, v[5:6], off
.LBB151_1437:
	s_mov_b32 s6, 0
.LBB151_1438:
	s_delay_alu instid0(SALU_CYCLE_1)
	s_and_not1_b32 vcc_lo, exec_lo, s6
	s_cbranch_vccnz .LBB151_1440
; %bb.1439:
	global_load_u16 v7, v[5:6], off
.LBB151_1440:
	s_cbranch_execnz .LBB151_1446
.LBB151_1441:
	v_cmp_lt_i16_e32 vcc_lo, 0, v1
	s_mov_b32 s6, 0
	s_cbranch_vccz .LBB151_1443
; %bb.1442:
	global_load_u8 v7, v[5:6], off
	s_branch .LBB151_1444
.LBB151_1443:
	s_mov_b32 s6, -1
                                        ; implicit-def: $vgpr7
.LBB151_1444:
	s_delay_alu instid0(SALU_CYCLE_1)
	s_and_not1_b32 vcc_lo, exec_lo, s6
	s_cbranch_vccnz .LBB151_1446
; %bb.1445:
	global_load_u8 v7, v[5:6], off
.LBB151_1446:
	s_or_b32 s7, s7, exec_lo
.LBB151_1447:
	s_or_b32 exec_lo, exec_lo, s2
	s_mov_b32 s2, 0
	s_mov_b32 s8, 0
                                        ; implicit-def: $vgpr8
                                        ; implicit-def: $vgpr5_vgpr6
                                        ; implicit-def: $vgpr0_vgpr1
	s_and_saveexec_b32 s6, s7
	s_cbranch_execz .LBB151_1524
; %bb.1448:
	s_waitcnt vmcnt(0)
	s_delay_alu instid0(VALU_DEP_1) | instskip(SKIP_2) | instid1(VALU_DEP_1)
	v_and_b32_e32 v0, 0xff, v7
	v_and_b32_e64 v8, 0xff, s31
	v_add_co_u32 v5, s2, s4, v2
	v_add_co_ci_u32_e64 v6, null, s5, 0, s2
	s_delay_alu instid0(VALU_DEP_4) | instskip(NEXT) | instid1(VALU_DEP_4)
	v_and_b32_e32 v0, 0xffff, v0
	v_cmp_gt_i16_e32 vcc_lo, 11, v8
	s_mov_b32 s7, 0
	s_mov_b32 s4, -1
	s_mov_b32 s2, s39
	v_cvt_f64_u32_e32 v[0:1], v0
	s_delay_alu instid0(VALU_DEP_1) | instskip(NEXT) | instid1(VALU_DEP_1)
	v_mul_f64 v[0:1], v[3:4], v[0:1]
	v_mul_f64 v[0:1], s[10:11], v[0:1]
	s_cbranch_vccnz .LBB151_1523
; %bb.1449:
	v_cmp_lt_i16_e32 vcc_lo, 25, v8
	s_mov_b32 s2, s39
	s_cbranch_vccz .LBB151_1482
; %bb.1450:
	v_cmp_lt_i16_e32 vcc_lo, 28, v8
	s_mov_b32 s2, s39
	s_cbranch_vccz .LBB151_1466
	;; [unrolled: 4-line block ×4, first 2 shown]
; %bb.1453:
	v_cmp_eq_u16_e32 vcc_lo, 46, v8
	s_mov_b32 s2, -1
	s_cbranch_vccz .LBB151_1455
; %bb.1454:
	v_cvt_f32_f64_e32 v2, v[0:1]
	s_mov_b32 s2, 0
	s_delay_alu instid0(VALU_DEP_1) | instskip(SKIP_1) | instid1(VALU_DEP_2)
	v_bfe_u32 v3, v2, 16, 1
	v_cmp_o_f32_e32 vcc_lo, v2, v2
	v_add3_u32 v3, v2, v3, 0x7fff
	s_delay_alu instid0(VALU_DEP_1) | instskip(NEXT) | instid1(VALU_DEP_1)
	v_lshrrev_b32_e32 v3, 16, v3
	v_cndmask_b32_e32 v2, 0x7fc0, v3, vcc_lo
	global_store_b32 v[5:6], v2, off
.LBB151_1455:
	s_mov_b32 s4, 0
.LBB151_1456:
	s_delay_alu instid0(SALU_CYCLE_1)
	s_and_b32 vcc_lo, exec_lo, s4
	s_cbranch_vccz .LBB151_1461
; %bb.1457:
	v_cmp_eq_u16_e32 vcc_lo, 44, v8
	s_mov_b32 s2, -1
	s_cbranch_vccz .LBB151_1461
; %bb.1458:
	v_cvt_f32_f64_e32 v2, v[0:1]
	v_mov_b32_e32 v3, 0xff
	s_mov_b32 s4, exec_lo
	s_delay_alu instid0(VALU_DEP_2) | instskip(NEXT) | instid1(VALU_DEP_1)
	v_bfe_u32 v4, v2, 23, 8
	v_cmpx_ne_u32_e32 0xff, v4
; %bb.1459:
	v_and_b32_e32 v3, 0x400000, v2
	v_and_or_b32 v4, 0x3fffff, v2, v4
	v_lshrrev_b32_e32 v2, 23, v2
	s_delay_alu instid0(VALU_DEP_3) | instskip(NEXT) | instid1(VALU_DEP_3)
	v_cmp_ne_u32_e32 vcc_lo, 0, v3
	v_cmp_ne_u32_e64 s2, 0, v4
	s_delay_alu instid0(VALU_DEP_1) | instskip(NEXT) | instid1(SALU_CYCLE_1)
	s_and_b32 s2, vcc_lo, s2
	v_cndmask_b32_e64 v3, 0, 1, s2
	s_delay_alu instid0(VALU_DEP_1)
	v_add_nc_u32_e32 v3, v2, v3
; %bb.1460:
	s_or_b32 exec_lo, exec_lo, s4
	s_mov_b32 s2, 0
	global_store_b8 v[5:6], v3, off
.LBB151_1461:
	s_mov_b32 s4, 0
.LBB151_1462:
	s_delay_alu instid0(SALU_CYCLE_1)
	s_and_b32 vcc_lo, exec_lo, s4
	s_cbranch_vccz .LBB151_1465
; %bb.1463:
	v_cmp_eq_u16_e32 vcc_lo, 29, v8
	s_mov_b32 s2, -1
	s_cbranch_vccz .LBB151_1465
; %bb.1464:
	v_trunc_f64_e32 v[2:3], v[0:1]
	s_mov_b32 s2, 0
	s_delay_alu instid0(VALU_DEP_1) | instskip(NEXT) | instid1(VALU_DEP_1)
	v_ldexp_f64 v[9:10], v[2:3], 0xffffffe0
	v_floor_f64_e32 v[9:10], v[9:10]
	s_delay_alu instid0(VALU_DEP_1) | instskip(SKIP_1) | instid1(VALU_DEP_2)
	v_fma_f64 v[2:3], 0xc1f00000, v[9:10], v[2:3]
	v_cvt_u32_f64_e32 v4, v[9:10]
	v_cvt_u32_f64_e32 v3, v[2:3]
	global_store_b64 v[5:6], v[3:4], off
.LBB151_1465:
	s_mov_b32 s4, 0
.LBB151_1466:
	s_delay_alu instid0(SALU_CYCLE_1)
	s_and_b32 vcc_lo, exec_lo, s4
	s_cbranch_vccz .LBB151_1481
; %bb.1467:
	v_cmp_gt_i16_e32 vcc_lo, 27, v8
	s_mov_b32 s4, -1
	s_cbranch_vccnz .LBB151_1473
; %bb.1468:
	s_delay_alu instid0(VALU_DEP_4)
	v_cvt_u32_f64_e32 v2, v[0:1]
	v_cmp_lt_i16_e32 vcc_lo, 27, v8
	s_cbranch_vccz .LBB151_1470
; %bb.1469:
	s_mov_b32 s4, 0
	global_store_b32 v[5:6], v2, off
.LBB151_1470:
	s_and_not1_b32 vcc_lo, exec_lo, s4
	s_cbranch_vccnz .LBB151_1472
; %bb.1471:
	global_store_b16 v[5:6], v2, off
.LBB151_1472:
	s_mov_b32 s4, 0
.LBB151_1473:
	s_delay_alu instid0(SALU_CYCLE_1)
	s_and_not1_b32 vcc_lo, exec_lo, s4
	s_cbranch_vccnz .LBB151_1481
; %bb.1474:
	s_delay_alu instid0(VALU_DEP_4) | instskip(SKIP_2) | instid1(VALU_DEP_2)
	v_cvt_f32_f64_e32 v2, v[0:1]
	v_mov_b32_e32 v4, 0x80
	s_mov_b32 s4, exec_lo
	v_and_b32_e32 v3, 0x7fffffff, v2
	s_delay_alu instid0(VALU_DEP_1)
	v_cmpx_gt_u32_e32 0x43800000, v3
	s_cbranch_execz .LBB151_1480
; %bb.1475:
	v_cmp_lt_u32_e32 vcc_lo, 0x3bffffff, v3
	s_mov_b32 s5, 0
                                        ; implicit-def: $vgpr3
	s_and_saveexec_b32 s7, vcc_lo
	s_delay_alu instid0(SALU_CYCLE_1)
	s_xor_b32 s7, exec_lo, s7
	s_cbranch_execz .LBB151_1758
; %bb.1476:
	v_bfe_u32 v3, v2, 20, 1
	s_mov_b32 s5, exec_lo
	s_delay_alu instid0(VALU_DEP_1) | instskip(NEXT) | instid1(VALU_DEP_1)
	v_add3_u32 v3, v2, v3, 0x487ffff
	v_lshrrev_b32_e32 v3, 20, v3
	s_or_saveexec_b32 s7, s7
                                        ; implicit-def: $sgpr8
	s_delay_alu instid0(SALU_CYCLE_1)
	s_xor_b32 exec_lo, exec_lo, s7
	s_cbranch_execnz .LBB151_1759
.LBB151_1477:
	s_or_b32 exec_lo, exec_lo, s7
	v_mov_b32_e32 v4, s8
	s_and_saveexec_b32 s7, s5
.LBB151_1478:
	v_lshrrev_b32_e32 v2, 24, v2
	s_delay_alu instid0(VALU_DEP_1)
	v_and_or_b32 v4, 0x80, v2, v3
.LBB151_1479:
	s_or_b32 exec_lo, exec_lo, s7
.LBB151_1480:
	s_delay_alu instid0(SALU_CYCLE_1)
	s_or_b32 exec_lo, exec_lo, s4
	global_store_b8 v[5:6], v4, off
.LBB151_1481:
	s_mov_b32 s4, 0
.LBB151_1482:
	s_delay_alu instid0(SALU_CYCLE_1)
	s_and_b32 vcc_lo, exec_lo, s4
	s_mov_b32 s4, 0
	s_cbranch_vccz .LBB151_1522
; %bb.1483:
	v_cmp_lt_i16_e32 vcc_lo, 22, v8
	s_mov_b32 s5, -1
	s_cbranch_vccz .LBB151_1515
; %bb.1484:
	v_cmp_gt_i16_e32 vcc_lo, 24, v8
	s_cbranch_vccnz .LBB151_1504
; %bb.1485:
	v_cmp_lt_i16_e32 vcc_lo, 24, v8
	s_cbranch_vccz .LBB151_1493
; %bb.1486:
	v_cvt_f32_f64_e32 v2, v[0:1]
	v_mov_b32_e32 v4, 0x80
	s_mov_b32 s5, exec_lo
	s_delay_alu instid0(VALU_DEP_2) | instskip(NEXT) | instid1(VALU_DEP_1)
	v_and_b32_e32 v3, 0x7fffffff, v2
	v_cmpx_gt_u32_e32 0x47800000, v3
	s_cbranch_execz .LBB151_1492
; %bb.1487:
	v_cmp_lt_u32_e32 vcc_lo, 0x37ffffff, v3
	s_mov_b32 s7, 0
                                        ; implicit-def: $vgpr3
	s_and_saveexec_b32 s8, vcc_lo
	s_delay_alu instid0(SALU_CYCLE_1)
	s_xor_b32 s8, exec_lo, s8
	s_cbranch_execz .LBB151_1886
; %bb.1488:
	v_bfe_u32 v3, v2, 21, 1
	s_mov_b32 s7, exec_lo
	s_delay_alu instid0(VALU_DEP_1) | instskip(NEXT) | instid1(VALU_DEP_1)
	v_add3_u32 v3, v2, v3, 0x88fffff
	v_lshrrev_b32_e32 v3, 21, v3
	s_or_saveexec_b32 s8, s8
                                        ; implicit-def: $sgpr9
	s_delay_alu instid0(SALU_CYCLE_1)
	s_xor_b32 exec_lo, exec_lo, s8
	s_cbranch_execnz .LBB151_1887
.LBB151_1489:
	s_or_b32 exec_lo, exec_lo, s8
	v_mov_b32_e32 v4, s9
	s_and_saveexec_b32 s8, s7
.LBB151_1490:
	v_lshrrev_b32_e32 v2, 24, v2
	s_delay_alu instid0(VALU_DEP_1)
	v_and_or_b32 v4, 0x80, v2, v3
.LBB151_1491:
	s_or_b32 exec_lo, exec_lo, s8
.LBB151_1492:
	s_delay_alu instid0(SALU_CYCLE_1)
	s_or_b32 exec_lo, exec_lo, s5
	s_mov_b32 s5, 0
	global_store_b8 v[5:6], v4, off
.LBB151_1493:
	s_and_b32 vcc_lo, exec_lo, s5
	s_cbranch_vccz .LBB151_1503
; %bb.1494:
	v_cvt_f32_f64_e32 v2, v[0:1]
	s_mov_b32 s5, exec_lo
                                        ; implicit-def: $vgpr3
	s_delay_alu instid0(VALU_DEP_1) | instskip(NEXT) | instid1(VALU_DEP_1)
	v_and_b32_e32 v4, 0x7fffffff, v2
	v_cmpx_gt_u32_e32 0x43f00000, v4
	s_xor_b32 s5, exec_lo, s5
	s_cbranch_execz .LBB151_1500
; %bb.1495:
	s_mov_b32 s7, exec_lo
                                        ; implicit-def: $vgpr3
	v_cmpx_lt_u32_e32 0x3c7fffff, v4
	s_xor_b32 s7, exec_lo, s7
; %bb.1496:
	v_bfe_u32 v3, v2, 20, 1
	s_delay_alu instid0(VALU_DEP_1) | instskip(NEXT) | instid1(VALU_DEP_1)
	v_add3_u32 v3, v2, v3, 0x407ffff
	v_and_b32_e32 v4, 0xff00000, v3
	v_lshrrev_b32_e32 v3, 20, v3
	s_delay_alu instid0(VALU_DEP_2) | instskip(NEXT) | instid1(VALU_DEP_2)
	v_cmp_ne_u32_e32 vcc_lo, 0x7f00000, v4
	v_cndmask_b32_e32 v3, 0x7e, v3, vcc_lo
; %bb.1497:
	s_and_not1_saveexec_b32 s7, s7
; %bb.1498:
	v_add_f32_e64 v3, 0x46800000, |v2|
; %bb.1499:
	s_or_b32 exec_lo, exec_lo, s7
                                        ; implicit-def: $vgpr4
.LBB151_1500:
	s_and_not1_saveexec_b32 s5, s5
; %bb.1501:
	v_mov_b32_e32 v3, 0x7f
	v_cmp_lt_u32_e32 vcc_lo, 0x7f800000, v4
	s_delay_alu instid0(VALU_DEP_2)
	v_cndmask_b32_e32 v3, 0x7e, v3, vcc_lo
; %bb.1502:
	s_or_b32 exec_lo, exec_lo, s5
	v_lshrrev_b32_e32 v2, 24, v2
	s_delay_alu instid0(VALU_DEP_1)
	v_and_or_b32 v2, 0x80, v2, v3
	global_store_b8 v[5:6], v2, off
.LBB151_1503:
	s_mov_b32 s5, 0
.LBB151_1504:
	s_delay_alu instid0(SALU_CYCLE_1)
	s_and_not1_b32 vcc_lo, exec_lo, s5
	s_cbranch_vccnz .LBB151_1514
; %bb.1505:
	s_delay_alu instid0(VALU_DEP_4) | instskip(SKIP_1) | instid1(VALU_DEP_1)
	v_cvt_f32_f64_e32 v2, v[0:1]
	s_mov_b32 s5, exec_lo
                                        ; implicit-def: $vgpr3
	v_and_b32_e32 v4, 0x7fffffff, v2
	s_delay_alu instid0(VALU_DEP_1)
	v_cmpx_gt_u32_e32 0x47800000, v4
	s_xor_b32 s5, exec_lo, s5
	s_cbranch_execz .LBB151_1511
; %bb.1506:
	s_mov_b32 s7, exec_lo
                                        ; implicit-def: $vgpr3
	v_cmpx_lt_u32_e32 0x387fffff, v4
	s_xor_b32 s7, exec_lo, s7
; %bb.1507:
	v_bfe_u32 v3, v2, 21, 1
	s_delay_alu instid0(VALU_DEP_1) | instskip(NEXT) | instid1(VALU_DEP_1)
	v_add3_u32 v3, v2, v3, 0x80fffff
	v_lshrrev_b32_e32 v3, 21, v3
; %bb.1508:
	s_and_not1_saveexec_b32 s7, s7
; %bb.1509:
	v_add_f32_e64 v3, 0x43000000, |v2|
; %bb.1510:
	s_or_b32 exec_lo, exec_lo, s7
                                        ; implicit-def: $vgpr4
.LBB151_1511:
	s_and_not1_saveexec_b32 s5, s5
; %bb.1512:
	v_mov_b32_e32 v3, 0x7f
	v_cmp_lt_u32_e32 vcc_lo, 0x7f800000, v4
	s_delay_alu instid0(VALU_DEP_2)
	v_cndmask_b32_e32 v3, 0x7c, v3, vcc_lo
; %bb.1513:
	s_or_b32 exec_lo, exec_lo, s5
	v_lshrrev_b32_e32 v2, 24, v2
	s_delay_alu instid0(VALU_DEP_1)
	v_and_or_b32 v2, 0x80, v2, v3
	global_store_b8 v[5:6], v2, off
.LBB151_1514:
	s_mov_b32 s5, 0
.LBB151_1515:
	s_delay_alu instid0(SALU_CYCLE_1)
	s_and_not1_b32 vcc_lo, exec_lo, s5
	s_mov_b32 s7, 0
	s_cbranch_vccnz .LBB151_1523
; %bb.1516:
	v_cmp_lt_i16_e32 vcc_lo, 14, v8
	s_mov_b32 s5, -1
	s_cbranch_vccz .LBB151_1520
; %bb.1517:
	v_cmp_eq_u16_e32 vcc_lo, 15, v8
	s_mov_b32 s2, -1
	s_cbranch_vccz .LBB151_1519
; %bb.1518:
	v_cvt_f32_f64_e32 v2, v[0:1]
	s_mov_b32 s2, 0
	s_delay_alu instid0(VALU_DEP_1) | instskip(SKIP_1) | instid1(VALU_DEP_2)
	v_bfe_u32 v3, v2, 16, 1
	v_cmp_o_f32_e32 vcc_lo, v2, v2
	v_add3_u32 v3, v2, v3, 0x7fff
	s_delay_alu instid0(VALU_DEP_1) | instskip(NEXT) | instid1(VALU_DEP_1)
	v_lshrrev_b32_e32 v3, 16, v3
	v_cndmask_b32_e32 v2, 0x7fc0, v3, vcc_lo
	global_store_b16 v[5:6], v2, off
.LBB151_1519:
	s_mov_b32 s5, 0
.LBB151_1520:
	s_delay_alu instid0(SALU_CYCLE_1)
	s_and_b32 vcc_lo, exec_lo, s5
	s_cbranch_vccz .LBB151_1523
; %bb.1521:
	v_cmp_ne_u16_e32 vcc_lo, 11, v8
	s_and_not1_b32 s2, s2, exec_lo
	s_mov_b32 s7, -1
	s_and_b32 s5, vcc_lo, exec_lo
	s_delay_alu instid0(SALU_CYCLE_1)
	s_or_b32 s2, s2, s5
	s_branch .LBB151_1523
.LBB151_1522:
	s_mov_b32 s7, 0
.LBB151_1523:
	s_and_b32 s8, s4, exec_lo
	s_and_not1_b32 s4, s39, exec_lo
	s_and_b32 s5, s2, exec_lo
	s_and_b32 s2, s7, exec_lo
	s_or_b32 s39, s4, s5
.LBB151_1524:
	s_or_b32 exec_lo, exec_lo, s6
	s_and_saveexec_b32 s4, s39
	s_cbranch_execnz .LBB151_1626
; %bb.1525:
	s_or_b32 exec_lo, exec_lo, s4
	s_and_saveexec_b32 s4, s2
	s_delay_alu instid0(SALU_CYCLE_1)
	s_xor_b32 s2, exec_lo, s4
	s_cbranch_execz .LBB151_1527
.LBB151_1526:
	s_waitcnt vmcnt(0)
	s_delay_alu instid0(VALU_DEP_1)
	v_cmp_neq_f64_e32 vcc_lo, 0, v[0:1]
	v_cndmask_b32_e64 v2, 0, 1, vcc_lo
	global_store_b8 v[5:6], v2, off
.LBB151_1527:
	s_or_b32 exec_lo, exec_lo, s2
	s_and_saveexec_b32 s2, s8
	s_delay_alu instid0(SALU_CYCLE_1)
	s_xor_b32 s2, exec_lo, s2
	s_cbranch_execz .LBB151_1565
; %bb.1528:
	s_waitcnt vmcnt(0)
	v_cmp_gt_i16_e32 vcc_lo, 5, v8
	s_mov_b32 s4, -1
	s_cbranch_vccnz .LBB151_1549
; %bb.1529:
	v_cmp_gt_i16_e32 vcc_lo, 8, v8
	s_cbranch_vccnz .LBB151_1539
; %bb.1530:
	v_cmp_gt_i16_e32 vcc_lo, 9, v8
	s_cbranch_vccnz .LBB151_1536
; %bb.1531:
	v_cmp_lt_i16_e32 vcc_lo, 9, v8
	s_cbranch_vccz .LBB151_1533
; %bb.1532:
	v_mov_b32_e32 v2, 0
	s_mov_b32 s4, 0
	s_delay_alu instid0(VALU_DEP_1)
	v_mov_b32_e32 v3, v2
	global_store_b128 v[5:6], v[0:3], off
.LBB151_1533:
	s_and_not1_b32 vcc_lo, exec_lo, s4
	s_cbranch_vccnz .LBB151_1535
; %bb.1534:
	v_cvt_f32_f64_e32 v2, v[0:1]
	v_mov_b32_e32 v3, 0
	global_store_b64 v[5:6], v[2:3], off
.LBB151_1535:
	s_mov_b32 s4, 0
.LBB151_1536:
	s_delay_alu instid0(SALU_CYCLE_1)
	s_and_not1_b32 vcc_lo, exec_lo, s4
	s_cbranch_vccnz .LBB151_1538
; %bb.1537:
	s_delay_alu instid0(VALU_DEP_4) | instskip(NEXT) | instid1(VALU_DEP_1)
	v_cvt_f32_f64_e32 v2, v[0:1]
	v_cvt_f16_f32_e32 v2, v2
	s_delay_alu instid0(VALU_DEP_1)
	v_and_b32_e32 v2, 0xffff, v2
	global_store_b32 v[5:6], v2, off
.LBB151_1538:
	s_mov_b32 s4, 0
.LBB151_1539:
	s_delay_alu instid0(SALU_CYCLE_1)
	s_and_not1_b32 vcc_lo, exec_lo, s4
	s_cbranch_vccnz .LBB151_1548
; %bb.1540:
	v_cmp_gt_i16_e32 vcc_lo, 6, v8
	s_mov_b32 s4, -1
	s_cbranch_vccnz .LBB151_1546
; %bb.1541:
	v_cmp_lt_i16_e32 vcc_lo, 6, v8
	s_cbranch_vccz .LBB151_1543
; %bb.1542:
	s_mov_b32 s4, 0
	global_store_b64 v[5:6], v[0:1], off
.LBB151_1543:
	s_and_not1_b32 vcc_lo, exec_lo, s4
	s_cbranch_vccnz .LBB151_1545
; %bb.1544:
	v_cvt_f32_f64_e32 v2, v[0:1]
	global_store_b32 v[5:6], v2, off
.LBB151_1545:
	s_mov_b32 s4, 0
.LBB151_1546:
	s_delay_alu instid0(SALU_CYCLE_1)
	s_and_not1_b32 vcc_lo, exec_lo, s4
	s_cbranch_vccnz .LBB151_1548
; %bb.1547:
	s_delay_alu instid0(VALU_DEP_4) | instskip(NEXT) | instid1(VALU_DEP_1)
	v_cvt_f32_f64_e32 v2, v[0:1]
	v_cvt_f16_f32_e32 v2, v2
	global_store_b16 v[5:6], v2, off
.LBB151_1548:
	s_mov_b32 s4, 0
.LBB151_1549:
	s_delay_alu instid0(SALU_CYCLE_1)
	s_and_not1_b32 vcc_lo, exec_lo, s4
	s_cbranch_vccnz .LBB151_1565
; %bb.1550:
	v_cmp_gt_i16_e32 vcc_lo, 2, v8
	s_mov_b32 s4, -1
	s_cbranch_vccnz .LBB151_1560
; %bb.1551:
	v_cmp_gt_i16_e32 vcc_lo, 3, v8
	s_cbranch_vccnz .LBB151_1557
; %bb.1552:
	v_cmp_lt_i16_e32 vcc_lo, 3, v8
	s_cbranch_vccz .LBB151_1554
; %bb.1553:
	v_trunc_f64_e32 v[2:3], v[0:1]
	s_mov_b32 s4, 0
	s_delay_alu instid0(VALU_DEP_1) | instskip(NEXT) | instid1(VALU_DEP_1)
	v_ldexp_f64 v[9:10], v[2:3], 0xffffffe0
	v_floor_f64_e32 v[9:10], v[9:10]
	s_delay_alu instid0(VALU_DEP_1) | instskip(SKIP_1) | instid1(VALU_DEP_2)
	v_fma_f64 v[2:3], 0xc1f00000, v[9:10], v[2:3]
	v_cvt_i32_f64_e32 v4, v[9:10]
	v_cvt_u32_f64_e32 v3, v[2:3]
	global_store_b64 v[5:6], v[3:4], off
.LBB151_1554:
	s_and_not1_b32 vcc_lo, exec_lo, s4
	s_cbranch_vccnz .LBB151_1556
; %bb.1555:
	v_cvt_i32_f64_e32 v2, v[0:1]
	global_store_b32 v[5:6], v2, off
.LBB151_1556:
	s_mov_b32 s4, 0
.LBB151_1557:
	s_delay_alu instid0(SALU_CYCLE_1)
	s_and_not1_b32 vcc_lo, exec_lo, s4
	s_cbranch_vccnz .LBB151_1559
; %bb.1558:
	s_delay_alu instid0(VALU_DEP_4)
	v_cvt_i32_f64_e32 v2, v[0:1]
	global_store_b16 v[5:6], v2, off
.LBB151_1559:
	s_mov_b32 s4, 0
.LBB151_1560:
	s_delay_alu instid0(SALU_CYCLE_1)
	s_and_not1_b32 vcc_lo, exec_lo, s4
	s_cbranch_vccnz .LBB151_1565
; %bb.1561:
	v_cmp_lt_i16_e32 vcc_lo, 0, v8
	s_mov_b32 s4, -1
	s_cbranch_vccz .LBB151_1563
; %bb.1562:
	s_delay_alu instid0(VALU_DEP_4)
	v_cvt_i32_f64_e32 v2, v[0:1]
	s_mov_b32 s4, 0
	global_store_b8 v[5:6], v2, off
.LBB151_1563:
	s_and_not1_b32 vcc_lo, exec_lo, s4
	s_cbranch_vccnz .LBB151_1565
; %bb.1564:
	s_delay_alu instid0(VALU_DEP_4) | instskip(NEXT) | instid1(VALU_DEP_1)
	v_trunc_f64_e32 v[0:1], v[0:1]
	v_ldexp_f64 v[2:3], v[0:1], 0xffffffe0
	s_delay_alu instid0(VALU_DEP_1) | instskip(NEXT) | instid1(VALU_DEP_1)
	v_floor_f64_e32 v[2:3], v[2:3]
	v_fma_f64 v[0:1], 0xc1f00000, v[2:3], v[0:1]
	s_delay_alu instid0(VALU_DEP_1)
	v_cvt_u32_f64_e32 v0, v[0:1]
	global_store_b8 v[5:6], v0, off
.LBB151_1565:
	s_or_b32 exec_lo, exec_lo, s2
	s_delay_alu instid0(SALU_CYCLE_1)
	s_and_b32 s8, s3, exec_lo
                                        ; implicit-def: $vgpr12
                                        ; implicit-def: $vgpr8
.LBB151_1566:
	s_or_saveexec_b32 s9, s30
	s_mov_b32 s2, 0
                                        ; implicit-def: $vgpr4_vgpr5
                                        ; implicit-def: $sgpr6
                                        ; implicit-def: $vgpr0_vgpr1
	s_xor_b32 exec_lo, exec_lo, s9
	s_cbranch_execz .LBB151_3051
; %bb.1567:
	s_waitcnt vmcnt(0)
	v_cndmask_b32_e64 v1, 0, 1, s29
	s_and_not1_b32 vcc_lo, exec_lo, s29
	s_cbranch_vccnz .LBB151_1573
; %bb.1568:
	v_dual_mov_b32 v2, 0 :: v_dual_mov_b32 v7, 0
	v_mov_b32_e32 v0, 0
	s_cmp_lg_u32 s26, 0
	s_mov_b32 s4, 0
	s_cbranch_scc0 .LBB151_1574
; %bb.1569:
	s_min_u32 s5, s27, 15
	v_dual_mov_b32 v7, 0 :: v_dual_mov_b32 v0, 0
	s_add_i32 s2, s5, 1
	v_dual_mov_b32 v2, 0 :: v_dual_mov_b32 v3, v8
	s_and_b32 s6, s2, 30
	s_add_u32 s2, s20, 0xffffffec
	s_addc_u32 s3, s21, -1
	s_set_inst_prefetch_distance 0x1
	.p2align	6
.LBB151_1570:                           ; =>This Inner Loop Header: Depth=1
	s_clause 0x2
	s_load_b128 s[12:15], s[2:3], 0x18
	s_load_b64 s[10:11], s[2:3], 0x28
	s_load_b128 s[16:19], s[2:3], 0xd8
	s_waitcnt lgkmcnt(0)
	v_mul_hi_u32 v4, s13, v3
	s_delay_alu instid0(VALU_DEP_1) | instskip(NEXT) | instid1(VALU_DEP_1)
	v_add_nc_u32_e32 v4, v3, v4
	v_lshrrev_b32_e32 v4, s14, v4
	s_delay_alu instid0(VALU_DEP_1)
	v_mul_hi_u32 v5, s10, v4
	v_mul_lo_u32 v6, v4, s12
	s_load_b64 s[12:13], s[2:3], 0xe8
	s_add_u32 s2, s2, 24
	s_addc_u32 s3, s3, 0
	s_add_i32 s6, s6, -2
	s_delay_alu instid0(SALU_CYCLE_1) | instskip(NEXT) | instid1(VALU_DEP_2)
	s_cmp_lg_u32 s6, 0
	v_add_nc_u32_e32 v5, v4, v5
	s_delay_alu instid0(VALU_DEP_2) | instskip(NEXT) | instid1(VALU_DEP_2)
	v_sub_nc_u32_e32 v6, v3, v6
	v_lshrrev_b32_e32 v3, s11, v5
	s_delay_alu instid0(VALU_DEP_2) | instskip(NEXT) | instid1(VALU_DEP_2)
	v_mul_lo_u32 v9, v6, s16
	v_mul_lo_u32 v5, v3, s15
	s_delay_alu instid0(VALU_DEP_1) | instskip(SKIP_2) | instid1(VALU_DEP_3)
	v_sub_nc_u32_e32 v4, v4, v5
	v_mul_lo_u32 v5, v6, s17
	v_mul_lo_u32 v6, v6, s18
	;; [unrolled: 1-line block ×3, first 2 shown]
	s_waitcnt lgkmcnt(0)
	v_mul_lo_u32 v11, v4, s12
	v_mul_lo_u32 v4, v4, s13
	s_delay_alu instid0(VALU_DEP_3) | instskip(NEXT) | instid1(VALU_DEP_3)
	v_add3_u32 v2, v9, v2, v10
	v_add3_u32 v0, v5, v0, v11
	s_delay_alu instid0(VALU_DEP_3)
	v_add3_u32 v7, v6, v7, v4
	s_cbranch_scc1 .LBB151_1570
; %bb.1571:
	s_set_inst_prefetch_distance 0x2
	s_bitcmp1_b32 s5, 0
	s_cselect_b32 s5, -1, 0
	s_delay_alu instid0(SALU_CYCLE_1)
	s_and_b32 vcc_lo, exec_lo, s5
	s_cbranch_vccnz .LBB151_1574
; %bb.1572:
	s_clause 0x3
	s_load_b64 s[6:7], s[2:3], 0x18
	s_load_b32 s5, s[2:3], 0x20
	s_load_b64 s[10:11], s[2:3], 0xd8
	s_load_b32 s2, s[2:3], 0xe0
	s_waitcnt lgkmcnt(0)
	v_mul_hi_u32 v4, s7, v3
	s_delay_alu instid0(VALU_DEP_1) | instskip(NEXT) | instid1(VALU_DEP_1)
	v_add_nc_u32_e32 v4, v3, v4
	v_lshrrev_b32_e32 v4, s5, v4
	s_delay_alu instid0(VALU_DEP_1) | instskip(NEXT) | instid1(VALU_DEP_1)
	v_mul_lo_u32 v4, v4, s6
	v_sub_nc_u32_e32 v9, v3, v4
	s_delay_alu instid0(VALU_DEP_1) | instskip(SKIP_2) | instid1(VALU_DEP_3)
	v_mad_u64_u32 v[3:4], null, v9, s10, v[2:3]
	v_mad_u64_u32 v[4:5], null, v9, s11, v[0:1]
	;; [unrolled: 1-line block ×3, first 2 shown]
	v_mov_b32_e32 v2, v3
	s_delay_alu instid0(VALU_DEP_2)
	v_dual_mov_b32 v0, v4 :: v_dual_mov_b32 v7, v5
	s_branch .LBB151_1574
.LBB151_1573:
	s_mov_b32 s4, -1
                                        ; implicit-def: $vgpr2
                                        ; implicit-def: $vgpr0
                                        ; implicit-def: $vgpr7
.LBB151_1574:
	s_delay_alu instid0(SALU_CYCLE_1)
	s_and_not1_b32 vcc_lo, exec_lo, s4
	s_cbranch_vccnz .LBB151_1577
; %bb.1575:
	s_clause 0x1
	s_load_b128 s[4:7], s[20:21], 0x4
	s_load_b128 s[12:15], s[20:21], 0xc4
	s_cmp_lt_u32 s26, 2
	s_waitcnt lgkmcnt(0)
	v_mul_hi_u32 v0, s5, v8
	s_delay_alu instid0(VALU_DEP_1) | instskip(NEXT) | instid1(VALU_DEP_1)
	v_add_nc_u32_e32 v0, v8, v0
	v_lshrrev_b32_e32 v3, s6, v0
	s_delay_alu instid0(VALU_DEP_1) | instskip(NEXT) | instid1(VALU_DEP_1)
	v_mul_lo_u32 v0, v3, s4
	v_sub_nc_u32_e32 v4, v8, v0
	s_delay_alu instid0(VALU_DEP_1)
	v_mul_lo_u32 v2, v4, s12
	v_mul_lo_u32 v0, v4, s13
	;; [unrolled: 1-line block ×3, first 2 shown]
	s_cbranch_scc1 .LBB151_1577
; %bb.1576:
	s_clause 0x1
	s_load_b128 s[4:7], s[20:21], 0x10
	s_load_b128 s[12:15], s[20:21], 0xd0
	s_waitcnt lgkmcnt(0)
	v_mul_hi_u32 v4, s5, v3
	s_delay_alu instid0(VALU_DEP_1) | instskip(NEXT) | instid1(VALU_DEP_1)
	v_add_nc_u32_e32 v4, v3, v4
	v_lshrrev_b32_e32 v4, s6, v4
	s_delay_alu instid0(VALU_DEP_1) | instskip(NEXT) | instid1(VALU_DEP_1)
	v_mul_lo_u32 v4, v4, s4
	v_sub_nc_u32_e32 v9, v3, v4
	s_delay_alu instid0(VALU_DEP_1) | instskip(SKIP_2) | instid1(VALU_DEP_3)
	v_mad_u64_u32 v[3:4], null, v9, s12, v[2:3]
	v_mad_u64_u32 v[4:5], null, v9, s13, v[0:1]
	;; [unrolled: 1-line block ×3, first 2 shown]
	v_mov_b32_e32 v2, v3
	s_delay_alu instid0(VALU_DEP_2)
	v_dual_mov_b32 v0, v4 :: v_dual_mov_b32 v7, v5
.LBB151_1577:
	v_cmp_ne_u32_e32 vcc_lo, 1, v1
	v_add_nc_u32_e32 v3, 0x80, v8
	s_cbranch_vccnz .LBB151_1583
; %bb.1578:
	v_dual_mov_b32 v6, 0 :: v_dual_mov_b32 v9, 0
	v_mov_b32_e32 v11, 0
	s_cmp_lg_u32 s26, 0
	s_mov_b32 s4, 0
	s_cbranch_scc0 .LBB151_1584
; %bb.1579:
	s_min_u32 s5, s27, 15
	v_dual_mov_b32 v11, 0 :: v_dual_mov_b32 v6, 0
	s_add_i32 s2, s5, 1
	v_dual_mov_b32 v9, 0 :: v_dual_mov_b32 v4, v3
	s_and_b32 s6, s2, 30
	s_add_u32 s2, s20, 0xffffffec
	s_addc_u32 s3, s21, -1
	s_set_inst_prefetch_distance 0x1
	.p2align	6
.LBB151_1580:                           ; =>This Inner Loop Header: Depth=1
	s_clause 0x2
	s_load_b128 s[12:15], s[2:3], 0x18
	s_load_b64 s[10:11], s[2:3], 0x28
	s_load_b128 s[16:19], s[2:3], 0xd8
	s_waitcnt lgkmcnt(0)
	v_mul_hi_u32 v5, s13, v4
	s_delay_alu instid0(VALU_DEP_1) | instskip(NEXT) | instid1(VALU_DEP_1)
	v_add_nc_u32_e32 v5, v4, v5
	v_lshrrev_b32_e32 v5, s14, v5
	s_delay_alu instid0(VALU_DEP_1)
	v_mul_hi_u32 v10, s10, v5
	v_mul_lo_u32 v13, v5, s12
	s_load_b64 s[12:13], s[2:3], 0xe8
	s_add_u32 s2, s2, 24
	s_addc_u32 s3, s3, 0
	s_add_i32 s6, s6, -2
	s_delay_alu instid0(SALU_CYCLE_1) | instskip(NEXT) | instid1(VALU_DEP_2)
	s_cmp_lg_u32 s6, 0
	v_add_nc_u32_e32 v10, v5, v10
	s_delay_alu instid0(VALU_DEP_2) | instskip(NEXT) | instid1(VALU_DEP_2)
	v_sub_nc_u32_e32 v13, v4, v13
	v_lshrrev_b32_e32 v4, s11, v10
	s_delay_alu instid0(VALU_DEP_2) | instskip(NEXT) | instid1(VALU_DEP_2)
	v_mul_lo_u32 v14, v13, s16
	v_mul_lo_u32 v10, v4, s15
	s_delay_alu instid0(VALU_DEP_1) | instskip(SKIP_2) | instid1(VALU_DEP_3)
	v_sub_nc_u32_e32 v5, v5, v10
	v_mul_lo_u32 v10, v13, s17
	v_mul_lo_u32 v13, v13, s18
	;; [unrolled: 1-line block ×3, first 2 shown]
	s_waitcnt lgkmcnt(0)
	v_mul_lo_u32 v16, v5, s12
	v_mul_lo_u32 v5, v5, s13
	s_delay_alu instid0(VALU_DEP_3) | instskip(NEXT) | instid1(VALU_DEP_3)
	v_add3_u32 v6, v14, v6, v15
	v_add3_u32 v9, v10, v9, v16
	s_delay_alu instid0(VALU_DEP_3)
	v_add3_u32 v11, v13, v11, v5
	s_cbranch_scc1 .LBB151_1580
; %bb.1581:
	s_set_inst_prefetch_distance 0x2
	s_bitcmp1_b32 s5, 0
	s_cselect_b32 s5, -1, 0
	s_delay_alu instid0(SALU_CYCLE_1)
	s_and_b32 vcc_lo, exec_lo, s5
	s_cbranch_vccnz .LBB151_1584
; %bb.1582:
	s_clause 0x3
	s_load_b64 s[6:7], s[2:3], 0x18
	s_load_b32 s5, s[2:3], 0x20
	s_load_b64 s[10:11], s[2:3], 0xd8
	s_load_b32 s2, s[2:3], 0xe0
	s_waitcnt lgkmcnt(0)
	v_mul_hi_u32 v5, s7, v4
	s_delay_alu instid0(VALU_DEP_1) | instskip(NEXT) | instid1(VALU_DEP_1)
	v_add_nc_u32_e32 v5, v4, v5
	v_lshrrev_b32_e32 v5, s5, v5
	s_delay_alu instid0(VALU_DEP_1) | instskip(NEXT) | instid1(VALU_DEP_1)
	v_mul_lo_u32 v5, v5, s6
	v_sub_nc_u32_e32 v10, v4, v5
	s_delay_alu instid0(VALU_DEP_1) | instskip(SKIP_2) | instid1(VALU_DEP_2)
	v_mad_u64_u32 v[4:5], null, v10, s10, v[6:7]
	v_mad_u64_u32 v[5:6], null, v10, s11, v[9:10]
	;; [unrolled: 1-line block ×3, first 2 shown]
	v_dual_mov_b32 v6, v4 :: v_dual_mov_b32 v9, v5
	s_delay_alu instid0(VALU_DEP_2)
	v_mov_b32_e32 v11, v13
	s_branch .LBB151_1584
.LBB151_1583:
	s_mov_b32 s4, -1
                                        ; implicit-def: $vgpr6
                                        ; implicit-def: $vgpr9
                                        ; implicit-def: $vgpr11
.LBB151_1584:
	s_delay_alu instid0(SALU_CYCLE_1)
	s_and_not1_b32 vcc_lo, exec_lo, s4
	s_cbranch_vccnz .LBB151_1587
; %bb.1585:
	s_clause 0x1
	s_load_b128 s[4:7], s[20:21], 0x4
	s_load_b128 s[12:15], s[20:21], 0xc4
	s_cmp_lt_u32 s26, 2
	s_waitcnt lgkmcnt(0)
	v_mul_hi_u32 v4, s5, v3
	s_delay_alu instid0(VALU_DEP_1) | instskip(NEXT) | instid1(VALU_DEP_1)
	v_add_nc_u32_e32 v4, v3, v4
	v_lshrrev_b32_e32 v4, s6, v4
	s_delay_alu instid0(VALU_DEP_1) | instskip(NEXT) | instid1(VALU_DEP_1)
	v_mul_lo_u32 v5, v4, s4
	v_sub_nc_u32_e32 v3, v3, v5
	s_delay_alu instid0(VALU_DEP_1)
	v_mul_lo_u32 v6, v3, s12
	v_mul_lo_u32 v9, v3, s13
	;; [unrolled: 1-line block ×3, first 2 shown]
	s_cbranch_scc1 .LBB151_1587
; %bb.1586:
	s_clause 0x1
	s_load_b128 s[4:7], s[20:21], 0x10
	s_load_b128 s[12:15], s[20:21], 0xd0
	s_waitcnt lgkmcnt(0)
	v_mul_hi_u32 v3, s5, v4
	s_delay_alu instid0(VALU_DEP_1) | instskip(NEXT) | instid1(VALU_DEP_1)
	v_add_nc_u32_e32 v3, v4, v3
	v_lshrrev_b32_e32 v3, s6, v3
	s_delay_alu instid0(VALU_DEP_1) | instskip(NEXT) | instid1(VALU_DEP_1)
	v_mul_lo_u32 v3, v3, s4
	v_sub_nc_u32_e32 v10, v4, v3
	s_delay_alu instid0(VALU_DEP_1) | instskip(SKIP_2) | instid1(VALU_DEP_2)
	v_mad_u64_u32 v[3:4], null, v10, s12, v[6:7]
	v_mad_u64_u32 v[4:5], null, v10, s13, v[9:10]
	;; [unrolled: 1-line block ×3, first 2 shown]
	v_dual_mov_b32 v6, v3 :: v_dual_mov_b32 v9, v4
	s_delay_alu instid0(VALU_DEP_2)
	v_mov_b32_e32 v11, v5
.LBB151_1587:
	v_cmp_ne_u32_e32 vcc_lo, 1, v1
	v_add_nc_u32_e32 v3, 0x100, v8
	s_cbranch_vccnz .LBB151_1593
; %bb.1588:
	v_dual_mov_b32 v5, 0 :: v_dual_mov_b32 v14, 0
	v_mov_b32_e32 v13, 0
	s_cmp_lg_u32 s26, 0
	s_mov_b32 s4, 0
	s_cbranch_scc0 .LBB151_1594
; %bb.1589:
	s_min_u32 s5, s27, 15
	v_dual_mov_b32 v14, 0 :: v_dual_mov_b32 v13, 0
	s_add_i32 s2, s5, 1
	v_dual_mov_b32 v5, 0 :: v_dual_mov_b32 v4, v3
	s_and_b32 s6, s2, 30
	s_add_u32 s2, s20, 0xffffffec
	s_addc_u32 s3, s21, -1
	s_set_inst_prefetch_distance 0x1
	.p2align	6
.LBB151_1590:                           ; =>This Inner Loop Header: Depth=1
	s_clause 0x2
	s_load_b128 s[12:15], s[2:3], 0x18
	s_load_b64 s[10:11], s[2:3], 0x28
	s_load_b128 s[16:19], s[2:3], 0xd8
	s_waitcnt lgkmcnt(0)
	v_mul_hi_u32 v8, s13, v4
	s_delay_alu instid0(VALU_DEP_1) | instskip(NEXT) | instid1(VALU_DEP_1)
	v_add_nc_u32_e32 v8, v4, v8
	v_lshrrev_b32_e32 v8, s14, v8
	s_delay_alu instid0(VALU_DEP_1)
	v_mul_hi_u32 v10, s10, v8
	v_mul_lo_u32 v15, v8, s12
	s_load_b64 s[12:13], s[2:3], 0xe8
	s_add_u32 s2, s2, 24
	s_addc_u32 s3, s3, 0
	s_add_i32 s6, s6, -2
	s_delay_alu instid0(SALU_CYCLE_1) | instskip(NEXT) | instid1(VALU_DEP_2)
	s_cmp_lg_u32 s6, 0
	v_add_nc_u32_e32 v10, v8, v10
	s_delay_alu instid0(VALU_DEP_2) | instskip(NEXT) | instid1(VALU_DEP_2)
	v_sub_nc_u32_e32 v15, v4, v15
	v_lshrrev_b32_e32 v4, s11, v10
	s_delay_alu instid0(VALU_DEP_2) | instskip(NEXT) | instid1(VALU_DEP_2)
	v_mul_lo_u32 v16, v15, s16
	v_mul_lo_u32 v10, v4, s15
	s_delay_alu instid0(VALU_DEP_1) | instskip(SKIP_2) | instid1(VALU_DEP_3)
	v_sub_nc_u32_e32 v8, v8, v10
	v_mul_lo_u32 v10, v15, s17
	v_mul_lo_u32 v15, v15, s18
	;; [unrolled: 1-line block ×3, first 2 shown]
	s_waitcnt lgkmcnt(0)
	v_mul_lo_u32 v18, v8, s12
	v_mul_lo_u32 v8, v8, s13
	s_delay_alu instid0(VALU_DEP_3) | instskip(NEXT) | instid1(VALU_DEP_3)
	v_add3_u32 v5, v16, v5, v17
	v_add3_u32 v13, v10, v13, v18
	s_delay_alu instid0(VALU_DEP_3)
	v_add3_u32 v14, v15, v14, v8
	s_cbranch_scc1 .LBB151_1590
; %bb.1591:
	s_set_inst_prefetch_distance 0x2
	s_bitcmp1_b32 s5, 0
	s_cselect_b32 s5, -1, 0
	s_delay_alu instid0(SALU_CYCLE_1)
	s_and_b32 vcc_lo, exec_lo, s5
	s_cbranch_vccnz .LBB151_1594
; %bb.1592:
	s_clause 0x3
	s_load_b64 s[6:7], s[2:3], 0x18
	s_load_b32 s5, s[2:3], 0x20
	s_load_b64 s[10:11], s[2:3], 0xd8
	s_load_b32 s2, s[2:3], 0xe0
	s_waitcnt lgkmcnt(0)
	v_mul_hi_u32 v8, s7, v4
	s_delay_alu instid0(VALU_DEP_1) | instskip(NEXT) | instid1(VALU_DEP_1)
	v_add_nc_u32_e32 v8, v4, v8
	v_lshrrev_b32_e32 v8, s5, v8
	s_delay_alu instid0(VALU_DEP_1) | instskip(NEXT) | instid1(VALU_DEP_1)
	v_mul_lo_u32 v8, v8, s6
	v_sub_nc_u32_e32 v8, v4, v8
	s_delay_alu instid0(VALU_DEP_1) | instskip(SKIP_1) | instid1(VALU_DEP_2)
	v_mad_u64_u32 v[15:16], null, v8, s10, v[5:6]
	v_mad_u64_u32 v[4:5], null, v8, s11, v[13:14]
	v_mov_b32_e32 v5, v15
	v_mad_u64_u32 v[16:17], null, v8, s2, v[14:15]
	s_delay_alu instid0(VALU_DEP_3) | instskip(NEXT) | instid1(VALU_DEP_2)
	v_mov_b32_e32 v13, v4
	v_mov_b32_e32 v14, v16
	s_branch .LBB151_1594
.LBB151_1593:
	s_mov_b32 s4, -1
                                        ; implicit-def: $vgpr5
                                        ; implicit-def: $vgpr13
                                        ; implicit-def: $vgpr14
.LBB151_1594:
	s_delay_alu instid0(SALU_CYCLE_1)
	s_and_not1_b32 vcc_lo, exec_lo, s4
	s_cbranch_vccnz .LBB151_1597
; %bb.1595:
	s_clause 0x1
	s_load_b128 s[4:7], s[20:21], 0x4
	s_load_b128 s[12:15], s[20:21], 0xc4
	s_cmp_lt_u32 s26, 2
	s_waitcnt lgkmcnt(0)
	v_mul_hi_u32 v4, s5, v3
	s_delay_alu instid0(VALU_DEP_1) | instskip(NEXT) | instid1(VALU_DEP_1)
	v_add_nc_u32_e32 v4, v3, v4
	v_lshrrev_b32_e32 v4, s6, v4
	s_delay_alu instid0(VALU_DEP_1) | instskip(NEXT) | instid1(VALU_DEP_1)
	v_mul_lo_u32 v5, v4, s4
	v_sub_nc_u32_e32 v3, v3, v5
	s_delay_alu instid0(VALU_DEP_1)
	v_mul_lo_u32 v5, v3, s12
	v_mul_lo_u32 v13, v3, s13
	;; [unrolled: 1-line block ×3, first 2 shown]
	s_cbranch_scc1 .LBB151_1597
; %bb.1596:
	s_clause 0x1
	s_load_b128 s[4:7], s[20:21], 0x10
	s_load_b128 s[12:15], s[20:21], 0xd0
	s_waitcnt lgkmcnt(0)
	v_mul_hi_u32 v3, s5, v4
	s_delay_alu instid0(VALU_DEP_1) | instskip(NEXT) | instid1(VALU_DEP_1)
	v_add_nc_u32_e32 v3, v4, v3
	v_lshrrev_b32_e32 v3, s6, v3
	s_delay_alu instid0(VALU_DEP_1) | instskip(NEXT) | instid1(VALU_DEP_1)
	v_mul_lo_u32 v3, v3, s4
	v_sub_nc_u32_e32 v8, v4, v3
	s_delay_alu instid0(VALU_DEP_1) | instskip(SKIP_2) | instid1(VALU_DEP_3)
	v_mad_u64_u32 v[3:4], null, v8, s12, v[5:6]
	v_mad_u64_u32 v[4:5], null, v8, s13, v[13:14]
	;; [unrolled: 1-line block ×3, first 2 shown]
	v_mov_b32_e32 v5, v3
	s_delay_alu instid0(VALU_DEP_2)
	v_dual_mov_b32 v13, v4 :: v_dual_mov_b32 v14, v15
.LBB151_1597:
	v_cmp_ne_u32_e32 vcc_lo, 1, v1
	s_cbranch_vccnz .LBB151_1603
; %bb.1598:
	v_dual_mov_b32 v4, 0 :: v_dual_mov_b32 v3, 0
	v_mov_b32_e32 v10, 0
	s_cmp_lg_u32 s26, 0
	s_mov_b32 s4, 0
	s_cbranch_scc0 .LBB151_1604
; %bb.1599:
	s_min_u32 s5, s27, 15
	v_dual_mov_b32 v3, 0 :: v_dual_mov_b32 v10, 0
	s_add_i32 s2, s5, 1
	v_dual_mov_b32 v4, 0 :: v_dual_mov_b32 v1, v12
	s_and_b32 s6, s2, 30
	s_add_u32 s2, s20, 0xffffffec
	s_addc_u32 s3, s21, -1
	s_set_inst_prefetch_distance 0x1
	.p2align	6
.LBB151_1600:                           ; =>This Inner Loop Header: Depth=1
	s_clause 0x2
	s_load_b128 s[12:15], s[2:3], 0x18
	s_load_b64 s[10:11], s[2:3], 0x28
	s_load_b128 s[16:19], s[2:3], 0xd8
	s_waitcnt lgkmcnt(0)
	v_mul_hi_u32 v8, s13, v1
	s_delay_alu instid0(VALU_DEP_1) | instskip(NEXT) | instid1(VALU_DEP_1)
	v_add_nc_u32_e32 v8, v1, v8
	v_lshrrev_b32_e32 v8, s14, v8
	s_delay_alu instid0(VALU_DEP_1)
	v_mul_hi_u32 v15, s10, v8
	v_mul_lo_u32 v16, v8, s12
	s_load_b64 s[12:13], s[2:3], 0xe8
	s_add_u32 s2, s2, 24
	s_addc_u32 s3, s3, 0
	s_add_i32 s6, s6, -2
	s_delay_alu instid0(SALU_CYCLE_1) | instskip(NEXT) | instid1(VALU_DEP_2)
	s_cmp_lg_u32 s6, 0
	v_add_nc_u32_e32 v15, v8, v15
	s_delay_alu instid0(VALU_DEP_2) | instskip(NEXT) | instid1(VALU_DEP_2)
	v_sub_nc_u32_e32 v16, v1, v16
	v_lshrrev_b32_e32 v1, s11, v15
	s_delay_alu instid0(VALU_DEP_2) | instskip(NEXT) | instid1(VALU_DEP_2)
	v_mul_lo_u32 v17, v16, s16
	v_mul_lo_u32 v15, v1, s15
	s_delay_alu instid0(VALU_DEP_1) | instskip(SKIP_2) | instid1(VALU_DEP_3)
	v_sub_nc_u32_e32 v8, v8, v15
	v_mul_lo_u32 v15, v16, s17
	v_mul_lo_u32 v16, v16, s18
	;; [unrolled: 1-line block ×3, first 2 shown]
	s_waitcnt lgkmcnt(0)
	v_mul_lo_u32 v19, v8, s12
	v_mul_lo_u32 v8, v8, s13
	s_delay_alu instid0(VALU_DEP_3) | instskip(NEXT) | instid1(VALU_DEP_3)
	v_add3_u32 v4, v17, v4, v18
	v_add3_u32 v10, v15, v10, v19
	s_delay_alu instid0(VALU_DEP_3)
	v_add3_u32 v3, v16, v3, v8
	s_cbranch_scc1 .LBB151_1600
; %bb.1601:
	s_set_inst_prefetch_distance 0x2
	s_bitcmp1_b32 s5, 0
	s_cselect_b32 s5, -1, 0
	s_delay_alu instid0(SALU_CYCLE_1)
	s_and_b32 vcc_lo, exec_lo, s5
	s_cbranch_vccnz .LBB151_1604
; %bb.1602:
	s_clause 0x3
	s_load_b64 s[6:7], s[2:3], 0x18
	s_load_b32 s5, s[2:3], 0x20
	s_load_b64 s[10:11], s[2:3], 0xd8
	s_load_b32 s2, s[2:3], 0xe0
	s_waitcnt lgkmcnt(0)
	v_mul_hi_u32 v8, s7, v1
	s_delay_alu instid0(VALU_DEP_1) | instskip(NEXT) | instid1(VALU_DEP_1)
	v_add_nc_u32_e32 v8, v1, v8
	v_lshrrev_b32_e32 v8, s5, v8
	s_delay_alu instid0(VALU_DEP_1) | instskip(NEXT) | instid1(VALU_DEP_1)
	v_mul_lo_u32 v8, v8, s6
	v_sub_nc_u32_e32 v1, v1, v8
	s_delay_alu instid0(VALU_DEP_1) | instskip(SKIP_2) | instid1(VALU_DEP_3)
	v_mad_u64_u32 v[15:16], null, v1, s10, v[4:5]
	v_mad_u64_u32 v[16:17], null, v1, s11, v[10:11]
	;; [unrolled: 1-line block ×3, first 2 shown]
	v_mov_b32_e32 v4, v15
	s_delay_alu instid0(VALU_DEP_2)
	v_dual_mov_b32 v10, v16 :: v_dual_mov_b32 v3, v17
	s_branch .LBB151_1604
.LBB151_1603:
	s_mov_b32 s4, -1
                                        ; implicit-def: $vgpr4
                                        ; implicit-def: $vgpr10
                                        ; implicit-def: $vgpr3
.LBB151_1604:
	s_delay_alu instid0(SALU_CYCLE_1)
	s_and_not1_b32 vcc_lo, exec_lo, s4
	s_cbranch_vccnz .LBB151_1607
; %bb.1605:
	s_clause 0x1
	s_load_b128 s[4:7], s[20:21], 0x4
	s_load_b128 s[12:15], s[20:21], 0xc4
	s_cmp_lt_u32 s26, 2
	s_waitcnt lgkmcnt(0)
	v_mul_hi_u32 v1, s5, v12
	s_delay_alu instid0(VALU_DEP_1) | instskip(NEXT) | instid1(VALU_DEP_1)
	v_add_nc_u32_e32 v1, v12, v1
	v_lshrrev_b32_e32 v1, s6, v1
	s_delay_alu instid0(VALU_DEP_1) | instskip(NEXT) | instid1(VALU_DEP_1)
	v_mul_lo_u32 v3, v1, s4
	v_sub_nc_u32_e32 v3, v12, v3
	s_delay_alu instid0(VALU_DEP_1)
	v_mul_lo_u32 v4, v3, s12
	v_mul_lo_u32 v10, v3, s13
	;; [unrolled: 1-line block ×3, first 2 shown]
	s_cbranch_scc1 .LBB151_1607
; %bb.1606:
	s_clause 0x1
	s_load_b128 s[4:7], s[20:21], 0x10
	s_load_b128 s[12:15], s[20:21], 0xd0
	s_waitcnt lgkmcnt(0)
	v_mul_hi_u32 v8, s5, v1
	s_delay_alu instid0(VALU_DEP_1) | instskip(NEXT) | instid1(VALU_DEP_1)
	v_add_nc_u32_e32 v8, v1, v8
	v_lshrrev_b32_e32 v8, s6, v8
	s_delay_alu instid0(VALU_DEP_1) | instskip(NEXT) | instid1(VALU_DEP_1)
	v_mul_lo_u32 v8, v8, s4
	v_sub_nc_u32_e32 v1, v1, v8
	s_delay_alu instid0(VALU_DEP_1) | instskip(SKIP_2) | instid1(VALU_DEP_3)
	v_mad_u64_u32 v[15:16], null, v1, s12, v[4:5]
	v_mad_u64_u32 v[16:17], null, v1, s13, v[10:11]
	;; [unrolled: 1-line block ×3, first 2 shown]
	v_mov_b32_e32 v4, v15
	s_delay_alu instid0(VALU_DEP_2)
	v_dual_mov_b32 v10, v16 :: v_dual_mov_b32 v3, v17
.LBB151_1607:
	s_clause 0x1
	s_load_b32 s2, s[0:1], 0x1b0
	s_load_b128 s[4:7], s[20:21], 0x188
	s_waitcnt lgkmcnt(0)
	s_lshr_b32 s0, s2, 8
	s_delay_alu instid0(SALU_CYCLE_1) | instskip(SKIP_1) | instid1(VALU_DEP_1)
	v_and_b32_e64 v19, 0xff, s0
	v_add_co_u32 v15, s0, s6, v0
	v_add_co_ci_u32_e64 v16, null, s7, 0, s0
	s_delay_alu instid0(VALU_DEP_3)
	v_cmp_gt_i16_e32 vcc_lo, 11, v19
	s_mov_b32 s0, 0
	s_cbranch_vccnz .LBB151_1614
; %bb.1608:
	v_cmp_lt_i16_e32 vcc_lo, 25, v19
	s_mov_b32 s11, 0
	s_cbranch_vccz .LBB151_1620
; %bb.1609:
	v_cmp_lt_i16_e32 vcc_lo, 28, v19
	s_cbranch_vccz .LBB151_1622
; %bb.1610:
	v_cmp_lt_i16_e32 vcc_lo, 43, v19
	;; [unrolled: 3-line block ×3, first 2 shown]
	s_cbranch_vccz .LBB151_1628
; %bb.1612:
	v_cmp_eq_u16_e32 vcc_lo, 46, v19
	s_mov_b32 s1, 0
	s_cbranch_vccz .LBB151_1670
; %bb.1613:
	global_load_b32 v0, v[15:16], off
	s_mov_b32 s3, 0
	s_mov_b32 s0, -1
	s_waitcnt vmcnt(0)
	v_lshlrev_b32_e32 v0, 16, v0
	s_delay_alu instid0(VALU_DEP_1)
	v_cvt_f64_f32_e32 v[0:1], v0
	s_branch .LBB151_1672
.LBB151_1614:
	s_mov_b32 s10, s8
                                        ; implicit-def: $vgpr0_vgpr1
	s_cbranch_execz .LBB151_1735
; %bb.1615:
	v_cmp_gt_i16_e32 vcc_lo, 5, v19
	s_cbranch_vccnz .LBB151_1621
; %bb.1616:
	v_cmp_gt_i16_e32 vcc_lo, 8, v19
	s_cbranch_vccnz .LBB151_1623
; %bb.1617:
	v_cmp_gt_i16_e32 vcc_lo, 9, v19
	s_cbranch_vccnz .LBB151_1625
; %bb.1618:
	v_cmp_lt_i16_e32 vcc_lo, 9, v19
	s_cbranch_vccz .LBB151_1629
; %bb.1619:
	global_load_b64 v[0:1], v[15:16], off
	s_mov_b32 s0, 0
	s_branch .LBB151_1630
.LBB151_1620:
	s_mov_b32 s3, 0
                                        ; implicit-def: $vgpr0_vgpr1
	s_cbranch_execnz .LBB151_1702
	s_branch .LBB151_1731
.LBB151_1621:
                                        ; implicit-def: $vgpr0_vgpr1
	s_branch .LBB151_1647
.LBB151_1622:
	s_mov_b32 s1, -1
	s_mov_b32 s3, 0
                                        ; implicit-def: $vgpr0_vgpr1
	s_branch .LBB151_1681
.LBB151_1623:
                                        ; implicit-def: $vgpr0_vgpr1
	s_branch .LBB151_1636
.LBB151_1624:
	s_mov_b32 s3, 0
                                        ; implicit-def: $vgpr0_vgpr1
	s_cbranch_execnz .LBB151_1677
	s_branch .LBB151_1680
.LBB151_1625:
	s_mov_b32 s0, -1
                                        ; implicit-def: $vgpr0_vgpr1
	s_branch .LBB151_1633
.LBB151_1626:
	s_cbranch_execnz .LBB151_1668
; %bb.1627:
	s_or_b32 s3, s3, exec_lo
	s_and_not1_b32 s2, s2, exec_lo
	s_or_b32 exec_lo, exec_lo, s4
	s_and_saveexec_b32 s4, s2
	s_delay_alu instid0(SALU_CYCLE_1)
	s_xor_b32 s2, exec_lo, s4
	s_cbranch_execnz .LBB151_1526
	s_branch .LBB151_1527
.LBB151_1628:
	s_mov_b32 s1, -1
	s_mov_b32 s3, 0
	s_branch .LBB151_1671
.LBB151_1629:
	s_mov_b32 s0, -1
                                        ; implicit-def: $vgpr0_vgpr1
.LBB151_1630:
	s_delay_alu instid0(SALU_CYCLE_1)
	s_and_not1_b32 vcc_lo, exec_lo, s0
	s_cbranch_vccnz .LBB151_1632
; %bb.1631:
	global_load_b32 v0, v[15:16], off
	s_waitcnt vmcnt(0)
	v_cvt_f64_f32_e32 v[0:1], v0
.LBB151_1632:
	s_mov_b32 s0, 0
.LBB151_1633:
	s_delay_alu instid0(SALU_CYCLE_1)
	s_and_not1_b32 vcc_lo, exec_lo, s0
	s_cbranch_vccnz .LBB151_1635
; %bb.1634:
	global_load_b32 v0, v[15:16], off
	s_waitcnt vmcnt(0)
	v_cvt_f32_f16_e32 v0, v0
	s_delay_alu instid0(VALU_DEP_1)
	v_cvt_f64_f32_e32 v[0:1], v0
.LBB151_1635:
	s_cbranch_execnz .LBB151_1646
.LBB151_1636:
	v_cmp_gt_i16_e32 vcc_lo, 6, v19
	s_cbranch_vccnz .LBB151_1639
; %bb.1637:
	v_cmp_lt_i16_e32 vcc_lo, 6, v19
	s_cbranch_vccz .LBB151_1640
; %bb.1638:
	global_load_b64 v[0:1], v[15:16], off
	s_mov_b32 s0, 0
	s_branch .LBB151_1641
.LBB151_1639:
	s_mov_b32 s0, -1
                                        ; implicit-def: $vgpr0_vgpr1
	s_branch .LBB151_1644
.LBB151_1640:
	s_mov_b32 s0, -1
                                        ; implicit-def: $vgpr0_vgpr1
.LBB151_1641:
	s_delay_alu instid0(SALU_CYCLE_1)
	s_and_not1_b32 vcc_lo, exec_lo, s0
	s_cbranch_vccnz .LBB151_1643
; %bb.1642:
	global_load_b32 v0, v[15:16], off
	s_waitcnt vmcnt(0)
	v_cvt_f64_f32_e32 v[0:1], v0
.LBB151_1643:
	s_mov_b32 s0, 0
.LBB151_1644:
	s_delay_alu instid0(SALU_CYCLE_1)
	s_and_not1_b32 vcc_lo, exec_lo, s0
	s_cbranch_vccnz .LBB151_1646
; %bb.1645:
	global_load_u16 v0, v[15:16], off
	s_waitcnt vmcnt(0)
	v_cvt_f32_f16_e32 v0, v0
	s_delay_alu instid0(VALU_DEP_1)
	v_cvt_f64_f32_e32 v[0:1], v0
.LBB151_1646:
	s_cbranch_execnz .LBB151_1665
.LBB151_1647:
	v_cmp_gt_i16_e32 vcc_lo, 2, v19
	s_cbranch_vccnz .LBB151_1651
; %bb.1648:
	v_cmp_gt_i16_e32 vcc_lo, 3, v19
	s_cbranch_vccnz .LBB151_1652
; %bb.1649:
	v_cmp_lt_i16_e32 vcc_lo, 3, v19
	s_cbranch_vccz .LBB151_1653
; %bb.1650:
	global_load_b64 v[0:1], v[15:16], off
	s_mov_b32 s0, 0
	s_waitcnt vmcnt(0)
	v_cvt_f64_i32_e32 v[17:18], v1
	v_cvt_f64_u32_e32 v[0:1], v0
	s_delay_alu instid0(VALU_DEP_2) | instskip(NEXT) | instid1(VALU_DEP_1)
	v_ldexp_f64 v[17:18], v[17:18], 32
	v_add_f64 v[0:1], v[17:18], v[0:1]
	s_branch .LBB151_1654
.LBB151_1651:
                                        ; implicit-def: $vgpr0_vgpr1
	s_branch .LBB151_1660
.LBB151_1652:
	s_mov_b32 s0, -1
                                        ; implicit-def: $vgpr0_vgpr1
	s_branch .LBB151_1657
.LBB151_1653:
	s_mov_b32 s0, -1
                                        ; implicit-def: $vgpr0_vgpr1
.LBB151_1654:
	s_delay_alu instid0(SALU_CYCLE_1)
	s_and_not1_b32 vcc_lo, exec_lo, s0
	s_cbranch_vccnz .LBB151_1656
; %bb.1655:
	global_load_b32 v0, v[15:16], off
	s_waitcnt vmcnt(0)
	v_cvt_f64_i32_e32 v[0:1], v0
.LBB151_1656:
	s_mov_b32 s0, 0
.LBB151_1657:
	s_delay_alu instid0(SALU_CYCLE_1)
	s_and_not1_b32 vcc_lo, exec_lo, s0
	s_cbranch_vccnz .LBB151_1659
; %bb.1658:
	global_load_i16 v0, v[15:16], off
	s_waitcnt vmcnt(0)
	v_cvt_f64_i32_e32 v[0:1], v0
.LBB151_1659:
	s_cbranch_execnz .LBB151_1665
.LBB151_1660:
	v_cmp_lt_i16_e32 vcc_lo, 0, v19
	s_mov_b32 s0, 0
	s_cbranch_vccz .LBB151_1662
; %bb.1661:
	global_load_i8 v0, v[15:16], off
	s_waitcnt vmcnt(0)
	v_cvt_f64_i32_e32 v[0:1], v0
	s_branch .LBB151_1663
.LBB151_1662:
	s_mov_b32 s0, -1
                                        ; implicit-def: $vgpr0_vgpr1
.LBB151_1663:
	s_delay_alu instid0(SALU_CYCLE_1)
	s_and_not1_b32 vcc_lo, exec_lo, s0
	s_cbranch_vccnz .LBB151_1665
; %bb.1664:
	global_load_u8 v0, v[15:16], off
	s_waitcnt vmcnt(0)
	v_cvt_f64_u32_e32 v[0:1], v0
.LBB151_1665:
	s_branch .LBB151_1736
.LBB151_1666:
	s_trap 2
	s_sendmsg_rtn_b32 s0, sendmsg(MSG_RTN_GET_DOORBELL)
	s_mov_b32 ttmp2, m0
	s_waitcnt lgkmcnt(0)
	s_and_b32 s0, s0, 0x3ff
	s_delay_alu instid0(SALU_CYCLE_1) | instskip(NEXT) | instid1(SALU_CYCLE_1)
	s_bitset1_b32 s0, 10
	s_mov_b32 m0, s0
	s_sendmsg sendmsg(MSG_INTERRUPT)
	s_mov_b32 m0, ttmp2
.LBB151_1667:                           ; =>This Inner Loop Header: Depth=1
	s_sethalt 5
	s_branch .LBB151_1667
.LBB151_1668:
	s_trap 2
	s_sendmsg_rtn_b32 s0, sendmsg(MSG_RTN_GET_DOORBELL)
	s_mov_b32 ttmp2, m0
	s_waitcnt lgkmcnt(0)
	s_and_b32 s0, s0, 0x3ff
	s_delay_alu instid0(SALU_CYCLE_1) | instskip(NEXT) | instid1(SALU_CYCLE_1)
	s_bitset1_b32 s0, 10
	s_mov_b32 m0, s0
	s_sendmsg sendmsg(MSG_INTERRUPT)
	s_mov_b32 m0, ttmp2
.LBB151_1669:                           ; =>This Inner Loop Header: Depth=1
	s_sethalt 5
	s_branch .LBB151_1669
.LBB151_1670:
	s_mov_b32 s3, -1
.LBB151_1671:
                                        ; implicit-def: $vgpr0_vgpr1
.LBB151_1672:
	s_and_b32 vcc_lo, exec_lo, s1
	s_cbranch_vccz .LBB151_1675
; %bb.1673:
	v_cmp_eq_u16_e32 vcc_lo, 44, v19
	s_cbranch_vccz .LBB151_1676
; %bb.1674:
	global_load_u8 v8, v[15:16], off
	s_mov_b32 s3, 0
	s_mov_b32 s0, -1
	s_waitcnt vmcnt(0)
	v_cmp_ne_u32_e32 vcc_lo, 0xff, v8
	v_lshlrev_b32_e32 v0, 23, v8
	s_delay_alu instid0(VALU_DEP_1) | instskip(NEXT) | instid1(VALU_DEP_1)
	v_cvt_f64_f32_e32 v[0:1], v0
	v_cndmask_b32_e32 v1, 0x7ff80000, v1, vcc_lo
	s_delay_alu instid0(VALU_DEP_2) | instskip(SKIP_1) | instid1(VALU_DEP_3)
	v_cndmask_b32_e32 v0, 0x20000000, v0, vcc_lo
	v_cmp_ne_u32_e32 vcc_lo, 0, v8
	v_cndmask_b32_e32 v1, 0x38000000, v1, vcc_lo
	s_delay_alu instid0(VALU_DEP_3)
	v_cndmask_b32_e32 v0, 0, v0, vcc_lo
.LBB151_1675:
	s_branch .LBB151_1680
.LBB151_1676:
	s_mov_b32 s3, -1
                                        ; implicit-def: $vgpr0_vgpr1
	s_branch .LBB151_1680
.LBB151_1677:
	v_cmp_eq_u16_e32 vcc_lo, 29, v19
	s_cbranch_vccz .LBB151_1679
; %bb.1678:
	global_load_b64 v[0:1], v[15:16], off
	s_mov_b32 s3, 0
	s_mov_b32 s0, -1
	s_mov_b32 s1, 0
	s_waitcnt vmcnt(0)
	v_cvt_f64_u32_e32 v[17:18], v1
	v_cvt_f64_u32_e32 v[0:1], v0
	s_delay_alu instid0(VALU_DEP_2) | instskip(NEXT) | instid1(VALU_DEP_1)
	v_ldexp_f64 v[17:18], v[17:18], 32
	v_add_f64 v[0:1], v[17:18], v[0:1]
	s_branch .LBB151_1681
.LBB151_1679:
	s_mov_b32 s3, -1
                                        ; implicit-def: $vgpr0_vgpr1
.LBB151_1680:
	s_mov_b32 s1, 0
.LBB151_1681:
	s_delay_alu instid0(SALU_CYCLE_1)
	s_and_b32 vcc_lo, exec_lo, s1
	s_cbranch_vccz .LBB151_1701
; %bb.1682:
	v_cmp_gt_i16_e32 vcc_lo, 27, v19
	s_cbranch_vccnz .LBB151_1685
; %bb.1683:
	v_cmp_lt_i16_e32 vcc_lo, 27, v19
	s_cbranch_vccz .LBB151_1686
; %bb.1684:
	global_load_b32 v0, v[15:16], off
	s_mov_b32 s0, 0
	s_waitcnt vmcnt(0)
	v_cvt_f64_u32_e32 v[0:1], v0
	s_branch .LBB151_1687
.LBB151_1685:
	s_mov_b32 s0, -1
                                        ; implicit-def: $vgpr0_vgpr1
	s_branch .LBB151_1690
.LBB151_1686:
	s_mov_b32 s0, -1
                                        ; implicit-def: $vgpr0_vgpr1
.LBB151_1687:
	s_delay_alu instid0(SALU_CYCLE_1)
	s_and_not1_b32 vcc_lo, exec_lo, s0
	s_cbranch_vccnz .LBB151_1689
; %bb.1688:
	global_load_u16 v0, v[15:16], off
	s_waitcnt vmcnt(0)
	v_cvt_f64_u32_e32 v[0:1], v0
.LBB151_1689:
	s_mov_b32 s0, 0
.LBB151_1690:
	s_delay_alu instid0(SALU_CYCLE_1)
	s_and_not1_b32 vcc_lo, exec_lo, s0
	s_cbranch_vccnz .LBB151_1700
; %bb.1691:
	global_load_u8 v8, v[15:16], off
	s_mov_b32 s10, 0
	s_mov_b32 s12, exec_lo
                                        ; implicit-def: $sgpr0_sgpr1
	s_waitcnt vmcnt(0)
	v_cmpx_lt_i16_e32 0x7f, v8
	s_xor_b32 s12, exec_lo, s12
	s_cbranch_execz .LBB151_1695
; %bb.1692:
	s_mov_b32 s13, -1
	s_mov_b32 s10, exec_lo
                                        ; implicit-def: $sgpr0_sgpr1
	v_cmpx_eq_u16_e32 0x80, v8
; %bb.1693:
	s_mov_b32 s1, 0x7ff80000
	s_brev_b32 s0, 4
	s_xor_b32 s13, exec_lo, -1
; %bb.1694:
	s_or_b32 exec_lo, exec_lo, s10
	s_delay_alu instid0(SALU_CYCLE_1)
	s_and_b32 s10, s13, exec_lo
.LBB151_1695:
	s_or_saveexec_b32 s12, s12
	v_dual_mov_b32 v0, s0 :: v_dual_mov_b32 v1, s1
	s_xor_b32 exec_lo, exec_lo, s12
; %bb.1696:
	v_cmp_ne_u16_e32 vcc_lo, 0, v8
	v_mov_b32_e32 v0, 0
	v_mov_b32_e32 v1, 0
	s_and_not1_b32 s0, s10, exec_lo
	s_and_b32 s1, vcc_lo, exec_lo
	s_delay_alu instid0(SALU_CYCLE_1)
	s_or_b32 s10, s0, s1
; %bb.1697:
	s_or_b32 exec_lo, exec_lo, s12
	s_and_saveexec_b32 s0, s10
	s_cbranch_execz .LBB151_1699
; %bb.1698:
	v_and_b32_e32 v0, 0xffff, v8
	v_lshlrev_b32_e32 v8, 24, v8
	s_delay_alu instid0(VALU_DEP_2) | instskip(NEXT) | instid1(VALU_DEP_2)
	v_and_b32_e32 v1, 7, v0
	v_and_b32_e32 v8, 0x80000000, v8
	s_delay_alu instid0(VALU_DEP_2) | instskip(NEXT) | instid1(VALU_DEP_1)
	v_clz_i32_u32_e32 v12, v1
	v_min_u32_e32 v12, 32, v12
	s_delay_alu instid0(VALU_DEP_1) | instskip(SKIP_1) | instid1(VALU_DEP_2)
	v_subrev_nc_u32_e32 v17, 28, v12
	v_sub_nc_u32_e32 v12, 29, v12
	v_lshlrev_b32_e32 v17, v17, v0
	v_bfe_u32 v0, v0, 3, 4
	s_delay_alu instid0(VALU_DEP_1) | instskip(NEXT) | instid1(VALU_DEP_3)
	v_cmp_eq_u32_e32 vcc_lo, 0, v0
	v_dual_cndmask_b32 v0, v0, v12 :: v_dual_and_b32 v17, 7, v17
	s_delay_alu instid0(VALU_DEP_1) | instskip(NEXT) | instid1(VALU_DEP_2)
	v_cndmask_b32_e32 v1, v1, v17, vcc_lo
	v_lshl_add_u32 v0, v0, 23, 0x3b800000
	s_delay_alu instid0(VALU_DEP_2) | instskip(NEXT) | instid1(VALU_DEP_1)
	v_lshlrev_b32_e32 v1, 20, v1
	v_or3_b32 v0, v8, v0, v1
	s_delay_alu instid0(VALU_DEP_1)
	v_cvt_f64_f32_e32 v[0:1], v0
.LBB151_1699:
	s_or_b32 exec_lo, exec_lo, s0
.LBB151_1700:
	s_mov_b32 s0, -1
.LBB151_1701:
	s_branch .LBB151_1731
.LBB151_1702:
	v_cmp_lt_i16_e32 vcc_lo, 22, v19
	s_cbranch_vccz .LBB151_1714
; %bb.1703:
	v_cmp_gt_i16_e32 vcc_lo, 24, v19
	s_cbranch_vccnz .LBB151_1715
; %bb.1704:
	v_cmp_lt_i16_e32 vcc_lo, 24, v19
	s_cbranch_vccz .LBB151_1716
; %bb.1705:
	global_load_u8 v8, v[15:16], off
	s_mov_b32 s10, 0
	s_mov_b32 s11, exec_lo
                                        ; implicit-def: $sgpr0_sgpr1
	s_waitcnt vmcnt(0)
	v_cmpx_lt_i16_e32 0x7f, v8
	s_xor_b32 s11, exec_lo, s11
	s_cbranch_execz .LBB151_1709
; %bb.1706:
	s_mov_b32 s12, -1
	s_mov_b32 s10, exec_lo
                                        ; implicit-def: $sgpr0_sgpr1
	v_cmpx_eq_u16_e32 0x80, v8
; %bb.1707:
	s_mov_b32 s1, 0x7ff80000
	s_brev_b32 s0, 4
	s_xor_b32 s12, exec_lo, -1
; %bb.1708:
	s_or_b32 exec_lo, exec_lo, s10
	s_delay_alu instid0(SALU_CYCLE_1)
	s_and_b32 s10, s12, exec_lo
.LBB151_1709:
	s_or_saveexec_b32 s11, s11
	v_dual_mov_b32 v0, s0 :: v_dual_mov_b32 v1, s1
	s_xor_b32 exec_lo, exec_lo, s11
; %bb.1710:
	v_cmp_ne_u16_e32 vcc_lo, 0, v8
	v_mov_b32_e32 v0, 0
	v_mov_b32_e32 v1, 0
	s_and_not1_b32 s0, s10, exec_lo
	s_and_b32 s1, vcc_lo, exec_lo
	s_delay_alu instid0(SALU_CYCLE_1)
	s_or_b32 s10, s0, s1
; %bb.1711:
	s_or_b32 exec_lo, exec_lo, s11
	s_and_saveexec_b32 s0, s10
	s_cbranch_execz .LBB151_1713
; %bb.1712:
	v_and_b32_e32 v0, 0xffff, v8
	v_lshlrev_b32_e32 v8, 24, v8
	s_delay_alu instid0(VALU_DEP_2) | instskip(NEXT) | instid1(VALU_DEP_2)
	v_and_b32_e32 v1, 3, v0
	v_and_b32_e32 v8, 0x80000000, v8
	s_delay_alu instid0(VALU_DEP_2) | instskip(NEXT) | instid1(VALU_DEP_1)
	v_clz_i32_u32_e32 v12, v1
	v_min_u32_e32 v12, 32, v12
	s_delay_alu instid0(VALU_DEP_1) | instskip(SKIP_1) | instid1(VALU_DEP_2)
	v_subrev_nc_u32_e32 v17, 29, v12
	v_sub_nc_u32_e32 v12, 30, v12
	v_lshlrev_b32_e32 v17, v17, v0
	v_bfe_u32 v0, v0, 2, 5
	s_delay_alu instid0(VALU_DEP_1) | instskip(NEXT) | instid1(VALU_DEP_3)
	v_cmp_eq_u32_e32 vcc_lo, 0, v0
	v_dual_cndmask_b32 v0, v0, v12 :: v_dual_and_b32 v17, 3, v17
	s_delay_alu instid0(VALU_DEP_1) | instskip(NEXT) | instid1(VALU_DEP_2)
	v_cndmask_b32_e32 v1, v1, v17, vcc_lo
	v_lshl_add_u32 v0, v0, 23, 0x37800000
	s_delay_alu instid0(VALU_DEP_2) | instskip(NEXT) | instid1(VALU_DEP_1)
	v_lshlrev_b32_e32 v1, 21, v1
	v_or3_b32 v0, v8, v0, v1
	s_delay_alu instid0(VALU_DEP_1)
	v_cvt_f64_f32_e32 v[0:1], v0
.LBB151_1713:
	s_or_b32 exec_lo, exec_lo, s0
	s_mov_b32 s0, 0
	s_branch .LBB151_1717
.LBB151_1714:
                                        ; implicit-def: $vgpr0_vgpr1
	s_mov_b32 s11, 0
	s_branch .LBB151_1723
.LBB151_1715:
	s_mov_b32 s0, -1
                                        ; implicit-def: $vgpr0_vgpr1
	s_branch .LBB151_1720
.LBB151_1716:
	s_mov_b32 s0, -1
                                        ; implicit-def: $vgpr0_vgpr1
.LBB151_1717:
	s_delay_alu instid0(SALU_CYCLE_1)
	s_and_b32 vcc_lo, exec_lo, s0
	s_cbranch_vccz .LBB151_1719
; %bb.1718:
	global_load_u8 v0, v[15:16], off
	s_waitcnt vmcnt(0)
	v_lshlrev_b32_e32 v0, 24, v0
	s_delay_alu instid0(VALU_DEP_1) | instskip(NEXT) | instid1(VALU_DEP_1)
	v_and_b32_e32 v1, 0x7f000000, v0
	v_clz_i32_u32_e32 v8, v1
	v_cmp_ne_u32_e32 vcc_lo, 0, v1
	v_add_nc_u32_e32 v17, 0x1000000, v1
	s_delay_alu instid0(VALU_DEP_3) | instskip(NEXT) | instid1(VALU_DEP_1)
	v_min_u32_e32 v8, 32, v8
	v_sub_nc_u32_e64 v8, v8, 4 clamp
	s_delay_alu instid0(VALU_DEP_1) | instskip(SKIP_1) | instid1(VALU_DEP_2)
	v_lshlrev_b32_e32 v12, v8, v1
	v_lshlrev_b32_e32 v8, 23, v8
	v_lshrrev_b32_e32 v12, 4, v12
	s_delay_alu instid0(VALU_DEP_1) | instskip(SKIP_1) | instid1(VALU_DEP_2)
	v_sub_nc_u32_e32 v8, v12, v8
	v_ashrrev_i32_e32 v12, 8, v17
	v_add_nc_u32_e32 v8, 0x3c000000, v8
	s_delay_alu instid0(VALU_DEP_1) | instskip(NEXT) | instid1(VALU_DEP_1)
	v_and_or_b32 v8, 0x7f800000, v12, v8
	v_cndmask_b32_e32 v1, 0, v8, vcc_lo
	s_delay_alu instid0(VALU_DEP_1) | instskip(NEXT) | instid1(VALU_DEP_1)
	v_and_or_b32 v0, 0x80000000, v0, v1
	v_cvt_f64_f32_e32 v[0:1], v0
.LBB151_1719:
	s_mov_b32 s0, 0
.LBB151_1720:
	s_delay_alu instid0(SALU_CYCLE_1)
	s_and_not1_b32 vcc_lo, exec_lo, s0
	s_cbranch_vccnz .LBB151_1722
; %bb.1721:
	global_load_u8 v0, v[15:16], off
	s_waitcnt vmcnt(0)
	v_lshlrev_b32_e32 v1, 25, v0
	v_lshlrev_b16 v0, 8, v0
	s_delay_alu instid0(VALU_DEP_2) | instskip(NEXT) | instid1(VALU_DEP_2)
	v_lshrrev_b32_e32 v8, 4, v1
	v_and_or_b32 v12, 0x7f00, v0, 0.5
	v_cmp_gt_u32_e32 vcc_lo, 0x8000000, v1
	v_bfe_i32 v0, v0, 0, 16
	s_delay_alu instid0(VALU_DEP_4) | instskip(NEXT) | instid1(VALU_DEP_4)
	v_or_b32_e32 v8, 0x70000000, v8
	v_add_f32_e32 v12, -0.5, v12
	s_delay_alu instid0(VALU_DEP_2) | instskip(NEXT) | instid1(VALU_DEP_1)
	v_mul_f32_e32 v8, 0x7800000, v8
	v_cndmask_b32_e32 v1, v8, v12, vcc_lo
	s_delay_alu instid0(VALU_DEP_1) | instskip(NEXT) | instid1(VALU_DEP_1)
	v_and_or_b32 v0, 0x80000000, v0, v1
	v_cvt_f64_f32_e32 v[0:1], v0
.LBB151_1722:
	s_mov_b32 s0, -1
	s_mov_b32 s11, 0
	s_cbranch_execnz .LBB151_1731
.LBB151_1723:
	v_cmp_lt_i16_e32 vcc_lo, 14, v19
	s_cbranch_vccz .LBB151_1726
; %bb.1724:
	v_cmp_eq_u16_e32 vcc_lo, 15, v19
	s_cbranch_vccz .LBB151_1727
; %bb.1725:
	global_load_u16 v0, v[15:16], off
	s_mov_b32 s3, 0
	s_mov_b32 s0, -1
	s_waitcnt vmcnt(0)
	v_lshlrev_b32_e32 v0, 16, v0
	s_delay_alu instid0(VALU_DEP_1)
	v_cvt_f64_f32_e32 v[0:1], v0
	s_branch .LBB151_1728
.LBB151_1726:
	s_mov_b32 s1, -1
                                        ; implicit-def: $vgpr0_vgpr1
	s_branch .LBB151_1729
.LBB151_1727:
	s_mov_b32 s3, -1
                                        ; implicit-def: $vgpr0_vgpr1
.LBB151_1728:
	s_mov_b32 s1, 0
.LBB151_1729:
	s_delay_alu instid0(SALU_CYCLE_1)
	s_and_b32 vcc_lo, exec_lo, s1
	s_cbranch_vccz .LBB151_1731
; %bb.1730:
	v_cmp_ne_u16_e64 s3, 11, v19
	s_mov_b32 s11, -1
                                        ; implicit-def: $vgpr0_vgpr1
.LBB151_1731:
	s_delay_alu instid0(VALU_DEP_1)
	s_and_b32 vcc_lo, exec_lo, s3
	s_mov_b32 s10, s8
	s_cbranch_vccnz .LBB151_1755
; %bb.1732:
	s_and_not1_b32 vcc_lo, exec_lo, s11
	s_cbranch_vccnz .LBB151_1734
.LBB151_1733:
	global_load_u8 v0, v[15:16], off
	s_mov_b32 s0, -1
	s_waitcnt vmcnt(0)
	v_cmp_ne_u16_e32 vcc_lo, 0, v0
	v_mov_b32_e32 v0, 0
	v_cndmask_b32_e64 v1, 0, 0x3ff00000, vcc_lo
.LBB151_1734:
.LBB151_1735:
	s_and_not1_b32 vcc_lo, exec_lo, s0
	s_cbranch_vccnz .LBB151_3049
.LBB151_1736:
	s_load_b64 s[0:1], s[20:21], 0x198
	s_lshr_b32 s2, s2, 16
	s_mov_b32 s11, 0
	v_and_b32_e64 v21, 0xff, s2
	s_delay_alu instid0(VALU_DEP_1) | instskip(SKIP_2) | instid1(VALU_DEP_1)
	v_cmp_gt_i16_e32 vcc_lo, 11, v21
	s_waitcnt lgkmcnt(0)
	v_add_co_u32 v15, s2, s0, v7
	v_add_co_ci_u32_e64 v16, null, s1, 0, s2
	s_cbranch_vccnz .LBB151_1743
; %bb.1737:
	v_cmp_lt_i16_e32 vcc_lo, 25, v21
	s_mov_b32 s3, 0
	s_cbranch_vccz .LBB151_1749
; %bb.1738:
	v_cmp_lt_i16_e32 vcc_lo, 28, v21
	s_cbranch_vccz .LBB151_1751
; %bb.1739:
	v_cmp_lt_i16_e32 vcc_lo, 43, v21
	;; [unrolled: 3-line block ×3, first 2 shown]
	s_cbranch_vccz .LBB151_1757
; %bb.1741:
	v_cmp_eq_u16_e32 vcc_lo, 46, v21
	s_mov_b32 s12, 0
	s_cbranch_vccz .LBB151_1801
; %bb.1742:
	global_load_b32 v7, v[15:16], off
	s_mov_b32 s2, 0
	s_mov_b32 s11, -1
	s_waitcnt vmcnt(0)
	v_lshlrev_b32_e32 v7, 16, v7
	s_delay_alu instid0(VALU_DEP_1) | instskip(NEXT) | instid1(VALU_DEP_1)
	v_trunc_f32_e32 v7, v7
	v_mul_f32_e64 v8, 0x2f800000, |v7|
	s_delay_alu instid0(VALU_DEP_1) | instskip(NEXT) | instid1(VALU_DEP_1)
	v_floor_f32_e32 v8, v8
	v_fma_f32 v8, 0xcf800000, v8, |v7|
	v_ashrrev_i32_e32 v7, 31, v7
	s_delay_alu instid0(VALU_DEP_2) | instskip(NEXT) | instid1(VALU_DEP_1)
	v_cvt_u32_f32_e32 v8, v8
	v_xor_b32_e32 v8, v8, v7
	s_delay_alu instid0(VALU_DEP_1)
	v_sub_nc_u32_e32 v7, v8, v7
	s_branch .LBB151_1803
.LBB151_1743:
                                        ; implicit-def: $vgpr7
	s_cbranch_execz .LBB151_1864
; %bb.1744:
	v_cmp_gt_i16_e32 vcc_lo, 5, v21
	s_cbranch_vccnz .LBB151_1750
; %bb.1745:
	v_cmp_gt_i16_e32 vcc_lo, 8, v21
	s_cbranch_vccnz .LBB151_1752
	;; [unrolled: 3-line block ×3, first 2 shown]
; %bb.1747:
	v_cmp_lt_i16_e32 vcc_lo, 9, v21
	s_cbranch_vccz .LBB151_1760
; %bb.1748:
	global_load_b64 v[7:8], v[15:16], off
	s_mov_b32 s2, 0
	s_waitcnt vmcnt(0)
	v_trunc_f64_e32 v[7:8], v[7:8]
	s_delay_alu instid0(VALU_DEP_1) | instskip(NEXT) | instid1(VALU_DEP_1)
	v_ldexp_f64 v[17:18], v[7:8], 0xffffffe0
	v_floor_f64_e32 v[17:18], v[17:18]
	s_delay_alu instid0(VALU_DEP_1) | instskip(NEXT) | instid1(VALU_DEP_1)
	v_fma_f64 v[7:8], 0xc1f00000, v[17:18], v[7:8]
	v_cvt_u32_f64_e32 v7, v[7:8]
	s_branch .LBB151_1761
.LBB151_1749:
	s_mov_b32 s2, 0
                                        ; implicit-def: $vgpr7
	s_cbranch_execnz .LBB151_1830
	s_branch .LBB151_1860
.LBB151_1750:
                                        ; implicit-def: $vgpr7
	s_branch .LBB151_1779
.LBB151_1751:
	s_mov_b32 s12, -1
	s_mov_b32 s2, 0
                                        ; implicit-def: $vgpr7
	s_branch .LBB151_1813
.LBB151_1752:
	s_mov_b32 s2, -1
                                        ; implicit-def: $vgpr7
	s_branch .LBB151_1767
.LBB151_1753:
	s_mov_b32 s12, -1
	s_mov_b32 s2, 0
                                        ; implicit-def: $vgpr7
	s_branch .LBB151_1808
.LBB151_1754:
	s_mov_b32 s2, -1
                                        ; implicit-def: $vgpr7
	s_branch .LBB151_1764
.LBB151_1755:
	s_cbranch_execnz .LBB151_1799
; %bb.1756:
	s_or_b32 s10, s8, exec_lo
                                        ; implicit-def: $vgpr0_vgpr1
	s_cbranch_execz .LBB151_1733
	s_branch .LBB151_1734
.LBB151_1757:
	s_mov_b32 s12, -1
	s_mov_b32 s2, 0
	s_branch .LBB151_1802
.LBB151_1758:
	s_or_saveexec_b32 s7, s7
                                        ; implicit-def: $sgpr8
	s_delay_alu instid0(SALU_CYCLE_1)
	s_xor_b32 exec_lo, exec_lo, s7
	s_cbranch_execz .LBB151_1477
.LBB151_1759:
	v_add_f32_e64 v3, 0x46000000, |v2|
	s_and_not1_b32 s5, s5, exec_lo
	s_mov_b32 s8, 0
	s_delay_alu instid0(VALU_DEP_1) | instskip(NEXT) | instid1(VALU_DEP_1)
	v_and_b32_e32 v3, 0xff, v3
	v_cmp_ne_u32_e32 vcc_lo, 0, v3
	s_and_b32 s9, vcc_lo, exec_lo
	s_delay_alu instid0(SALU_CYCLE_1)
	s_or_b32 s5, s5, s9
	s_or_b32 exec_lo, exec_lo, s7
	v_mov_b32_e32 v4, s8
	s_and_saveexec_b32 s7, s5
	s_cbranch_execnz .LBB151_1478
	s_branch .LBB151_1479
.LBB151_1760:
	s_mov_b32 s2, -1
                                        ; implicit-def: $vgpr7
.LBB151_1761:
	s_delay_alu instid0(SALU_CYCLE_1)
	s_and_not1_b32 vcc_lo, exec_lo, s2
	s_cbranch_vccnz .LBB151_1763
; %bb.1762:
	global_load_b32 v7, v[15:16], off
	s_waitcnt vmcnt(0)
	v_trunc_f32_e32 v7, v7
	s_delay_alu instid0(VALU_DEP_1) | instskip(NEXT) | instid1(VALU_DEP_1)
	v_mul_f32_e64 v8, 0x2f800000, |v7|
	v_floor_f32_e32 v8, v8
	s_delay_alu instid0(VALU_DEP_1) | instskip(SKIP_1) | instid1(VALU_DEP_2)
	v_fma_f32 v8, 0xcf800000, v8, |v7|
	v_ashrrev_i32_e32 v7, 31, v7
	v_cvt_u32_f32_e32 v8, v8
	s_delay_alu instid0(VALU_DEP_1) | instskip(NEXT) | instid1(VALU_DEP_1)
	v_xor_b32_e32 v8, v8, v7
	v_sub_nc_u32_e32 v7, v8, v7
.LBB151_1763:
	s_mov_b32 s2, 0
.LBB151_1764:
	s_delay_alu instid0(SALU_CYCLE_1)
	s_and_not1_b32 vcc_lo, exec_lo, s2
	s_cbranch_vccnz .LBB151_1766
; %bb.1765:
	global_load_b32 v7, v[15:16], off
	s_waitcnt vmcnt(0)
	v_cvt_f32_f16_e32 v7, v7
	s_delay_alu instid0(VALU_DEP_1)
	v_cvt_i32_f32_e32 v7, v7
.LBB151_1766:
	s_mov_b32 s2, 0
.LBB151_1767:
	s_delay_alu instid0(SALU_CYCLE_1)
	s_and_not1_b32 vcc_lo, exec_lo, s2
	s_cbranch_vccnz .LBB151_1778
; %bb.1768:
	v_cmp_gt_i16_e32 vcc_lo, 6, v21
	s_cbranch_vccnz .LBB151_1771
; %bb.1769:
	v_cmp_lt_i16_e32 vcc_lo, 6, v21
	s_cbranch_vccz .LBB151_1772
; %bb.1770:
	global_load_b64 v[7:8], v[15:16], off
	s_mov_b32 s2, 0
	s_waitcnt vmcnt(0)
	v_trunc_f64_e32 v[7:8], v[7:8]
	s_delay_alu instid0(VALU_DEP_1) | instskip(NEXT) | instid1(VALU_DEP_1)
	v_ldexp_f64 v[17:18], v[7:8], 0xffffffe0
	v_floor_f64_e32 v[17:18], v[17:18]
	s_delay_alu instid0(VALU_DEP_1) | instskip(NEXT) | instid1(VALU_DEP_1)
	v_fma_f64 v[7:8], 0xc1f00000, v[17:18], v[7:8]
	v_cvt_u32_f64_e32 v7, v[7:8]
	s_branch .LBB151_1773
.LBB151_1771:
	s_mov_b32 s2, -1
                                        ; implicit-def: $vgpr7
	s_branch .LBB151_1776
.LBB151_1772:
	s_mov_b32 s2, -1
                                        ; implicit-def: $vgpr7
.LBB151_1773:
	s_delay_alu instid0(SALU_CYCLE_1)
	s_and_not1_b32 vcc_lo, exec_lo, s2
	s_cbranch_vccnz .LBB151_1775
; %bb.1774:
	global_load_b32 v7, v[15:16], off
	s_waitcnt vmcnt(0)
	v_trunc_f32_e32 v7, v7
	s_delay_alu instid0(VALU_DEP_1) | instskip(NEXT) | instid1(VALU_DEP_1)
	v_mul_f32_e64 v8, 0x2f800000, |v7|
	v_floor_f32_e32 v8, v8
	s_delay_alu instid0(VALU_DEP_1) | instskip(SKIP_1) | instid1(VALU_DEP_2)
	v_fma_f32 v8, 0xcf800000, v8, |v7|
	v_ashrrev_i32_e32 v7, 31, v7
	v_cvt_u32_f32_e32 v8, v8
	s_delay_alu instid0(VALU_DEP_1) | instskip(NEXT) | instid1(VALU_DEP_1)
	v_xor_b32_e32 v8, v8, v7
	v_sub_nc_u32_e32 v7, v8, v7
.LBB151_1775:
	s_mov_b32 s2, 0
.LBB151_1776:
	s_delay_alu instid0(SALU_CYCLE_1)
	s_and_not1_b32 vcc_lo, exec_lo, s2
	s_cbranch_vccnz .LBB151_1778
; %bb.1777:
	global_load_u16 v7, v[15:16], off
	s_waitcnt vmcnt(0)
	v_cvt_f32_f16_e32 v7, v7
	s_delay_alu instid0(VALU_DEP_1)
	v_cvt_i32_f32_e32 v7, v7
.LBB151_1778:
	s_cbranch_execnz .LBB151_1798
.LBB151_1779:
	v_cmp_gt_i16_e32 vcc_lo, 2, v21
	s_cbranch_vccnz .LBB151_1783
; %bb.1780:
	v_cmp_gt_i16_e32 vcc_lo, 3, v21
	s_cbranch_vccnz .LBB151_1784
; %bb.1781:
	v_cmp_lt_i16_e32 vcc_lo, 3, v21
	s_cbranch_vccz .LBB151_1785
; %bb.1782:
	global_load_b64 v[7:8], v[15:16], off
	s_mov_b32 s2, 0
	s_branch .LBB151_1786
.LBB151_1783:
	s_mov_b32 s2, -1
                                        ; implicit-def: $vgpr7
	s_branch .LBB151_1792
.LBB151_1784:
	s_mov_b32 s2, -1
                                        ; implicit-def: $vgpr7
	s_branch .LBB151_1789
.LBB151_1785:
	s_mov_b32 s2, -1
                                        ; implicit-def: $vgpr7
.LBB151_1786:
	s_delay_alu instid0(SALU_CYCLE_1)
	s_and_not1_b32 vcc_lo, exec_lo, s2
	s_cbranch_vccnz .LBB151_1788
; %bb.1787:
	global_load_b32 v7, v[15:16], off
.LBB151_1788:
	s_mov_b32 s2, 0
.LBB151_1789:
	s_delay_alu instid0(SALU_CYCLE_1)
	s_and_not1_b32 vcc_lo, exec_lo, s2
	s_cbranch_vccnz .LBB151_1791
; %bb.1790:
	global_load_u16 v7, v[15:16], off
.LBB151_1791:
	s_mov_b32 s2, 0
.LBB151_1792:
	s_delay_alu instid0(SALU_CYCLE_1)
	s_and_not1_b32 vcc_lo, exec_lo, s2
	s_cbranch_vccnz .LBB151_1798
; %bb.1793:
	v_cmp_lt_i16_e32 vcc_lo, 0, v21
	s_mov_b32 s2, 0
	s_cbranch_vccz .LBB151_1795
; %bb.1794:
	global_load_u8 v7, v[15:16], off
	s_branch .LBB151_1796
.LBB151_1795:
	s_mov_b32 s2, -1
                                        ; implicit-def: $vgpr7
.LBB151_1796:
	s_delay_alu instid0(SALU_CYCLE_1)
	s_and_not1_b32 vcc_lo, exec_lo, s2
	s_cbranch_vccnz .LBB151_1798
; %bb.1797:
	global_load_u8 v7, v[15:16], off
.LBB151_1798:
	s_branch .LBB151_1865
.LBB151_1799:
	s_trap 2
	s_sendmsg_rtn_b32 s0, sendmsg(MSG_RTN_GET_DOORBELL)
	s_mov_b32 ttmp2, m0
	s_waitcnt lgkmcnt(0)
	s_and_b32 s0, s0, 0x3ff
	s_delay_alu instid0(SALU_CYCLE_1) | instskip(NEXT) | instid1(SALU_CYCLE_1)
	s_bitset1_b32 s0, 10
	s_mov_b32 m0, s0
	s_sendmsg sendmsg(MSG_INTERRUPT)
	s_mov_b32 m0, ttmp2
.LBB151_1800:                           ; =>This Inner Loop Header: Depth=1
	s_sethalt 5
	s_branch .LBB151_1800
.LBB151_1801:
	s_mov_b32 s2, -1
.LBB151_1802:
                                        ; implicit-def: $vgpr7
.LBB151_1803:
	s_and_b32 vcc_lo, exec_lo, s12
	s_cbranch_vccz .LBB151_1807
; %bb.1804:
	v_cmp_eq_u16_e32 vcc_lo, 44, v21
	s_cbranch_vccz .LBB151_1806
; %bb.1805:
	global_load_u8 v7, v[15:16], off
	s_mov_b32 s2, 0
	s_mov_b32 s11, -1
	s_waitcnt vmcnt(0)
	v_lshlrev_b32_e32 v8, 23, v7
	v_cmp_ne_u32_e32 vcc_lo, 0, v7
	s_delay_alu instid0(VALU_DEP_2) | instskip(NEXT) | instid1(VALU_DEP_1)
	v_trunc_f32_e32 v8, v8
	v_mul_f32_e64 v12, 0x2f800000, |v8|
	s_delay_alu instid0(VALU_DEP_1) | instskip(NEXT) | instid1(VALU_DEP_1)
	v_floor_f32_e32 v12, v12
	v_fma_f32 v12, 0xcf800000, v12, |v8|
	v_ashrrev_i32_e32 v8, 31, v8
	s_delay_alu instid0(VALU_DEP_2) | instskip(NEXT) | instid1(VALU_DEP_1)
	v_cvt_u32_f32_e32 v12, v12
	v_xor_b32_e32 v12, v12, v8
	s_delay_alu instid0(VALU_DEP_1) | instskip(NEXT) | instid1(VALU_DEP_1)
	v_sub_nc_u32_e32 v8, v12, v8
	v_cndmask_b32_e32 v7, 0, v8, vcc_lo
	s_branch .LBB151_1807
.LBB151_1806:
	s_mov_b32 s2, -1
                                        ; implicit-def: $vgpr7
.LBB151_1807:
	s_mov_b32 s12, 0
.LBB151_1808:
	s_delay_alu instid0(SALU_CYCLE_1)
	s_and_b32 vcc_lo, exec_lo, s12
	s_cbranch_vccz .LBB151_1812
; %bb.1809:
	v_cmp_eq_u16_e32 vcc_lo, 29, v21
	s_cbranch_vccz .LBB151_1811
; %bb.1810:
	global_load_b64 v[7:8], v[15:16], off
	s_mov_b32 s2, 0
	s_mov_b32 s11, -1
	s_branch .LBB151_1812
.LBB151_1811:
	s_mov_b32 s2, -1
                                        ; implicit-def: $vgpr7
.LBB151_1812:
	s_mov_b32 s12, 0
.LBB151_1813:
	s_delay_alu instid0(SALU_CYCLE_1)
	s_and_b32 vcc_lo, exec_lo, s12
	s_cbranch_vccz .LBB151_1829
; %bb.1814:
	v_cmp_gt_i16_e32 vcc_lo, 27, v21
	s_cbranch_vccnz .LBB151_1817
; %bb.1815:
	v_cmp_lt_i16_e32 vcc_lo, 27, v21
	s_cbranch_vccz .LBB151_1818
; %bb.1816:
	global_load_b32 v7, v[15:16], off
	s_mov_b32 s11, 0
	s_branch .LBB151_1819
.LBB151_1817:
	s_mov_b32 s11, -1
                                        ; implicit-def: $vgpr7
	s_branch .LBB151_1822
.LBB151_1818:
	s_mov_b32 s11, -1
                                        ; implicit-def: $vgpr7
.LBB151_1819:
	s_delay_alu instid0(SALU_CYCLE_1)
	s_and_not1_b32 vcc_lo, exec_lo, s11
	s_cbranch_vccnz .LBB151_1821
; %bb.1820:
	global_load_u16 v7, v[15:16], off
.LBB151_1821:
	s_mov_b32 s11, 0
.LBB151_1822:
	s_delay_alu instid0(SALU_CYCLE_1)
	s_and_not1_b32 vcc_lo, exec_lo, s11
	s_cbranch_vccnz .LBB151_1828
; %bb.1823:
	global_load_u8 v8, v[15:16], off
	s_mov_b32 s12, 0
	s_mov_b32 s11, exec_lo
                                        ; implicit-def: $sgpr13
	s_waitcnt vmcnt(0)
	v_cmpx_lt_i16_e32 0x7f, v8
	s_xor_b32 s11, exec_lo, s11
	s_cbranch_execz .LBB151_1839
; %bb.1824:
	v_cmp_ne_u16_e32 vcc_lo, 0x80, v8
	s_mov_b32 s13, 0
	s_and_b32 s12, vcc_lo, exec_lo
	s_or_saveexec_b32 s11, s11
	v_mov_b32_e32 v7, s13
	s_xor_b32 exec_lo, exec_lo, s11
	s_cbranch_execnz .LBB151_1840
.LBB151_1825:
	s_or_b32 exec_lo, exec_lo, s11
	s_and_saveexec_b32 s11, s12
	s_cbranch_execz .LBB151_1827
.LBB151_1826:
	v_and_b32_e32 v7, 0xffff, v8
	v_lshlrev_b32_e32 v8, 24, v8
	s_delay_alu instid0(VALU_DEP_2) | instskip(NEXT) | instid1(VALU_DEP_2)
	v_and_b32_e32 v12, 7, v7
	v_and_b32_e32 v8, 0x80000000, v8
	s_delay_alu instid0(VALU_DEP_2) | instskip(NEXT) | instid1(VALU_DEP_1)
	v_clz_i32_u32_e32 v17, v12
	v_min_u32_e32 v17, 32, v17
	s_delay_alu instid0(VALU_DEP_1) | instskip(SKIP_1) | instid1(VALU_DEP_2)
	v_subrev_nc_u32_e32 v18, 28, v17
	v_sub_nc_u32_e32 v17, 29, v17
	v_lshlrev_b32_e32 v18, v18, v7
	v_bfe_u32 v7, v7, 3, 4
	s_delay_alu instid0(VALU_DEP_2) | instskip(NEXT) | instid1(VALU_DEP_2)
	v_and_b32_e32 v18, 7, v18
	v_cmp_eq_u32_e32 vcc_lo, 0, v7
	s_delay_alu instid0(VALU_DEP_2) | instskip(NEXT) | instid1(VALU_DEP_1)
	v_dual_cndmask_b32 v7, v7, v17 :: v_dual_cndmask_b32 v12, v12, v18
	v_lshl_add_u32 v7, v7, 23, 0x3b800000
	s_delay_alu instid0(VALU_DEP_2) | instskip(NEXT) | instid1(VALU_DEP_1)
	v_lshlrev_b32_e32 v12, 20, v12
	v_or3_b32 v7, v8, v7, v12
	s_delay_alu instid0(VALU_DEP_1) | instskip(NEXT) | instid1(VALU_DEP_1)
	v_trunc_f32_e32 v7, v7
	v_mul_f32_e64 v8, 0x2f800000, |v7|
	s_delay_alu instid0(VALU_DEP_1) | instskip(NEXT) | instid1(VALU_DEP_1)
	v_floor_f32_e32 v8, v8
	v_fma_f32 v8, 0xcf800000, v8, |v7|
	v_ashrrev_i32_e32 v7, 31, v7
	s_delay_alu instid0(VALU_DEP_2) | instskip(NEXT) | instid1(VALU_DEP_1)
	v_cvt_u32_f32_e32 v8, v8
	v_xor_b32_e32 v8, v8, v7
	s_delay_alu instid0(VALU_DEP_1)
	v_sub_nc_u32_e32 v7, v8, v7
.LBB151_1827:
	s_or_b32 exec_lo, exec_lo, s11
.LBB151_1828:
	s_mov_b32 s11, -1
.LBB151_1829:
	s_branch .LBB151_1860
.LBB151_1830:
	v_cmp_lt_i16_e32 vcc_lo, 22, v21
	s_cbranch_vccz .LBB151_1838
; %bb.1831:
	v_cmp_gt_i16_e32 vcc_lo, 24, v21
	s_cbranch_vccnz .LBB151_1841
; %bb.1832:
	v_cmp_lt_i16_e32 vcc_lo, 24, v21
	s_cbranch_vccz .LBB151_1842
; %bb.1833:
	global_load_u8 v8, v[15:16], off
	s_mov_b32 s11, 0
	s_mov_b32 s3, exec_lo
                                        ; implicit-def: $sgpr12
	s_waitcnt vmcnt(0)
	v_cmpx_lt_i16_e32 0x7f, v8
	s_xor_b32 s3, exec_lo, s3
	s_cbranch_execz .LBB151_1854
; %bb.1834:
	v_cmp_ne_u16_e32 vcc_lo, 0x80, v8
	s_mov_b32 s12, 0
	s_and_b32 s11, vcc_lo, exec_lo
	s_or_saveexec_b32 s3, s3
	v_mov_b32_e32 v7, s12
	s_xor_b32 exec_lo, exec_lo, s3
	s_cbranch_execnz .LBB151_1855
.LBB151_1835:
	s_or_b32 exec_lo, exec_lo, s3
	s_and_saveexec_b32 s3, s11
	s_cbranch_execz .LBB151_1837
.LBB151_1836:
	v_and_b32_e32 v7, 0xffff, v8
	v_lshlrev_b32_e32 v8, 24, v8
	s_delay_alu instid0(VALU_DEP_2) | instskip(NEXT) | instid1(VALU_DEP_2)
	v_and_b32_e32 v12, 3, v7
	v_and_b32_e32 v8, 0x80000000, v8
	s_delay_alu instid0(VALU_DEP_2) | instskip(NEXT) | instid1(VALU_DEP_1)
	v_clz_i32_u32_e32 v17, v12
	v_min_u32_e32 v17, 32, v17
	s_delay_alu instid0(VALU_DEP_1) | instskip(SKIP_1) | instid1(VALU_DEP_2)
	v_subrev_nc_u32_e32 v18, 29, v17
	v_sub_nc_u32_e32 v17, 30, v17
	v_lshlrev_b32_e32 v18, v18, v7
	v_bfe_u32 v7, v7, 2, 5
	s_delay_alu instid0(VALU_DEP_2) | instskip(NEXT) | instid1(VALU_DEP_2)
	v_and_b32_e32 v18, 3, v18
	v_cmp_eq_u32_e32 vcc_lo, 0, v7
	s_delay_alu instid0(VALU_DEP_2) | instskip(NEXT) | instid1(VALU_DEP_1)
	v_dual_cndmask_b32 v7, v7, v17 :: v_dual_cndmask_b32 v12, v12, v18
	v_lshl_add_u32 v7, v7, 23, 0x37800000
	s_delay_alu instid0(VALU_DEP_2) | instskip(NEXT) | instid1(VALU_DEP_1)
	v_lshlrev_b32_e32 v12, 21, v12
	v_or3_b32 v7, v8, v7, v12
	s_delay_alu instid0(VALU_DEP_1) | instskip(NEXT) | instid1(VALU_DEP_1)
	v_trunc_f32_e32 v7, v7
	v_mul_f32_e64 v8, 0x2f800000, |v7|
	s_delay_alu instid0(VALU_DEP_1) | instskip(NEXT) | instid1(VALU_DEP_1)
	v_floor_f32_e32 v8, v8
	v_fma_f32 v8, 0xcf800000, v8, |v7|
	v_ashrrev_i32_e32 v7, 31, v7
	s_delay_alu instid0(VALU_DEP_2) | instskip(NEXT) | instid1(VALU_DEP_1)
	v_cvt_u32_f32_e32 v8, v8
	v_xor_b32_e32 v8, v8, v7
	s_delay_alu instid0(VALU_DEP_1)
	v_sub_nc_u32_e32 v7, v8, v7
.LBB151_1837:
	s_or_b32 exec_lo, exec_lo, s3
	s_mov_b32 s3, 0
	s_branch .LBB151_1843
.LBB151_1838:
	s_mov_b32 s3, -1
                                        ; implicit-def: $vgpr7
	s_branch .LBB151_1849
.LBB151_1839:
	s_or_saveexec_b32 s11, s11
	v_mov_b32_e32 v7, s13
	s_xor_b32 exec_lo, exec_lo, s11
	s_cbranch_execz .LBB151_1825
.LBB151_1840:
	v_cmp_ne_u16_e32 vcc_lo, 0, v8
	v_mov_b32_e32 v7, 0
	s_and_not1_b32 s12, s12, exec_lo
	s_and_b32 s13, vcc_lo, exec_lo
	s_delay_alu instid0(SALU_CYCLE_1)
	s_or_b32 s12, s12, s13
	s_or_b32 exec_lo, exec_lo, s11
	s_and_saveexec_b32 s11, s12
	s_cbranch_execnz .LBB151_1826
	s_branch .LBB151_1827
.LBB151_1841:
	s_mov_b32 s3, -1
                                        ; implicit-def: $vgpr7
	s_branch .LBB151_1846
.LBB151_1842:
	s_mov_b32 s3, -1
                                        ; implicit-def: $vgpr7
.LBB151_1843:
	s_delay_alu instid0(SALU_CYCLE_1)
	s_and_b32 vcc_lo, exec_lo, s3
	s_cbranch_vccz .LBB151_1845
; %bb.1844:
	global_load_u8 v7, v[15:16], off
	s_waitcnt vmcnt(0)
	v_lshlrev_b32_e32 v7, 24, v7
	s_delay_alu instid0(VALU_DEP_1) | instskip(NEXT) | instid1(VALU_DEP_1)
	v_and_b32_e32 v8, 0x7f000000, v7
	v_clz_i32_u32_e32 v12, v8
	v_add_nc_u32_e32 v18, 0x1000000, v8
	v_cmp_ne_u32_e32 vcc_lo, 0, v8
	s_delay_alu instid0(VALU_DEP_3) | instskip(NEXT) | instid1(VALU_DEP_1)
	v_min_u32_e32 v12, 32, v12
	v_sub_nc_u32_e64 v12, v12, 4 clamp
	s_delay_alu instid0(VALU_DEP_1) | instskip(SKIP_1) | instid1(VALU_DEP_2)
	v_lshlrev_b32_e32 v17, v12, v8
	v_lshlrev_b32_e32 v12, 23, v12
	v_lshrrev_b32_e32 v17, 4, v17
	s_delay_alu instid0(VALU_DEP_1) | instskip(SKIP_1) | instid1(VALU_DEP_2)
	v_sub_nc_u32_e32 v12, v17, v12
	v_ashrrev_i32_e32 v17, 8, v18
	v_add_nc_u32_e32 v12, 0x3c000000, v12
	s_delay_alu instid0(VALU_DEP_1) | instskip(NEXT) | instid1(VALU_DEP_1)
	v_and_or_b32 v12, 0x7f800000, v17, v12
	v_cndmask_b32_e32 v8, 0, v12, vcc_lo
	s_delay_alu instid0(VALU_DEP_1) | instskip(NEXT) | instid1(VALU_DEP_1)
	v_and_or_b32 v7, 0x80000000, v7, v8
	v_trunc_f32_e32 v7, v7
	s_delay_alu instid0(VALU_DEP_1) | instskip(NEXT) | instid1(VALU_DEP_1)
	v_mul_f32_e64 v8, 0x2f800000, |v7|
	v_floor_f32_e32 v8, v8
	s_delay_alu instid0(VALU_DEP_1) | instskip(SKIP_1) | instid1(VALU_DEP_2)
	v_fma_f32 v8, 0xcf800000, v8, |v7|
	v_ashrrev_i32_e32 v7, 31, v7
	v_cvt_u32_f32_e32 v8, v8
	s_delay_alu instid0(VALU_DEP_1) | instskip(NEXT) | instid1(VALU_DEP_1)
	v_xor_b32_e32 v8, v8, v7
	v_sub_nc_u32_e32 v7, v8, v7
.LBB151_1845:
	s_mov_b32 s3, 0
.LBB151_1846:
	s_delay_alu instid0(SALU_CYCLE_1)
	s_and_not1_b32 vcc_lo, exec_lo, s3
	s_cbranch_vccnz .LBB151_1848
; %bb.1847:
	global_load_u8 v7, v[15:16], off
	s_waitcnt vmcnt(0)
	v_lshlrev_b32_e32 v8, 25, v7
	v_lshlrev_b16 v7, 8, v7
	s_delay_alu instid0(VALU_DEP_1) | instskip(SKIP_1) | instid1(VALU_DEP_2)
	v_and_or_b32 v17, 0x7f00, v7, 0.5
	v_bfe_i32 v7, v7, 0, 16
	v_add_f32_e32 v17, -0.5, v17
	v_lshrrev_b32_e32 v12, 4, v8
	v_cmp_gt_u32_e32 vcc_lo, 0x8000000, v8
	s_delay_alu instid0(VALU_DEP_2) | instskip(NEXT) | instid1(VALU_DEP_1)
	v_or_b32_e32 v12, 0x70000000, v12
	v_mul_f32_e32 v12, 0x7800000, v12
	s_delay_alu instid0(VALU_DEP_1) | instskip(NEXT) | instid1(VALU_DEP_1)
	v_cndmask_b32_e32 v8, v12, v17, vcc_lo
	v_and_or_b32 v7, 0x80000000, v7, v8
	s_delay_alu instid0(VALU_DEP_1) | instskip(NEXT) | instid1(VALU_DEP_1)
	v_trunc_f32_e32 v7, v7
	v_mul_f32_e64 v8, 0x2f800000, |v7|
	s_delay_alu instid0(VALU_DEP_1) | instskip(NEXT) | instid1(VALU_DEP_1)
	v_floor_f32_e32 v8, v8
	v_fma_f32 v8, 0xcf800000, v8, |v7|
	v_ashrrev_i32_e32 v7, 31, v7
	s_delay_alu instid0(VALU_DEP_2) | instskip(NEXT) | instid1(VALU_DEP_1)
	v_cvt_u32_f32_e32 v8, v8
	v_xor_b32_e32 v8, v8, v7
	s_delay_alu instid0(VALU_DEP_1)
	v_sub_nc_u32_e32 v7, v8, v7
.LBB151_1848:
	s_mov_b32 s3, 0
	s_mov_b32 s11, -1
.LBB151_1849:
	s_and_not1_b32 vcc_lo, exec_lo, s3
	s_mov_b32 s3, 0
	s_cbranch_vccnz .LBB151_1860
; %bb.1850:
	v_cmp_lt_i16_e32 vcc_lo, 14, v21
	s_cbranch_vccz .LBB151_1853
; %bb.1851:
	v_cmp_eq_u16_e32 vcc_lo, 15, v21
	s_cbranch_vccz .LBB151_1856
; %bb.1852:
	global_load_u16 v7, v[15:16], off
	s_mov_b32 s2, 0
	s_mov_b32 s11, -1
	s_waitcnt vmcnt(0)
	v_lshlrev_b32_e32 v7, 16, v7
	s_delay_alu instid0(VALU_DEP_1) | instskip(NEXT) | instid1(VALU_DEP_1)
	v_trunc_f32_e32 v7, v7
	v_mul_f32_e64 v8, 0x2f800000, |v7|
	s_delay_alu instid0(VALU_DEP_1) | instskip(NEXT) | instid1(VALU_DEP_1)
	v_floor_f32_e32 v8, v8
	v_fma_f32 v8, 0xcf800000, v8, |v7|
	v_ashrrev_i32_e32 v7, 31, v7
	s_delay_alu instid0(VALU_DEP_2) | instskip(NEXT) | instid1(VALU_DEP_1)
	v_cvt_u32_f32_e32 v8, v8
	v_xor_b32_e32 v8, v8, v7
	s_delay_alu instid0(VALU_DEP_1)
	v_sub_nc_u32_e32 v7, v8, v7
	s_branch .LBB151_1858
.LBB151_1853:
	s_mov_b32 s3, -1
	s_branch .LBB151_1857
.LBB151_1854:
	s_or_saveexec_b32 s3, s3
	v_mov_b32_e32 v7, s12
	s_xor_b32 exec_lo, exec_lo, s3
	s_cbranch_execz .LBB151_1835
.LBB151_1855:
	v_cmp_ne_u16_e32 vcc_lo, 0, v8
	v_mov_b32_e32 v7, 0
	s_and_not1_b32 s11, s11, exec_lo
	s_and_b32 s12, vcc_lo, exec_lo
	s_delay_alu instid0(SALU_CYCLE_1)
	s_or_b32 s11, s11, s12
	s_or_b32 exec_lo, exec_lo, s3
	s_and_saveexec_b32 s3, s11
	s_cbranch_execnz .LBB151_1836
	s_branch .LBB151_1837
.LBB151_1856:
	s_mov_b32 s2, -1
.LBB151_1857:
                                        ; implicit-def: $vgpr7
.LBB151_1858:
	s_and_b32 vcc_lo, exec_lo, s3
	s_mov_b32 s3, 0
	s_cbranch_vccz .LBB151_1860
; %bb.1859:
	v_cmp_ne_u16_e64 s2, 11, v21
	s_mov_b32 s3, -1
                                        ; implicit-def: $vgpr7
.LBB151_1860:
	s_delay_alu instid0(VALU_DEP_1)
	s_and_b32 vcc_lo, exec_lo, s2
	s_cbranch_vccnz .LBB151_1884
; %bb.1861:
	s_and_not1_b32 vcc_lo, exec_lo, s3
	s_cbranch_vccnz .LBB151_1863
.LBB151_1862:
	global_load_u8 v7, v[15:16], off
	s_mov_b32 s11, -1
	s_waitcnt vmcnt(0)
	v_cmp_ne_u16_e32 vcc_lo, 0, v7
	v_cndmask_b32_e64 v7, 0, 1, vcc_lo
.LBB151_1863:
.LBB151_1864:
	s_and_not1_b32 vcc_lo, exec_lo, s11
	s_cbranch_vccnz .LBB151_3049
.LBB151_1865:
	v_cmp_gt_i16_e32 vcc_lo, 11, v19
	v_add_co_u32 v15, s2, s6, v9
	s_delay_alu instid0(VALU_DEP_1)
	v_add_co_ci_u32_e64 v16, null, s7, 0, s2
	s_mov_b32 s2, 0
	s_cbranch_vccnz .LBB151_1872
; %bb.1866:
	v_cmp_lt_i16_e32 vcc_lo, 25, v19
	s_mov_b32 s12, 0
	s_cbranch_vccz .LBB151_1878
; %bb.1867:
	v_cmp_lt_i16_e32 vcc_lo, 28, v19
	s_cbranch_vccz .LBB151_1880
; %bb.1868:
	v_cmp_lt_i16_e32 vcc_lo, 43, v19
	s_cbranch_vccz .LBB151_1882
; %bb.1869:
	v_cmp_lt_i16_e32 vcc_lo, 45, v19
	s_cbranch_vccz .LBB151_1888
; %bb.1870:
	v_cmp_eq_u16_e32 vcc_lo, 46, v19
	s_mov_b32 s3, 0
	s_cbranch_vccz .LBB151_1931
; %bb.1871:
	global_load_b32 v8, v[15:16], off
	s_mov_b32 s11, 0
	s_mov_b32 s2, -1
	s_waitcnt vmcnt(0)
	v_lshlrev_b32_e32 v8, 16, v8
	s_delay_alu instid0(VALU_DEP_1)
	v_cvt_f64_f32_e32 v[8:9], v8
	s_branch .LBB151_1933
.LBB151_1872:
                                        ; implicit-def: $vgpr8_vgpr9
	s_cbranch_execz .LBB151_1999
; %bb.1873:
	v_cmp_gt_i16_e32 vcc_lo, 5, v19
	s_cbranch_vccnz .LBB151_1879
; %bb.1874:
	v_cmp_gt_i16_e32 vcc_lo, 8, v19
	s_cbranch_vccnz .LBB151_1881
	;; [unrolled: 3-line block ×3, first 2 shown]
; %bb.1876:
	v_cmp_lt_i16_e32 vcc_lo, 9, v19
	s_cbranch_vccz .LBB151_1889
; %bb.1877:
	global_load_b64 v[8:9], v[15:16], off
	s_mov_b32 s2, 0
	s_branch .LBB151_1890
.LBB151_1878:
	s_mov_b32 s3, -1
	s_mov_b32 s11, 0
                                        ; implicit-def: $vgpr8_vgpr9
	s_branch .LBB151_1964
.LBB151_1879:
	s_mov_b32 s2, -1
                                        ; implicit-def: $vgpr8_vgpr9
	s_branch .LBB151_1908
.LBB151_1880:
	s_mov_b32 s3, -1
	s_mov_b32 s11, 0
                                        ; implicit-def: $vgpr8_vgpr9
	s_branch .LBB151_1943
.LBB151_1881:
	s_mov_b32 s2, -1
                                        ; implicit-def: $vgpr8_vgpr9
	s_branch .LBB151_1896
.LBB151_1882:
	s_mov_b32 s3, -1
	s_mov_b32 s11, 0
                                        ; implicit-def: $vgpr8_vgpr9
	s_branch .LBB151_1938
.LBB151_1883:
	s_mov_b32 s2, -1
                                        ; implicit-def: $vgpr8_vgpr9
	s_branch .LBB151_1893
.LBB151_1884:
	s_cbranch_execnz .LBB151_1929
; %bb.1885:
	s_or_b32 s10, s10, exec_lo
                                        ; implicit-def: $vgpr7
	s_cbranch_execz .LBB151_1862
	s_branch .LBB151_1863
.LBB151_1886:
	s_or_saveexec_b32 s8, s8
                                        ; implicit-def: $sgpr9
	s_delay_alu instid0(SALU_CYCLE_1)
	s_xor_b32 exec_lo, exec_lo, s8
	s_cbranch_execz .LBB151_1489
.LBB151_1887:
	v_add_f32_e64 v3, 0x42800000, |v2|
	s_and_not1_b32 s7, s7, exec_lo
	s_mov_b32 s9, 0
	s_delay_alu instid0(VALU_DEP_1) | instskip(NEXT) | instid1(VALU_DEP_1)
	v_and_b32_e32 v3, 0xff, v3
	v_cmp_ne_u32_e32 vcc_lo, 0, v3
	s_and_b32 s10, vcc_lo, exec_lo
	s_delay_alu instid0(SALU_CYCLE_1)
	s_or_b32 s7, s7, s10
	s_or_b32 exec_lo, exec_lo, s8
	v_mov_b32_e32 v4, s9
	s_and_saveexec_b32 s8, s7
	s_cbranch_execnz .LBB151_1490
	s_branch .LBB151_1491
.LBB151_1888:
	s_mov_b32 s3, -1
	s_mov_b32 s11, 0
	s_branch .LBB151_1932
.LBB151_1889:
	s_mov_b32 s2, -1
                                        ; implicit-def: $vgpr8_vgpr9
.LBB151_1890:
	s_delay_alu instid0(SALU_CYCLE_1)
	s_and_not1_b32 vcc_lo, exec_lo, s2
	s_cbranch_vccnz .LBB151_1892
; %bb.1891:
	global_load_b32 v8, v[15:16], off
	s_waitcnt vmcnt(0)
	v_cvt_f64_f32_e32 v[8:9], v8
.LBB151_1892:
	s_mov_b32 s2, 0
.LBB151_1893:
	s_delay_alu instid0(SALU_CYCLE_1)
	s_and_not1_b32 vcc_lo, exec_lo, s2
	s_cbranch_vccnz .LBB151_1895
; %bb.1894:
	global_load_b32 v8, v[15:16], off
	s_waitcnt vmcnt(0)
	v_cvt_f32_f16_e32 v8, v8
	s_delay_alu instid0(VALU_DEP_1)
	v_cvt_f64_f32_e32 v[8:9], v8
.LBB151_1895:
	s_mov_b32 s2, 0
.LBB151_1896:
	s_delay_alu instid0(SALU_CYCLE_1)
	s_and_not1_b32 vcc_lo, exec_lo, s2
	s_cbranch_vccnz .LBB151_1907
; %bb.1897:
	v_cmp_gt_i16_e32 vcc_lo, 6, v19
	s_cbranch_vccnz .LBB151_1900
; %bb.1898:
	v_cmp_lt_i16_e32 vcc_lo, 6, v19
	s_cbranch_vccz .LBB151_1901
; %bb.1899:
	global_load_b64 v[8:9], v[15:16], off
	s_mov_b32 s2, 0
	s_branch .LBB151_1902
.LBB151_1900:
	s_mov_b32 s2, -1
                                        ; implicit-def: $vgpr8_vgpr9
	s_branch .LBB151_1905
.LBB151_1901:
	s_mov_b32 s2, -1
                                        ; implicit-def: $vgpr8_vgpr9
.LBB151_1902:
	s_delay_alu instid0(SALU_CYCLE_1)
	s_and_not1_b32 vcc_lo, exec_lo, s2
	s_cbranch_vccnz .LBB151_1904
; %bb.1903:
	global_load_b32 v8, v[15:16], off
	s_waitcnt vmcnt(0)
	v_cvt_f64_f32_e32 v[8:9], v8
.LBB151_1904:
	s_mov_b32 s2, 0
.LBB151_1905:
	s_delay_alu instid0(SALU_CYCLE_1)
	s_and_not1_b32 vcc_lo, exec_lo, s2
	s_cbranch_vccnz .LBB151_1907
; %bb.1906:
	global_load_u16 v8, v[15:16], off
	s_waitcnt vmcnt(0)
	v_cvt_f32_f16_e32 v8, v8
	s_delay_alu instid0(VALU_DEP_1)
	v_cvt_f64_f32_e32 v[8:9], v8
.LBB151_1907:
	s_mov_b32 s2, 0
.LBB151_1908:
	s_delay_alu instid0(SALU_CYCLE_1)
	s_and_not1_b32 vcc_lo, exec_lo, s2
	s_cbranch_vccnz .LBB151_1928
; %bb.1909:
	v_cmp_gt_i16_e32 vcc_lo, 2, v19
	s_cbranch_vccnz .LBB151_1913
; %bb.1910:
	v_cmp_gt_i16_e32 vcc_lo, 3, v19
	s_cbranch_vccnz .LBB151_1914
; %bb.1911:
	v_cmp_lt_i16_e32 vcc_lo, 3, v19
	s_cbranch_vccz .LBB151_1915
; %bb.1912:
	global_load_b64 v[8:9], v[15:16], off
	s_mov_b32 s2, 0
	s_waitcnt vmcnt(0)
	v_cvt_f64_i32_e32 v[17:18], v9
	v_cvt_f64_u32_e32 v[8:9], v8
	s_delay_alu instid0(VALU_DEP_2) | instskip(NEXT) | instid1(VALU_DEP_1)
	v_ldexp_f64 v[17:18], v[17:18], 32
	v_add_f64 v[8:9], v[17:18], v[8:9]
	s_branch .LBB151_1916
.LBB151_1913:
	s_mov_b32 s2, -1
                                        ; implicit-def: $vgpr8_vgpr9
	s_branch .LBB151_1922
.LBB151_1914:
	s_mov_b32 s2, -1
                                        ; implicit-def: $vgpr8_vgpr9
	s_branch .LBB151_1919
.LBB151_1915:
	s_mov_b32 s2, -1
                                        ; implicit-def: $vgpr8_vgpr9
.LBB151_1916:
	s_delay_alu instid0(SALU_CYCLE_1)
	s_and_not1_b32 vcc_lo, exec_lo, s2
	s_cbranch_vccnz .LBB151_1918
; %bb.1917:
	global_load_b32 v8, v[15:16], off
	s_waitcnt vmcnt(0)
	v_cvt_f64_i32_e32 v[8:9], v8
.LBB151_1918:
	s_mov_b32 s2, 0
.LBB151_1919:
	s_delay_alu instid0(SALU_CYCLE_1)
	s_and_not1_b32 vcc_lo, exec_lo, s2
	s_cbranch_vccnz .LBB151_1921
; %bb.1920:
	global_load_i16 v8, v[15:16], off
	s_waitcnt vmcnt(0)
	v_cvt_f64_i32_e32 v[8:9], v8
.LBB151_1921:
	s_mov_b32 s2, 0
.LBB151_1922:
	s_delay_alu instid0(SALU_CYCLE_1)
	s_and_not1_b32 vcc_lo, exec_lo, s2
	s_cbranch_vccnz .LBB151_1928
; %bb.1923:
	v_cmp_lt_i16_e32 vcc_lo, 0, v19
	s_mov_b32 s2, 0
	s_cbranch_vccz .LBB151_1925
; %bb.1924:
	global_load_i8 v8, v[15:16], off
	s_waitcnt vmcnt(0)
	v_cvt_f64_i32_e32 v[8:9], v8
	s_branch .LBB151_1926
.LBB151_1925:
	s_mov_b32 s2, -1
                                        ; implicit-def: $vgpr8_vgpr9
.LBB151_1926:
	s_delay_alu instid0(SALU_CYCLE_1)
	s_and_not1_b32 vcc_lo, exec_lo, s2
	s_cbranch_vccnz .LBB151_1928
; %bb.1927:
	global_load_u8 v8, v[15:16], off
	s_waitcnt vmcnt(0)
	v_cvt_f64_u32_e32 v[8:9], v8
.LBB151_1928:
	s_branch .LBB151_2000
.LBB151_1929:
	s_trap 2
	s_sendmsg_rtn_b32 s0, sendmsg(MSG_RTN_GET_DOORBELL)
	s_mov_b32 ttmp2, m0
	s_waitcnt lgkmcnt(0)
	s_and_b32 s0, s0, 0x3ff
	s_delay_alu instid0(SALU_CYCLE_1) | instskip(NEXT) | instid1(SALU_CYCLE_1)
	s_bitset1_b32 s0, 10
	s_mov_b32 m0, s0
	s_sendmsg sendmsg(MSG_INTERRUPT)
	s_mov_b32 m0, ttmp2
.LBB151_1930:                           ; =>This Inner Loop Header: Depth=1
	s_sethalt 5
	s_branch .LBB151_1930
.LBB151_1931:
	s_mov_b32 s11, -1
.LBB151_1932:
                                        ; implicit-def: $vgpr8_vgpr9
.LBB151_1933:
	s_and_b32 vcc_lo, exec_lo, s3
	s_cbranch_vccz .LBB151_1937
; %bb.1934:
	v_cmp_eq_u16_e32 vcc_lo, 44, v19
	s_cbranch_vccz .LBB151_1936
; %bb.1935:
	global_load_u8 v12, v[15:16], off
	s_mov_b32 s11, 0
	s_mov_b32 s2, -1
	s_waitcnt vmcnt(0)
	v_cmp_ne_u32_e32 vcc_lo, 0xff, v12
	v_lshlrev_b32_e32 v8, 23, v12
	s_delay_alu instid0(VALU_DEP_1) | instskip(NEXT) | instid1(VALU_DEP_1)
	v_cvt_f64_f32_e32 v[8:9], v8
	v_cndmask_b32_e32 v9, 0x7ff80000, v9, vcc_lo
	s_delay_alu instid0(VALU_DEP_2) | instskip(SKIP_1) | instid1(VALU_DEP_3)
	v_cndmask_b32_e32 v8, 0x20000000, v8, vcc_lo
	v_cmp_ne_u32_e32 vcc_lo, 0, v12
	v_cndmask_b32_e32 v9, 0x38000000, v9, vcc_lo
	s_delay_alu instid0(VALU_DEP_3)
	v_cndmask_b32_e32 v8, 0, v8, vcc_lo
	s_branch .LBB151_1937
.LBB151_1936:
	s_mov_b32 s11, -1
                                        ; implicit-def: $vgpr8_vgpr9
.LBB151_1937:
	s_mov_b32 s3, 0
.LBB151_1938:
	s_delay_alu instid0(SALU_CYCLE_1)
	s_and_b32 vcc_lo, exec_lo, s3
	s_cbranch_vccz .LBB151_1942
; %bb.1939:
	v_cmp_eq_u16_e32 vcc_lo, 29, v19
	s_cbranch_vccz .LBB151_1941
; %bb.1940:
	global_load_b64 v[8:9], v[15:16], off
	s_mov_b32 s11, 0
	s_mov_b32 s2, -1
	s_mov_b32 s3, 0
	s_waitcnt vmcnt(0)
	v_cvt_f64_u32_e32 v[17:18], v9
	v_cvt_f64_u32_e32 v[8:9], v8
	s_delay_alu instid0(VALU_DEP_2) | instskip(NEXT) | instid1(VALU_DEP_1)
	v_ldexp_f64 v[17:18], v[17:18], 32
	v_add_f64 v[8:9], v[17:18], v[8:9]
	s_branch .LBB151_1943
.LBB151_1941:
	s_mov_b32 s11, -1
                                        ; implicit-def: $vgpr8_vgpr9
.LBB151_1942:
	s_mov_b32 s3, 0
.LBB151_1943:
	s_delay_alu instid0(SALU_CYCLE_1)
	s_and_b32 vcc_lo, exec_lo, s3
	s_cbranch_vccz .LBB151_1963
; %bb.1944:
	v_cmp_gt_i16_e32 vcc_lo, 27, v19
	s_cbranch_vccnz .LBB151_1947
; %bb.1945:
	v_cmp_lt_i16_e32 vcc_lo, 27, v19
	s_cbranch_vccz .LBB151_1948
; %bb.1946:
	global_load_b32 v8, v[15:16], off
	s_mov_b32 s2, 0
	s_waitcnt vmcnt(0)
	v_cvt_f64_u32_e32 v[8:9], v8
	s_branch .LBB151_1949
.LBB151_1947:
	s_mov_b32 s2, -1
                                        ; implicit-def: $vgpr8_vgpr9
	s_branch .LBB151_1952
.LBB151_1948:
	s_mov_b32 s2, -1
                                        ; implicit-def: $vgpr8_vgpr9
.LBB151_1949:
	s_delay_alu instid0(SALU_CYCLE_1)
	s_and_not1_b32 vcc_lo, exec_lo, s2
	s_cbranch_vccnz .LBB151_1951
; %bb.1950:
	global_load_u16 v8, v[15:16], off
	s_waitcnt vmcnt(0)
	v_cvt_f64_u32_e32 v[8:9], v8
.LBB151_1951:
	s_mov_b32 s2, 0
.LBB151_1952:
	s_delay_alu instid0(SALU_CYCLE_1)
	s_and_not1_b32 vcc_lo, exec_lo, s2
	s_cbranch_vccnz .LBB151_1962
; %bb.1953:
	global_load_u8 v12, v[15:16], off
	s_mov_b32 s13, 0
	s_mov_b32 s14, exec_lo
                                        ; implicit-def: $sgpr2_sgpr3
	s_waitcnt vmcnt(0)
	v_cmpx_lt_i16_e32 0x7f, v12
	s_xor_b32 s14, exec_lo, s14
	s_cbranch_execz .LBB151_1957
; %bb.1954:
	s_mov_b32 s15, -1
	s_mov_b32 s13, exec_lo
                                        ; implicit-def: $sgpr2_sgpr3
	v_cmpx_eq_u16_e32 0x80, v12
; %bb.1955:
	s_mov_b32 s3, 0x7ff80000
	s_brev_b32 s2, 4
	s_xor_b32 s15, exec_lo, -1
; %bb.1956:
	s_or_b32 exec_lo, exec_lo, s13
	s_delay_alu instid0(SALU_CYCLE_1)
	s_and_b32 s13, s15, exec_lo
.LBB151_1957:
	s_or_saveexec_b32 s14, s14
	v_dual_mov_b32 v9, s3 :: v_dual_mov_b32 v8, s2
	s_xor_b32 exec_lo, exec_lo, s14
; %bb.1958:
	v_cmp_ne_u16_e32 vcc_lo, 0, v12
	v_mov_b32_e32 v8, 0
	v_mov_b32_e32 v9, 0
	s_and_not1_b32 s2, s13, exec_lo
	s_and_b32 s3, vcc_lo, exec_lo
	s_delay_alu instid0(SALU_CYCLE_1)
	s_or_b32 s13, s2, s3
; %bb.1959:
	s_or_b32 exec_lo, exec_lo, s14
	s_and_saveexec_b32 s2, s13
	s_cbranch_execz .LBB151_1961
; %bb.1960:
	v_and_b32_e32 v8, 0xffff, v12
	v_lshlrev_b32_e32 v12, 24, v12
	s_delay_alu instid0(VALU_DEP_2) | instskip(NEXT) | instid1(VALU_DEP_2)
	v_and_b32_e32 v9, 7, v8
	v_and_b32_e32 v12, 0x80000000, v12
	s_delay_alu instid0(VALU_DEP_2) | instskip(NEXT) | instid1(VALU_DEP_1)
	v_clz_i32_u32_e32 v17, v9
	v_min_u32_e32 v17, 32, v17
	s_delay_alu instid0(VALU_DEP_1) | instskip(SKIP_1) | instid1(VALU_DEP_2)
	v_subrev_nc_u32_e32 v18, 28, v17
	v_sub_nc_u32_e32 v17, 29, v17
	v_lshlrev_b32_e32 v18, v18, v8
	v_bfe_u32 v8, v8, 3, 4
	s_delay_alu instid0(VALU_DEP_2) | instskip(NEXT) | instid1(VALU_DEP_2)
	v_and_b32_e32 v18, 7, v18
	v_cmp_eq_u32_e32 vcc_lo, 0, v8
	s_delay_alu instid0(VALU_DEP_2) | instskip(NEXT) | instid1(VALU_DEP_1)
	v_dual_cndmask_b32 v8, v8, v17 :: v_dual_cndmask_b32 v9, v9, v18
	v_lshl_add_u32 v8, v8, 23, 0x3b800000
	s_delay_alu instid0(VALU_DEP_2) | instskip(NEXT) | instid1(VALU_DEP_1)
	v_lshlrev_b32_e32 v9, 20, v9
	v_or3_b32 v8, v12, v8, v9
	s_delay_alu instid0(VALU_DEP_1)
	v_cvt_f64_f32_e32 v[8:9], v8
.LBB151_1961:
	s_or_b32 exec_lo, exec_lo, s2
.LBB151_1962:
	s_mov_b32 s2, -1
.LBB151_1963:
	s_mov_b32 s3, 0
.LBB151_1964:
	s_delay_alu instid0(SALU_CYCLE_1)
	s_and_b32 vcc_lo, exec_lo, s3
	s_cbranch_vccz .LBB151_1995
; %bb.1965:
	v_cmp_lt_i16_e32 vcc_lo, 22, v19
	s_cbranch_vccz .LBB151_1977
; %bb.1966:
	v_cmp_gt_i16_e32 vcc_lo, 24, v19
	s_cbranch_vccnz .LBB151_1978
; %bb.1967:
	v_cmp_lt_i16_e32 vcc_lo, 24, v19
	s_cbranch_vccz .LBB151_1979
; %bb.1968:
	global_load_u8 v12, v[15:16], off
	s_mov_b32 s13, exec_lo
                                        ; implicit-def: $sgpr2_sgpr3
	s_waitcnt vmcnt(0)
	v_cmpx_lt_i16_e32 0x7f, v12
	s_xor_b32 s13, exec_lo, s13
	s_cbranch_execz .LBB151_1972
; %bb.1969:
	s_mov_b32 s14, -1
	s_mov_b32 s12, exec_lo
                                        ; implicit-def: $sgpr2_sgpr3
	v_cmpx_eq_u16_e32 0x80, v12
; %bb.1970:
	s_mov_b32 s3, 0x7ff80000
	s_brev_b32 s2, 4
	s_xor_b32 s14, exec_lo, -1
; %bb.1971:
	s_or_b32 exec_lo, exec_lo, s12
	s_delay_alu instid0(SALU_CYCLE_1)
	s_and_b32 s12, s14, exec_lo
.LBB151_1972:
	s_or_saveexec_b32 s13, s13
	v_dual_mov_b32 v9, s3 :: v_dual_mov_b32 v8, s2
	s_xor_b32 exec_lo, exec_lo, s13
; %bb.1973:
	v_cmp_ne_u16_e32 vcc_lo, 0, v12
	v_mov_b32_e32 v8, 0
	v_mov_b32_e32 v9, 0
	s_and_not1_b32 s2, s12, exec_lo
	s_and_b32 s3, vcc_lo, exec_lo
	s_delay_alu instid0(SALU_CYCLE_1)
	s_or_b32 s12, s2, s3
; %bb.1974:
	s_or_b32 exec_lo, exec_lo, s13
	s_and_saveexec_b32 s2, s12
	s_cbranch_execz .LBB151_1976
; %bb.1975:
	v_and_b32_e32 v8, 0xffff, v12
	v_lshlrev_b32_e32 v12, 24, v12
	s_delay_alu instid0(VALU_DEP_2) | instskip(NEXT) | instid1(VALU_DEP_2)
	v_and_b32_e32 v9, 3, v8
	v_and_b32_e32 v12, 0x80000000, v12
	s_delay_alu instid0(VALU_DEP_2) | instskip(NEXT) | instid1(VALU_DEP_1)
	v_clz_i32_u32_e32 v17, v9
	v_min_u32_e32 v17, 32, v17
	s_delay_alu instid0(VALU_DEP_1) | instskip(SKIP_1) | instid1(VALU_DEP_2)
	v_subrev_nc_u32_e32 v18, 29, v17
	v_sub_nc_u32_e32 v17, 30, v17
	v_lshlrev_b32_e32 v18, v18, v8
	v_bfe_u32 v8, v8, 2, 5
	s_delay_alu instid0(VALU_DEP_2) | instskip(NEXT) | instid1(VALU_DEP_2)
	v_and_b32_e32 v18, 3, v18
	v_cmp_eq_u32_e32 vcc_lo, 0, v8
	s_delay_alu instid0(VALU_DEP_2) | instskip(NEXT) | instid1(VALU_DEP_1)
	v_dual_cndmask_b32 v8, v8, v17 :: v_dual_cndmask_b32 v9, v9, v18
	v_lshl_add_u32 v8, v8, 23, 0x37800000
	s_delay_alu instid0(VALU_DEP_2) | instskip(NEXT) | instid1(VALU_DEP_1)
	v_lshlrev_b32_e32 v9, 21, v9
	v_or3_b32 v8, v12, v8, v9
	s_delay_alu instid0(VALU_DEP_1)
	v_cvt_f64_f32_e32 v[8:9], v8
.LBB151_1976:
	s_or_b32 exec_lo, exec_lo, s2
	s_mov_b32 s2, 0
	s_branch .LBB151_1980
.LBB151_1977:
	s_mov_b32 s3, -1
                                        ; implicit-def: $vgpr8_vgpr9
	s_branch .LBB151_1986
.LBB151_1978:
	s_mov_b32 s2, -1
                                        ; implicit-def: $vgpr8_vgpr9
	s_branch .LBB151_1983
.LBB151_1979:
	s_mov_b32 s2, -1
                                        ; implicit-def: $vgpr8_vgpr9
.LBB151_1980:
	s_delay_alu instid0(SALU_CYCLE_1)
	s_and_b32 vcc_lo, exec_lo, s2
	s_cbranch_vccz .LBB151_1982
; %bb.1981:
	global_load_u8 v8, v[15:16], off
	s_waitcnt vmcnt(0)
	v_lshlrev_b32_e32 v8, 24, v8
	s_delay_alu instid0(VALU_DEP_1) | instskip(NEXT) | instid1(VALU_DEP_1)
	v_and_b32_e32 v9, 0x7f000000, v8
	v_clz_i32_u32_e32 v12, v9
	v_cmp_ne_u32_e32 vcc_lo, 0, v9
	v_add_nc_u32_e32 v18, 0x1000000, v9
	s_delay_alu instid0(VALU_DEP_3) | instskip(NEXT) | instid1(VALU_DEP_1)
	v_min_u32_e32 v12, 32, v12
	v_sub_nc_u32_e64 v12, v12, 4 clamp
	s_delay_alu instid0(VALU_DEP_1) | instskip(SKIP_1) | instid1(VALU_DEP_2)
	v_lshlrev_b32_e32 v17, v12, v9
	v_lshlrev_b32_e32 v12, 23, v12
	v_lshrrev_b32_e32 v17, 4, v17
	s_delay_alu instid0(VALU_DEP_1) | instskip(SKIP_1) | instid1(VALU_DEP_2)
	v_sub_nc_u32_e32 v12, v17, v12
	v_ashrrev_i32_e32 v17, 8, v18
	v_add_nc_u32_e32 v12, 0x3c000000, v12
	s_delay_alu instid0(VALU_DEP_1) | instskip(NEXT) | instid1(VALU_DEP_1)
	v_and_or_b32 v12, 0x7f800000, v17, v12
	v_cndmask_b32_e32 v9, 0, v12, vcc_lo
	s_delay_alu instid0(VALU_DEP_1) | instskip(NEXT) | instid1(VALU_DEP_1)
	v_and_or_b32 v8, 0x80000000, v8, v9
	v_cvt_f64_f32_e32 v[8:9], v8
.LBB151_1982:
	s_mov_b32 s2, 0
.LBB151_1983:
	s_delay_alu instid0(SALU_CYCLE_1)
	s_and_not1_b32 vcc_lo, exec_lo, s2
	s_cbranch_vccnz .LBB151_1985
; %bb.1984:
	global_load_u8 v8, v[15:16], off
	s_waitcnt vmcnt(0)
	v_lshlrev_b32_e32 v9, 25, v8
	v_lshlrev_b16 v8, 8, v8
	s_delay_alu instid0(VALU_DEP_2) | instskip(NEXT) | instid1(VALU_DEP_2)
	v_lshrrev_b32_e32 v12, 4, v9
	v_and_or_b32 v17, 0x7f00, v8, 0.5
	v_cmp_gt_u32_e32 vcc_lo, 0x8000000, v9
	v_bfe_i32 v8, v8, 0, 16
	s_delay_alu instid0(VALU_DEP_4) | instskip(NEXT) | instid1(VALU_DEP_1)
	v_or_b32_e32 v12, 0x70000000, v12
	v_dual_add_f32 v17, -0.5, v17 :: v_dual_mul_f32 v12, 0x7800000, v12
	s_delay_alu instid0(VALU_DEP_1) | instskip(NEXT) | instid1(VALU_DEP_1)
	v_cndmask_b32_e32 v9, v12, v17, vcc_lo
	v_and_or_b32 v8, 0x80000000, v8, v9
	s_delay_alu instid0(VALU_DEP_1)
	v_cvt_f64_f32_e32 v[8:9], v8
.LBB151_1985:
	s_mov_b32 s3, 0
	s_mov_b32 s2, -1
.LBB151_1986:
	s_and_not1_b32 vcc_lo, exec_lo, s3
	s_mov_b32 s12, 0
	s_cbranch_vccnz .LBB151_1995
; %bb.1987:
	v_cmp_lt_i16_e32 vcc_lo, 14, v19
	s_cbranch_vccz .LBB151_1990
; %bb.1988:
	v_cmp_eq_u16_e32 vcc_lo, 15, v19
	s_cbranch_vccz .LBB151_1991
; %bb.1989:
	global_load_u16 v8, v[15:16], off
	s_mov_b32 s11, 0
	s_mov_b32 s2, -1
	s_waitcnt vmcnt(0)
	v_lshlrev_b32_e32 v8, 16, v8
	s_delay_alu instid0(VALU_DEP_1)
	v_cvt_f64_f32_e32 v[8:9], v8
	s_branch .LBB151_1992
.LBB151_1990:
	s_mov_b32 s3, -1
                                        ; implicit-def: $vgpr8_vgpr9
	s_branch .LBB151_1993
.LBB151_1991:
	s_mov_b32 s11, -1
                                        ; implicit-def: $vgpr8_vgpr9
.LBB151_1992:
	s_mov_b32 s3, 0
.LBB151_1993:
	s_delay_alu instid0(SALU_CYCLE_1)
	s_and_b32 vcc_lo, exec_lo, s3
	s_cbranch_vccz .LBB151_1995
; %bb.1994:
	v_cmp_ne_u16_e64 s11, 11, v19
	s_mov_b32 s12, -1
                                        ; implicit-def: $vgpr8_vgpr9
.LBB151_1995:
	s_delay_alu instid0(VALU_DEP_1)
	s_and_b32 vcc_lo, exec_lo, s11
	s_cbranch_vccnz .LBB151_2011
; %bb.1996:
	s_and_not1_b32 vcc_lo, exec_lo, s12
	s_cbranch_vccnz .LBB151_1998
.LBB151_1997:
	global_load_u8 v8, v[15:16], off
	s_mov_b32 s2, -1
	s_waitcnt vmcnt(0)
	v_cmp_ne_u16_e32 vcc_lo, 0, v8
	v_mov_b32_e32 v8, 0
	v_cndmask_b32_e64 v9, 0, 0x3ff00000, vcc_lo
.LBB151_1998:
.LBB151_1999:
	s_and_not1_b32 vcc_lo, exec_lo, s2
	s_cbranch_vccnz .LBB151_3049
.LBB151_2000:
	v_cmp_gt_i16_e32 vcc_lo, 11, v21
	v_add_co_u32 v15, s2, s0, v11
	s_delay_alu instid0(VALU_DEP_1)
	v_add_co_ci_u32_e64 v16, null, s1, 0, s2
	s_mov_b32 s11, 0
	s_cbranch_vccnz .LBB151_2007
; %bb.2001:
	v_cmp_lt_i16_e32 vcc_lo, 25, v21
	s_mov_b32 s3, 0
	s_cbranch_vccz .LBB151_2008
; %bb.2002:
	v_cmp_lt_i16_e32 vcc_lo, 28, v21
	s_cbranch_vccz .LBB151_2009
; %bb.2003:
	v_cmp_lt_i16_e32 vcc_lo, 43, v21
	s_cbranch_vccz .LBB151_2010
; %bb.2004:
	v_cmp_lt_i16_e32 vcc_lo, 45, v21
	s_cbranch_vccz .LBB151_2013
; %bb.2005:
	v_cmp_eq_u16_e32 vcc_lo, 46, v21
	s_mov_b32 s12, 0
	s_cbranch_vccz .LBB151_2016
; %bb.2006:
	global_load_b32 v11, v[15:16], off
	s_mov_b32 s2, 0
	s_mov_b32 s11, -1
	s_waitcnt vmcnt(0)
	v_lshlrev_b32_e32 v11, 16, v11
	s_delay_alu instid0(VALU_DEP_1) | instskip(NEXT) | instid1(VALU_DEP_1)
	v_trunc_f32_e32 v11, v11
	v_mul_f32_e64 v12, 0x2f800000, |v11|
	s_delay_alu instid0(VALU_DEP_1) | instskip(NEXT) | instid1(VALU_DEP_1)
	v_floor_f32_e32 v12, v12
	v_fma_f32 v12, 0xcf800000, v12, |v11|
	v_ashrrev_i32_e32 v11, 31, v11
	s_delay_alu instid0(VALU_DEP_2) | instskip(NEXT) | instid1(VALU_DEP_1)
	v_cvt_u32_f32_e32 v12, v12
	v_xor_b32_e32 v12, v12, v11
	s_delay_alu instid0(VALU_DEP_1)
	v_sub_nc_u32_e32 v11, v12, v11
	s_branch .LBB151_2018
.LBB151_2007:
	s_mov_b32 s2, -1
                                        ; implicit-def: $vgpr11
	s_branch .LBB151_2080
.LBB151_2008:
	s_mov_b32 s12, -1
	s_mov_b32 s2, 0
                                        ; implicit-def: $vgpr11
	s_branch .LBB151_2045
.LBB151_2009:
	s_mov_b32 s12, -1
	s_mov_b32 s2, 0
                                        ; implicit-def: $vgpr11
	s_branch .LBB151_2028
.LBB151_2010:
	s_mov_b32 s12, -1
	s_mov_b32 s2, 0
                                        ; implicit-def: $vgpr11
	s_branch .LBB151_2023
.LBB151_2011:
	s_cbranch_execnz .LBB151_2014
; %bb.2012:
	s_or_b32 s10, s10, exec_lo
                                        ; implicit-def: $vgpr8_vgpr9
	s_cbranch_execz .LBB151_1997
	s_branch .LBB151_1998
.LBB151_2013:
	s_mov_b32 s12, -1
	s_mov_b32 s2, 0
	s_branch .LBB151_2017
.LBB151_2014:
	s_trap 2
	s_sendmsg_rtn_b32 s0, sendmsg(MSG_RTN_GET_DOORBELL)
	s_mov_b32 ttmp2, m0
	s_waitcnt lgkmcnt(0)
	s_and_b32 s0, s0, 0x3ff
	s_delay_alu instid0(SALU_CYCLE_1) | instskip(NEXT) | instid1(SALU_CYCLE_1)
	s_bitset1_b32 s0, 10
	s_mov_b32 m0, s0
	s_sendmsg sendmsg(MSG_INTERRUPT)
	s_mov_b32 m0, ttmp2
.LBB151_2015:                           ; =>This Inner Loop Header: Depth=1
	s_sethalt 5
	s_branch .LBB151_2015
.LBB151_2016:
	s_mov_b32 s2, -1
.LBB151_2017:
                                        ; implicit-def: $vgpr11
.LBB151_2018:
	s_and_b32 vcc_lo, exec_lo, s12
	s_cbranch_vccz .LBB151_2022
; %bb.2019:
	v_cmp_eq_u16_e32 vcc_lo, 44, v21
	s_cbranch_vccz .LBB151_2021
; %bb.2020:
	global_load_u8 v11, v[15:16], off
	s_mov_b32 s2, 0
	s_mov_b32 s11, -1
	s_waitcnt vmcnt(0)
	v_lshlrev_b32_e32 v12, 23, v11
	v_cmp_ne_u32_e32 vcc_lo, 0, v11
	s_delay_alu instid0(VALU_DEP_2) | instskip(NEXT) | instid1(VALU_DEP_1)
	v_trunc_f32_e32 v12, v12
	v_mul_f32_e64 v17, 0x2f800000, |v12|
	s_delay_alu instid0(VALU_DEP_1) | instskip(NEXT) | instid1(VALU_DEP_1)
	v_floor_f32_e32 v17, v17
	v_fma_f32 v17, 0xcf800000, v17, |v12|
	v_ashrrev_i32_e32 v12, 31, v12
	s_delay_alu instid0(VALU_DEP_2) | instskip(NEXT) | instid1(VALU_DEP_1)
	v_cvt_u32_f32_e32 v17, v17
	v_xor_b32_e32 v17, v17, v12
	s_delay_alu instid0(VALU_DEP_1) | instskip(NEXT) | instid1(VALU_DEP_1)
	v_sub_nc_u32_e32 v12, v17, v12
	v_cndmask_b32_e32 v11, 0, v12, vcc_lo
	s_branch .LBB151_2022
.LBB151_2021:
	s_mov_b32 s2, -1
                                        ; implicit-def: $vgpr11
.LBB151_2022:
	s_mov_b32 s12, 0
.LBB151_2023:
	s_delay_alu instid0(SALU_CYCLE_1)
	s_and_b32 vcc_lo, exec_lo, s12
	s_cbranch_vccz .LBB151_2027
; %bb.2024:
	v_cmp_eq_u16_e32 vcc_lo, 29, v21
	s_cbranch_vccz .LBB151_2026
; %bb.2025:
	global_load_b64 v[11:12], v[15:16], off
	s_mov_b32 s2, 0
	s_mov_b32 s11, -1
	s_branch .LBB151_2027
.LBB151_2026:
	s_mov_b32 s2, -1
                                        ; implicit-def: $vgpr11
.LBB151_2027:
	s_mov_b32 s12, 0
.LBB151_2028:
	s_delay_alu instid0(SALU_CYCLE_1)
	s_and_b32 vcc_lo, exec_lo, s12
	s_cbranch_vccz .LBB151_2044
; %bb.2029:
	v_cmp_gt_i16_e32 vcc_lo, 27, v21
	s_cbranch_vccnz .LBB151_2032
; %bb.2030:
	v_cmp_lt_i16_e32 vcc_lo, 27, v21
	s_cbranch_vccz .LBB151_2033
; %bb.2031:
	global_load_b32 v11, v[15:16], off
	s_mov_b32 s11, 0
	s_branch .LBB151_2034
.LBB151_2032:
	s_mov_b32 s11, -1
                                        ; implicit-def: $vgpr11
	s_branch .LBB151_2037
.LBB151_2033:
	s_mov_b32 s11, -1
                                        ; implicit-def: $vgpr11
.LBB151_2034:
	s_delay_alu instid0(SALU_CYCLE_1)
	s_and_not1_b32 vcc_lo, exec_lo, s11
	s_cbranch_vccnz .LBB151_2036
; %bb.2035:
	global_load_u16 v11, v[15:16], off
.LBB151_2036:
	s_mov_b32 s11, 0
.LBB151_2037:
	s_delay_alu instid0(SALU_CYCLE_1)
	s_and_not1_b32 vcc_lo, exec_lo, s11
	s_cbranch_vccnz .LBB151_2043
; %bb.2038:
	global_load_u8 v12, v[15:16], off
	s_mov_b32 s12, 0
	s_mov_b32 s11, exec_lo
                                        ; implicit-def: $sgpr13
	s_waitcnt vmcnt(0)
	v_cmpx_lt_i16_e32 0x7f, v12
	s_xor_b32 s11, exec_lo, s11
	s_cbranch_execz .LBB151_2055
; %bb.2039:
	v_cmp_ne_u16_e32 vcc_lo, 0x80, v12
	s_mov_b32 s13, 0
	s_and_b32 s12, vcc_lo, exec_lo
	s_or_saveexec_b32 s11, s11
	v_mov_b32_e32 v11, s13
	s_xor_b32 exec_lo, exec_lo, s11
	s_cbranch_execnz .LBB151_2056
.LBB151_2040:
	s_or_b32 exec_lo, exec_lo, s11
	s_and_saveexec_b32 s11, s12
	s_cbranch_execz .LBB151_2042
.LBB151_2041:
	v_and_b32_e32 v11, 0xffff, v12
	v_lshlrev_b32_e32 v12, 24, v12
	s_delay_alu instid0(VALU_DEP_2) | instskip(NEXT) | instid1(VALU_DEP_2)
	v_and_b32_e32 v17, 7, v11
	v_and_b32_e32 v12, 0x80000000, v12
	s_delay_alu instid0(VALU_DEP_2) | instskip(NEXT) | instid1(VALU_DEP_1)
	v_clz_i32_u32_e32 v18, v17
	v_min_u32_e32 v18, 32, v18
	s_delay_alu instid0(VALU_DEP_1) | instskip(SKIP_1) | instid1(VALU_DEP_2)
	v_subrev_nc_u32_e32 v20, 28, v18
	v_sub_nc_u32_e32 v18, 29, v18
	v_lshlrev_b32_e32 v20, v20, v11
	v_bfe_u32 v11, v11, 3, 4
	s_delay_alu instid0(VALU_DEP_1) | instskip(NEXT) | instid1(VALU_DEP_3)
	v_cmp_eq_u32_e32 vcc_lo, 0, v11
	v_dual_cndmask_b32 v11, v11, v18 :: v_dual_and_b32 v20, 7, v20
	s_delay_alu instid0(VALU_DEP_1) | instskip(NEXT) | instid1(VALU_DEP_2)
	v_lshl_add_u32 v11, v11, 23, 0x3b800000
	v_cndmask_b32_e32 v17, v17, v20, vcc_lo
	s_delay_alu instid0(VALU_DEP_1) | instskip(NEXT) | instid1(VALU_DEP_1)
	v_lshlrev_b32_e32 v17, 20, v17
	v_or3_b32 v11, v12, v11, v17
	s_delay_alu instid0(VALU_DEP_1) | instskip(NEXT) | instid1(VALU_DEP_1)
	v_trunc_f32_e32 v11, v11
	v_mul_f32_e64 v12, 0x2f800000, |v11|
	s_delay_alu instid0(VALU_DEP_1) | instskip(NEXT) | instid1(VALU_DEP_1)
	v_floor_f32_e32 v12, v12
	v_fma_f32 v12, 0xcf800000, v12, |v11|
	v_ashrrev_i32_e32 v11, 31, v11
	s_delay_alu instid0(VALU_DEP_2) | instskip(NEXT) | instid1(VALU_DEP_1)
	v_cvt_u32_f32_e32 v12, v12
	v_xor_b32_e32 v12, v12, v11
	s_delay_alu instid0(VALU_DEP_1)
	v_sub_nc_u32_e32 v11, v12, v11
.LBB151_2042:
	s_or_b32 exec_lo, exec_lo, s11
.LBB151_2043:
	s_mov_b32 s11, -1
.LBB151_2044:
	s_mov_b32 s12, 0
.LBB151_2045:
	s_delay_alu instid0(SALU_CYCLE_1)
	s_and_b32 vcc_lo, exec_lo, s12
	s_cbranch_vccz .LBB151_2076
; %bb.2046:
	v_cmp_lt_i16_e32 vcc_lo, 22, v21
	s_cbranch_vccz .LBB151_2054
; %bb.2047:
	v_cmp_gt_i16_e32 vcc_lo, 24, v21
	s_cbranch_vccnz .LBB151_2057
; %bb.2048:
	v_cmp_lt_i16_e32 vcc_lo, 24, v21
	s_cbranch_vccz .LBB151_2058
; %bb.2049:
	global_load_u8 v12, v[15:16], off
	s_mov_b32 s11, 0
	s_mov_b32 s3, exec_lo
                                        ; implicit-def: $sgpr12
	s_waitcnt vmcnt(0)
	v_cmpx_lt_i16_e32 0x7f, v12
	s_xor_b32 s3, exec_lo, s3
	s_cbranch_execz .LBB151_2070
; %bb.2050:
	v_cmp_ne_u16_e32 vcc_lo, 0x80, v12
	s_mov_b32 s12, 0
	s_and_b32 s11, vcc_lo, exec_lo
	s_or_saveexec_b32 s3, s3
	v_mov_b32_e32 v11, s12
	s_xor_b32 exec_lo, exec_lo, s3
	s_cbranch_execnz .LBB151_2071
.LBB151_2051:
	s_or_b32 exec_lo, exec_lo, s3
	s_and_saveexec_b32 s3, s11
	s_cbranch_execz .LBB151_2053
.LBB151_2052:
	v_and_b32_e32 v11, 0xffff, v12
	v_lshlrev_b32_e32 v12, 24, v12
	s_delay_alu instid0(VALU_DEP_2) | instskip(NEXT) | instid1(VALU_DEP_2)
	v_and_b32_e32 v17, 3, v11
	v_and_b32_e32 v12, 0x80000000, v12
	s_delay_alu instid0(VALU_DEP_2) | instskip(NEXT) | instid1(VALU_DEP_1)
	v_clz_i32_u32_e32 v18, v17
	v_min_u32_e32 v18, 32, v18
	s_delay_alu instid0(VALU_DEP_1) | instskip(SKIP_1) | instid1(VALU_DEP_2)
	v_subrev_nc_u32_e32 v20, 29, v18
	v_sub_nc_u32_e32 v18, 30, v18
	v_lshlrev_b32_e32 v20, v20, v11
	v_bfe_u32 v11, v11, 2, 5
	s_delay_alu instid0(VALU_DEP_1) | instskip(NEXT) | instid1(VALU_DEP_3)
	v_cmp_eq_u32_e32 vcc_lo, 0, v11
	v_dual_cndmask_b32 v11, v11, v18 :: v_dual_and_b32 v20, 3, v20
	s_delay_alu instid0(VALU_DEP_1) | instskip(NEXT) | instid1(VALU_DEP_2)
	v_lshl_add_u32 v11, v11, 23, 0x37800000
	v_cndmask_b32_e32 v17, v17, v20, vcc_lo
	s_delay_alu instid0(VALU_DEP_1) | instskip(NEXT) | instid1(VALU_DEP_1)
	v_lshlrev_b32_e32 v17, 21, v17
	v_or3_b32 v11, v12, v11, v17
	s_delay_alu instid0(VALU_DEP_1) | instskip(NEXT) | instid1(VALU_DEP_1)
	v_trunc_f32_e32 v11, v11
	v_mul_f32_e64 v12, 0x2f800000, |v11|
	s_delay_alu instid0(VALU_DEP_1) | instskip(NEXT) | instid1(VALU_DEP_1)
	v_floor_f32_e32 v12, v12
	v_fma_f32 v12, 0xcf800000, v12, |v11|
	v_ashrrev_i32_e32 v11, 31, v11
	s_delay_alu instid0(VALU_DEP_2) | instskip(NEXT) | instid1(VALU_DEP_1)
	v_cvt_u32_f32_e32 v12, v12
	v_xor_b32_e32 v12, v12, v11
	s_delay_alu instid0(VALU_DEP_1)
	v_sub_nc_u32_e32 v11, v12, v11
.LBB151_2053:
	s_or_b32 exec_lo, exec_lo, s3
	s_mov_b32 s3, 0
	s_branch .LBB151_2059
.LBB151_2054:
	s_mov_b32 s3, -1
                                        ; implicit-def: $vgpr11
	s_branch .LBB151_2065
.LBB151_2055:
	s_or_saveexec_b32 s11, s11
	v_mov_b32_e32 v11, s13
	s_xor_b32 exec_lo, exec_lo, s11
	s_cbranch_execz .LBB151_2040
.LBB151_2056:
	v_cmp_ne_u16_e32 vcc_lo, 0, v12
	v_mov_b32_e32 v11, 0
	s_and_not1_b32 s12, s12, exec_lo
	s_and_b32 s13, vcc_lo, exec_lo
	s_delay_alu instid0(SALU_CYCLE_1)
	s_or_b32 s12, s12, s13
	s_or_b32 exec_lo, exec_lo, s11
	s_and_saveexec_b32 s11, s12
	s_cbranch_execnz .LBB151_2041
	s_branch .LBB151_2042
.LBB151_2057:
	s_mov_b32 s3, -1
                                        ; implicit-def: $vgpr11
	s_branch .LBB151_2062
.LBB151_2058:
	s_mov_b32 s3, -1
                                        ; implicit-def: $vgpr11
.LBB151_2059:
	s_delay_alu instid0(SALU_CYCLE_1)
	s_and_b32 vcc_lo, exec_lo, s3
	s_cbranch_vccz .LBB151_2061
; %bb.2060:
	global_load_u8 v11, v[15:16], off
	s_waitcnt vmcnt(0)
	v_lshlrev_b32_e32 v11, 24, v11
	s_delay_alu instid0(VALU_DEP_1) | instskip(NEXT) | instid1(VALU_DEP_1)
	v_and_b32_e32 v12, 0x7f000000, v11
	v_clz_i32_u32_e32 v17, v12
	v_add_nc_u32_e32 v20, 0x1000000, v12
	v_cmp_ne_u32_e32 vcc_lo, 0, v12
	s_delay_alu instid0(VALU_DEP_3) | instskip(NEXT) | instid1(VALU_DEP_1)
	v_min_u32_e32 v17, 32, v17
	v_sub_nc_u32_e64 v17, v17, 4 clamp
	s_delay_alu instid0(VALU_DEP_1) | instskip(SKIP_1) | instid1(VALU_DEP_2)
	v_lshlrev_b32_e32 v18, v17, v12
	v_lshlrev_b32_e32 v17, 23, v17
	v_lshrrev_b32_e32 v18, 4, v18
	s_delay_alu instid0(VALU_DEP_1) | instskip(SKIP_1) | instid1(VALU_DEP_2)
	v_sub_nc_u32_e32 v17, v18, v17
	v_ashrrev_i32_e32 v18, 8, v20
	v_add_nc_u32_e32 v17, 0x3c000000, v17
	s_delay_alu instid0(VALU_DEP_1) | instskip(NEXT) | instid1(VALU_DEP_1)
	v_and_or_b32 v17, 0x7f800000, v18, v17
	v_cndmask_b32_e32 v12, 0, v17, vcc_lo
	s_delay_alu instid0(VALU_DEP_1) | instskip(NEXT) | instid1(VALU_DEP_1)
	v_and_or_b32 v11, 0x80000000, v11, v12
	v_trunc_f32_e32 v11, v11
	s_delay_alu instid0(VALU_DEP_1) | instskip(NEXT) | instid1(VALU_DEP_1)
	v_mul_f32_e64 v12, 0x2f800000, |v11|
	v_floor_f32_e32 v12, v12
	s_delay_alu instid0(VALU_DEP_1) | instskip(SKIP_1) | instid1(VALU_DEP_2)
	v_fma_f32 v12, 0xcf800000, v12, |v11|
	v_ashrrev_i32_e32 v11, 31, v11
	v_cvt_u32_f32_e32 v12, v12
	s_delay_alu instid0(VALU_DEP_1) | instskip(NEXT) | instid1(VALU_DEP_1)
	v_xor_b32_e32 v12, v12, v11
	v_sub_nc_u32_e32 v11, v12, v11
.LBB151_2061:
	s_mov_b32 s3, 0
.LBB151_2062:
	s_delay_alu instid0(SALU_CYCLE_1)
	s_and_not1_b32 vcc_lo, exec_lo, s3
	s_cbranch_vccnz .LBB151_2064
; %bb.2063:
	global_load_u8 v11, v[15:16], off
	s_waitcnt vmcnt(0)
	v_lshlrev_b32_e32 v12, 25, v11
	v_lshlrev_b16 v11, 8, v11
	s_delay_alu instid0(VALU_DEP_2) | instskip(NEXT) | instid1(VALU_DEP_2)
	v_lshrrev_b32_e32 v17, 4, v12
	v_and_or_b32 v18, 0x7f00, v11, 0.5
	v_bfe_i32 v11, v11, 0, 16
	s_delay_alu instid0(VALU_DEP_3) | instskip(NEXT) | instid1(VALU_DEP_1)
	v_or_b32_e32 v17, 0x70000000, v17
	v_dual_add_f32 v18, -0.5, v18 :: v_dual_mul_f32 v17, 0x7800000, v17
	v_cmp_gt_u32_e32 vcc_lo, 0x8000000, v12
	s_delay_alu instid0(VALU_DEP_2) | instskip(NEXT) | instid1(VALU_DEP_1)
	v_cndmask_b32_e32 v12, v17, v18, vcc_lo
	v_and_or_b32 v11, 0x80000000, v11, v12
	s_delay_alu instid0(VALU_DEP_1) | instskip(NEXT) | instid1(VALU_DEP_1)
	v_trunc_f32_e32 v11, v11
	v_mul_f32_e64 v12, 0x2f800000, |v11|
	s_delay_alu instid0(VALU_DEP_1) | instskip(NEXT) | instid1(VALU_DEP_1)
	v_floor_f32_e32 v12, v12
	v_fma_f32 v12, 0xcf800000, v12, |v11|
	v_ashrrev_i32_e32 v11, 31, v11
	s_delay_alu instid0(VALU_DEP_2) | instskip(NEXT) | instid1(VALU_DEP_1)
	v_cvt_u32_f32_e32 v12, v12
	v_xor_b32_e32 v12, v12, v11
	s_delay_alu instid0(VALU_DEP_1)
	v_sub_nc_u32_e32 v11, v12, v11
.LBB151_2064:
	s_mov_b32 s3, 0
	s_mov_b32 s11, -1
.LBB151_2065:
	s_and_not1_b32 vcc_lo, exec_lo, s3
	s_mov_b32 s3, 0
	s_cbranch_vccnz .LBB151_2076
; %bb.2066:
	v_cmp_lt_i16_e32 vcc_lo, 14, v21
	s_cbranch_vccz .LBB151_2069
; %bb.2067:
	v_cmp_eq_u16_e32 vcc_lo, 15, v21
	s_cbranch_vccz .LBB151_2072
; %bb.2068:
	global_load_u16 v11, v[15:16], off
	s_mov_b32 s2, 0
	s_mov_b32 s11, -1
	s_waitcnt vmcnt(0)
	v_lshlrev_b32_e32 v11, 16, v11
	s_delay_alu instid0(VALU_DEP_1) | instskip(NEXT) | instid1(VALU_DEP_1)
	v_trunc_f32_e32 v11, v11
	v_mul_f32_e64 v12, 0x2f800000, |v11|
	s_delay_alu instid0(VALU_DEP_1) | instskip(NEXT) | instid1(VALU_DEP_1)
	v_floor_f32_e32 v12, v12
	v_fma_f32 v12, 0xcf800000, v12, |v11|
	v_ashrrev_i32_e32 v11, 31, v11
	s_delay_alu instid0(VALU_DEP_2) | instskip(NEXT) | instid1(VALU_DEP_1)
	v_cvt_u32_f32_e32 v12, v12
	v_xor_b32_e32 v12, v12, v11
	s_delay_alu instid0(VALU_DEP_1)
	v_sub_nc_u32_e32 v11, v12, v11
	s_branch .LBB151_2074
.LBB151_2069:
	s_mov_b32 s3, -1
	s_branch .LBB151_2073
.LBB151_2070:
	s_or_saveexec_b32 s3, s3
	v_mov_b32_e32 v11, s12
	s_xor_b32 exec_lo, exec_lo, s3
	s_cbranch_execz .LBB151_2051
.LBB151_2071:
	v_cmp_ne_u16_e32 vcc_lo, 0, v12
	v_mov_b32_e32 v11, 0
	s_and_not1_b32 s11, s11, exec_lo
	s_and_b32 s12, vcc_lo, exec_lo
	s_delay_alu instid0(SALU_CYCLE_1)
	s_or_b32 s11, s11, s12
	s_or_b32 exec_lo, exec_lo, s3
	s_and_saveexec_b32 s3, s11
	s_cbranch_execnz .LBB151_2052
	s_branch .LBB151_2053
.LBB151_2072:
	s_mov_b32 s2, -1
.LBB151_2073:
                                        ; implicit-def: $vgpr11
.LBB151_2074:
	s_and_b32 vcc_lo, exec_lo, s3
	s_mov_b32 s3, 0
	s_cbranch_vccz .LBB151_2076
; %bb.2075:
	v_cmp_ne_u16_e64 s2, 11, v21
	s_mov_b32 s3, -1
                                        ; implicit-def: $vgpr11
.LBB151_2076:
	s_delay_alu instid0(VALU_DEP_1)
	s_and_b32 vcc_lo, exec_lo, s2
	s_cbranch_vccnz .LBB151_2141
; %bb.2077:
	s_and_not1_b32 vcc_lo, exec_lo, s3
	s_cbranch_vccnz .LBB151_2079
.LBB151_2078:
	global_load_u8 v11, v[15:16], off
	s_mov_b32 s11, -1
	s_waitcnt vmcnt(0)
	v_cmp_ne_u16_e32 vcc_lo, 0, v11
	v_cndmask_b32_e64 v11, 0, 1, vcc_lo
.LBB151_2079:
	s_mov_b32 s2, 0
.LBB151_2080:
	s_delay_alu instid0(SALU_CYCLE_1)
	s_and_b32 vcc_lo, exec_lo, s2
	s_cbranch_vccz .LBB151_2129
; %bb.2081:
	v_cmp_gt_i16_e32 vcc_lo, 5, v21
	s_cbranch_vccnz .LBB151_2086
; %bb.2082:
	v_cmp_gt_i16_e32 vcc_lo, 8, v21
	s_cbranch_vccnz .LBB151_2087
	;; [unrolled: 3-line block ×3, first 2 shown]
; %bb.2084:
	v_cmp_lt_i16_e32 vcc_lo, 9, v21
	s_cbranch_vccz .LBB151_2089
; %bb.2085:
	global_load_b64 v[11:12], v[15:16], off
	s_mov_b32 s2, 0
	s_waitcnt vmcnt(0)
	v_trunc_f64_e32 v[11:12], v[11:12]
	s_delay_alu instid0(VALU_DEP_1) | instskip(NEXT) | instid1(VALU_DEP_1)
	v_ldexp_f64 v[17:18], v[11:12], 0xffffffe0
	v_floor_f64_e32 v[17:18], v[17:18]
	s_delay_alu instid0(VALU_DEP_1) | instskip(NEXT) | instid1(VALU_DEP_1)
	v_fma_f64 v[11:12], 0xc1f00000, v[17:18], v[11:12]
	v_cvt_u32_f64_e32 v11, v[11:12]
	s_branch .LBB151_2090
.LBB151_2086:
	s_mov_b32 s2, -1
                                        ; implicit-def: $vgpr11
	s_branch .LBB151_2108
.LBB151_2087:
	s_mov_b32 s2, -1
                                        ; implicit-def: $vgpr11
	s_branch .LBB151_2096
.LBB151_2088:
	s_mov_b32 s2, -1
                                        ; implicit-def: $vgpr11
	s_branch .LBB151_2093
.LBB151_2089:
	s_mov_b32 s2, -1
                                        ; implicit-def: $vgpr11
.LBB151_2090:
	s_delay_alu instid0(SALU_CYCLE_1)
	s_and_not1_b32 vcc_lo, exec_lo, s2
	s_cbranch_vccnz .LBB151_2092
; %bb.2091:
	global_load_b32 v11, v[15:16], off
	s_waitcnt vmcnt(0)
	v_trunc_f32_e32 v11, v11
	s_delay_alu instid0(VALU_DEP_1) | instskip(NEXT) | instid1(VALU_DEP_1)
	v_mul_f32_e64 v12, 0x2f800000, |v11|
	v_floor_f32_e32 v12, v12
	s_delay_alu instid0(VALU_DEP_1) | instskip(SKIP_1) | instid1(VALU_DEP_2)
	v_fma_f32 v12, 0xcf800000, v12, |v11|
	v_ashrrev_i32_e32 v11, 31, v11
	v_cvt_u32_f32_e32 v12, v12
	s_delay_alu instid0(VALU_DEP_1) | instskip(NEXT) | instid1(VALU_DEP_1)
	v_xor_b32_e32 v12, v12, v11
	v_sub_nc_u32_e32 v11, v12, v11
.LBB151_2092:
	s_mov_b32 s2, 0
.LBB151_2093:
	s_delay_alu instid0(SALU_CYCLE_1)
	s_and_not1_b32 vcc_lo, exec_lo, s2
	s_cbranch_vccnz .LBB151_2095
; %bb.2094:
	global_load_b32 v11, v[15:16], off
	s_waitcnt vmcnt(0)
	v_cvt_f32_f16_e32 v11, v11
	s_delay_alu instid0(VALU_DEP_1)
	v_cvt_i32_f32_e32 v11, v11
.LBB151_2095:
	s_mov_b32 s2, 0
.LBB151_2096:
	s_delay_alu instid0(SALU_CYCLE_1)
	s_and_not1_b32 vcc_lo, exec_lo, s2
	s_cbranch_vccnz .LBB151_2107
; %bb.2097:
	v_cmp_gt_i16_e32 vcc_lo, 6, v21
	s_cbranch_vccnz .LBB151_2100
; %bb.2098:
	v_cmp_lt_i16_e32 vcc_lo, 6, v21
	s_cbranch_vccz .LBB151_2101
; %bb.2099:
	global_load_b64 v[11:12], v[15:16], off
	s_mov_b32 s2, 0
	s_waitcnt vmcnt(0)
	v_trunc_f64_e32 v[11:12], v[11:12]
	s_delay_alu instid0(VALU_DEP_1) | instskip(NEXT) | instid1(VALU_DEP_1)
	v_ldexp_f64 v[17:18], v[11:12], 0xffffffe0
	v_floor_f64_e32 v[17:18], v[17:18]
	s_delay_alu instid0(VALU_DEP_1) | instskip(NEXT) | instid1(VALU_DEP_1)
	v_fma_f64 v[11:12], 0xc1f00000, v[17:18], v[11:12]
	v_cvt_u32_f64_e32 v11, v[11:12]
	s_branch .LBB151_2102
.LBB151_2100:
	s_mov_b32 s2, -1
                                        ; implicit-def: $vgpr11
	s_branch .LBB151_2105
.LBB151_2101:
	s_mov_b32 s2, -1
                                        ; implicit-def: $vgpr11
.LBB151_2102:
	s_delay_alu instid0(SALU_CYCLE_1)
	s_and_not1_b32 vcc_lo, exec_lo, s2
	s_cbranch_vccnz .LBB151_2104
; %bb.2103:
	global_load_b32 v11, v[15:16], off
	s_waitcnt vmcnt(0)
	v_trunc_f32_e32 v11, v11
	s_delay_alu instid0(VALU_DEP_1) | instskip(NEXT) | instid1(VALU_DEP_1)
	v_mul_f32_e64 v12, 0x2f800000, |v11|
	v_floor_f32_e32 v12, v12
	s_delay_alu instid0(VALU_DEP_1) | instskip(SKIP_1) | instid1(VALU_DEP_2)
	v_fma_f32 v12, 0xcf800000, v12, |v11|
	v_ashrrev_i32_e32 v11, 31, v11
	v_cvt_u32_f32_e32 v12, v12
	s_delay_alu instid0(VALU_DEP_1) | instskip(NEXT) | instid1(VALU_DEP_1)
	v_xor_b32_e32 v12, v12, v11
	v_sub_nc_u32_e32 v11, v12, v11
.LBB151_2104:
	s_mov_b32 s2, 0
.LBB151_2105:
	s_delay_alu instid0(SALU_CYCLE_1)
	s_and_not1_b32 vcc_lo, exec_lo, s2
	s_cbranch_vccnz .LBB151_2107
; %bb.2106:
	global_load_u16 v11, v[15:16], off
	s_waitcnt vmcnt(0)
	v_cvt_f32_f16_e32 v11, v11
	s_delay_alu instid0(VALU_DEP_1)
	v_cvt_i32_f32_e32 v11, v11
.LBB151_2107:
	s_mov_b32 s2, 0
.LBB151_2108:
	s_delay_alu instid0(SALU_CYCLE_1)
	s_and_not1_b32 vcc_lo, exec_lo, s2
	s_cbranch_vccnz .LBB151_2128
; %bb.2109:
	v_cmp_gt_i16_e32 vcc_lo, 2, v21
	s_cbranch_vccnz .LBB151_2113
; %bb.2110:
	v_cmp_gt_i16_e32 vcc_lo, 3, v21
	s_cbranch_vccnz .LBB151_2114
; %bb.2111:
	v_cmp_lt_i16_e32 vcc_lo, 3, v21
	s_cbranch_vccz .LBB151_2115
; %bb.2112:
	global_load_b64 v[11:12], v[15:16], off
	s_mov_b32 s2, 0
	s_branch .LBB151_2116
.LBB151_2113:
	s_mov_b32 s2, -1
                                        ; implicit-def: $vgpr11
	s_branch .LBB151_2122
.LBB151_2114:
	s_mov_b32 s2, -1
                                        ; implicit-def: $vgpr11
	s_branch .LBB151_2119
.LBB151_2115:
	s_mov_b32 s2, -1
                                        ; implicit-def: $vgpr11
.LBB151_2116:
	s_delay_alu instid0(SALU_CYCLE_1)
	s_and_not1_b32 vcc_lo, exec_lo, s2
	s_cbranch_vccnz .LBB151_2118
; %bb.2117:
	global_load_b32 v11, v[15:16], off
.LBB151_2118:
	s_mov_b32 s2, 0
.LBB151_2119:
	s_delay_alu instid0(SALU_CYCLE_1)
	s_and_not1_b32 vcc_lo, exec_lo, s2
	s_cbranch_vccnz .LBB151_2121
; %bb.2120:
	global_load_u16 v11, v[15:16], off
.LBB151_2121:
	s_mov_b32 s2, 0
.LBB151_2122:
	s_delay_alu instid0(SALU_CYCLE_1)
	s_and_not1_b32 vcc_lo, exec_lo, s2
	s_cbranch_vccnz .LBB151_2128
; %bb.2123:
	v_cmp_lt_i16_e32 vcc_lo, 0, v21
	s_mov_b32 s2, 0
	s_cbranch_vccz .LBB151_2125
; %bb.2124:
	global_load_u8 v11, v[15:16], off
	s_branch .LBB151_2126
.LBB151_2125:
	s_mov_b32 s2, -1
                                        ; implicit-def: $vgpr11
.LBB151_2126:
	s_delay_alu instid0(SALU_CYCLE_1)
	s_and_not1_b32 vcc_lo, exec_lo, s2
	s_cbranch_vccnz .LBB151_2128
; %bb.2127:
	global_load_u8 v11, v[15:16], off
.LBB151_2128:
	s_mov_b32 s11, -1
.LBB151_2129:
	s_delay_alu instid0(SALU_CYCLE_1)
	s_and_not1_b32 vcc_lo, exec_lo, s11
	s_cbranch_vccnz .LBB151_3049
; %bb.2130:
	v_cmp_gt_i16_e32 vcc_lo, 11, v19
	v_add_co_u32 v15, s2, s6, v13
	s_delay_alu instid0(VALU_DEP_1)
	v_add_co_ci_u32_e64 v16, null, s7, 0, s2
	s_mov_b32 s2, 0
	s_cbranch_vccnz .LBB151_2137
; %bb.2131:
	v_cmp_lt_i16_e32 vcc_lo, 25, v19
	s_mov_b32 s12, 0
	s_cbranch_vccz .LBB151_2138
; %bb.2132:
	v_cmp_lt_i16_e32 vcc_lo, 28, v19
	s_cbranch_vccz .LBB151_2139
; %bb.2133:
	v_cmp_lt_i16_e32 vcc_lo, 43, v19
	;; [unrolled: 3-line block ×3, first 2 shown]
	s_cbranch_vccz .LBB151_2143
; %bb.2135:
	v_cmp_eq_u16_e32 vcc_lo, 46, v19
	s_mov_b32 s3, 0
	s_cbranch_vccz .LBB151_2146
; %bb.2136:
	global_load_b32 v12, v[15:16], off
	s_mov_b32 s11, 0
	s_mov_b32 s2, -1
	s_waitcnt vmcnt(0)
	v_lshlrev_b32_e32 v12, 16, v12
	s_delay_alu instid0(VALU_DEP_1)
	v_cvt_f64_f32_e32 v[12:13], v12
	s_branch .LBB151_2148
.LBB151_2137:
	s_mov_b32 s3, -1
                                        ; implicit-def: $vgpr12_vgpr13
	s_branch .LBB151_2214
.LBB151_2138:
	s_mov_b32 s3, -1
	s_mov_b32 s11, 0
                                        ; implicit-def: $vgpr12_vgpr13
	s_branch .LBB151_2179
.LBB151_2139:
	s_mov_b32 s3, -1
	s_mov_b32 s11, 0
                                        ; implicit-def: $vgpr12_vgpr13
	s_branch .LBB151_2158
.LBB151_2140:
	s_mov_b32 s3, -1
	s_mov_b32 s11, 0
                                        ; implicit-def: $vgpr12_vgpr13
	s_branch .LBB151_2153
.LBB151_2141:
	s_cbranch_execnz .LBB151_2144
; %bb.2142:
	s_or_b32 s10, s10, exec_lo
                                        ; implicit-def: $vgpr11
	s_cbranch_execz .LBB151_2078
	s_branch .LBB151_2079
.LBB151_2143:
	s_mov_b32 s3, -1
	s_mov_b32 s11, 0
	s_branch .LBB151_2147
.LBB151_2144:
	s_trap 2
	s_sendmsg_rtn_b32 s0, sendmsg(MSG_RTN_GET_DOORBELL)
	s_mov_b32 ttmp2, m0
	s_waitcnt lgkmcnt(0)
	s_and_b32 s0, s0, 0x3ff
	s_delay_alu instid0(SALU_CYCLE_1) | instskip(NEXT) | instid1(SALU_CYCLE_1)
	s_bitset1_b32 s0, 10
	s_mov_b32 m0, s0
	s_sendmsg sendmsg(MSG_INTERRUPT)
	s_mov_b32 m0, ttmp2
.LBB151_2145:                           ; =>This Inner Loop Header: Depth=1
	s_sethalt 5
	s_branch .LBB151_2145
.LBB151_2146:
	s_mov_b32 s11, -1
.LBB151_2147:
                                        ; implicit-def: $vgpr12_vgpr13
.LBB151_2148:
	s_and_b32 vcc_lo, exec_lo, s3
	s_cbranch_vccz .LBB151_2152
; %bb.2149:
	v_cmp_eq_u16_e32 vcc_lo, 44, v19
	s_cbranch_vccz .LBB151_2151
; %bb.2150:
	global_load_u8 v17, v[15:16], off
	s_mov_b32 s11, 0
	s_mov_b32 s2, -1
	s_waitcnt vmcnt(0)
	v_lshlrev_b32_e32 v12, 23, v17
	v_cmp_ne_u32_e32 vcc_lo, 0xff, v17
	s_delay_alu instid0(VALU_DEP_2) | instskip(NEXT) | instid1(VALU_DEP_1)
	v_cvt_f64_f32_e32 v[12:13], v12
	v_cndmask_b32_e32 v12, 0x20000000, v12, vcc_lo
	s_delay_alu instid0(VALU_DEP_2) | instskip(SKIP_1) | instid1(VALU_DEP_2)
	v_cndmask_b32_e32 v13, 0x7ff80000, v13, vcc_lo
	v_cmp_ne_u32_e32 vcc_lo, 0, v17
	v_cndmask_b32_e32 v13, 0x38000000, v13, vcc_lo
	s_delay_alu instid0(VALU_DEP_4)
	v_cndmask_b32_e32 v12, 0, v12, vcc_lo
	s_branch .LBB151_2152
.LBB151_2151:
	s_mov_b32 s11, -1
                                        ; implicit-def: $vgpr12_vgpr13
.LBB151_2152:
	s_mov_b32 s3, 0
.LBB151_2153:
	s_delay_alu instid0(SALU_CYCLE_1)
	s_and_b32 vcc_lo, exec_lo, s3
	s_cbranch_vccz .LBB151_2157
; %bb.2154:
	v_cmp_eq_u16_e32 vcc_lo, 29, v19
	s_cbranch_vccz .LBB151_2156
; %bb.2155:
	global_load_b64 v[12:13], v[15:16], off
	s_mov_b32 s11, 0
	s_mov_b32 s2, -1
	s_mov_b32 s3, 0
	s_waitcnt vmcnt(0)
	v_cvt_f64_u32_e32 v[17:18], v13
	v_cvt_f64_u32_e32 v[12:13], v12
	s_delay_alu instid0(VALU_DEP_2) | instskip(NEXT) | instid1(VALU_DEP_1)
	v_ldexp_f64 v[17:18], v[17:18], 32
	v_add_f64 v[12:13], v[17:18], v[12:13]
	s_branch .LBB151_2158
.LBB151_2156:
	s_mov_b32 s11, -1
                                        ; implicit-def: $vgpr12_vgpr13
.LBB151_2157:
	s_mov_b32 s3, 0
.LBB151_2158:
	s_delay_alu instid0(SALU_CYCLE_1)
	s_and_b32 vcc_lo, exec_lo, s3
	s_cbranch_vccz .LBB151_2178
; %bb.2159:
	v_cmp_gt_i16_e32 vcc_lo, 27, v19
	s_cbranch_vccnz .LBB151_2162
; %bb.2160:
	v_cmp_lt_i16_e32 vcc_lo, 27, v19
	s_cbranch_vccz .LBB151_2163
; %bb.2161:
	global_load_b32 v12, v[15:16], off
	s_mov_b32 s2, 0
	s_waitcnt vmcnt(0)
	v_cvt_f64_u32_e32 v[12:13], v12
	s_branch .LBB151_2164
.LBB151_2162:
	s_mov_b32 s2, -1
                                        ; implicit-def: $vgpr12_vgpr13
	s_branch .LBB151_2167
.LBB151_2163:
	s_mov_b32 s2, -1
                                        ; implicit-def: $vgpr12_vgpr13
.LBB151_2164:
	s_delay_alu instid0(SALU_CYCLE_1)
	s_and_not1_b32 vcc_lo, exec_lo, s2
	s_cbranch_vccnz .LBB151_2166
; %bb.2165:
	global_load_u16 v12, v[15:16], off
	s_waitcnt vmcnt(0)
	v_cvt_f64_u32_e32 v[12:13], v12
.LBB151_2166:
	s_mov_b32 s2, 0
.LBB151_2167:
	s_delay_alu instid0(SALU_CYCLE_1)
	s_and_not1_b32 vcc_lo, exec_lo, s2
	s_cbranch_vccnz .LBB151_2177
; %bb.2168:
	global_load_u8 v17, v[15:16], off
	s_mov_b32 s13, 0
	s_mov_b32 s14, exec_lo
                                        ; implicit-def: $sgpr2_sgpr3
	s_waitcnt vmcnt(0)
	v_cmpx_lt_i16_e32 0x7f, v17
	s_xor_b32 s14, exec_lo, s14
	s_cbranch_execz .LBB151_2172
; %bb.2169:
	s_mov_b32 s15, -1
	s_mov_b32 s13, exec_lo
                                        ; implicit-def: $sgpr2_sgpr3
	v_cmpx_eq_u16_e32 0x80, v17
; %bb.2170:
	s_mov_b32 s3, 0x7ff80000
	s_brev_b32 s2, 4
	s_xor_b32 s15, exec_lo, -1
; %bb.2171:
	s_or_b32 exec_lo, exec_lo, s13
	s_delay_alu instid0(SALU_CYCLE_1)
	s_and_b32 s13, s15, exec_lo
.LBB151_2172:
	s_or_saveexec_b32 s14, s14
	v_dual_mov_b32 v13, s3 :: v_dual_mov_b32 v12, s2
	s_xor_b32 exec_lo, exec_lo, s14
; %bb.2173:
	v_cmp_ne_u16_e32 vcc_lo, 0, v17
	v_mov_b32_e32 v12, 0
	v_mov_b32_e32 v13, 0
	s_and_not1_b32 s2, s13, exec_lo
	s_and_b32 s3, vcc_lo, exec_lo
	s_delay_alu instid0(SALU_CYCLE_1)
	s_or_b32 s13, s2, s3
; %bb.2174:
	s_or_b32 exec_lo, exec_lo, s14
	s_and_saveexec_b32 s2, s13
	s_cbranch_execz .LBB151_2176
; %bb.2175:
	v_and_b32_e32 v12, 0xffff, v17
	v_lshlrev_b32_e32 v17, 24, v17
	s_delay_alu instid0(VALU_DEP_2) | instskip(NEXT) | instid1(VALU_DEP_2)
	v_and_b32_e32 v13, 7, v12
	v_and_b32_e32 v17, 0x80000000, v17
	s_delay_alu instid0(VALU_DEP_2) | instskip(NEXT) | instid1(VALU_DEP_1)
	v_clz_i32_u32_e32 v18, v13
	v_min_u32_e32 v18, 32, v18
	s_delay_alu instid0(VALU_DEP_1) | instskip(SKIP_1) | instid1(VALU_DEP_2)
	v_subrev_nc_u32_e32 v20, 28, v18
	v_sub_nc_u32_e32 v18, 29, v18
	v_lshlrev_b32_e32 v20, v20, v12
	v_bfe_u32 v12, v12, 3, 4
	s_delay_alu instid0(VALU_DEP_2) | instskip(NEXT) | instid1(VALU_DEP_2)
	v_and_b32_e32 v20, 7, v20
	v_cmp_eq_u32_e32 vcc_lo, 0, v12
	s_delay_alu instid0(VALU_DEP_2) | instskip(NEXT) | instid1(VALU_DEP_1)
	v_dual_cndmask_b32 v12, v12, v18 :: v_dual_cndmask_b32 v13, v13, v20
	v_lshl_add_u32 v12, v12, 23, 0x3b800000
	s_delay_alu instid0(VALU_DEP_2) | instskip(NEXT) | instid1(VALU_DEP_1)
	v_lshlrev_b32_e32 v13, 20, v13
	v_or3_b32 v12, v17, v12, v13
	s_delay_alu instid0(VALU_DEP_1)
	v_cvt_f64_f32_e32 v[12:13], v12
.LBB151_2176:
	s_or_b32 exec_lo, exec_lo, s2
.LBB151_2177:
	s_mov_b32 s2, -1
.LBB151_2178:
	s_mov_b32 s3, 0
.LBB151_2179:
	s_delay_alu instid0(SALU_CYCLE_1)
	s_and_b32 vcc_lo, exec_lo, s3
	s_cbranch_vccz .LBB151_2210
; %bb.2180:
	v_cmp_lt_i16_e32 vcc_lo, 22, v19
	s_cbranch_vccz .LBB151_2192
; %bb.2181:
	v_cmp_gt_i16_e32 vcc_lo, 24, v19
	s_cbranch_vccnz .LBB151_2193
; %bb.2182:
	v_cmp_lt_i16_e32 vcc_lo, 24, v19
	s_cbranch_vccz .LBB151_2194
; %bb.2183:
	global_load_u8 v17, v[15:16], off
	s_mov_b32 s13, exec_lo
                                        ; implicit-def: $sgpr2_sgpr3
	s_waitcnt vmcnt(0)
	v_cmpx_lt_i16_e32 0x7f, v17
	s_xor_b32 s13, exec_lo, s13
	s_cbranch_execz .LBB151_2187
; %bb.2184:
	s_mov_b32 s14, -1
	s_mov_b32 s12, exec_lo
                                        ; implicit-def: $sgpr2_sgpr3
	v_cmpx_eq_u16_e32 0x80, v17
; %bb.2185:
	s_mov_b32 s3, 0x7ff80000
	s_brev_b32 s2, 4
	s_xor_b32 s14, exec_lo, -1
; %bb.2186:
	s_or_b32 exec_lo, exec_lo, s12
	s_delay_alu instid0(SALU_CYCLE_1)
	s_and_b32 s12, s14, exec_lo
.LBB151_2187:
	s_or_saveexec_b32 s13, s13
	v_dual_mov_b32 v13, s3 :: v_dual_mov_b32 v12, s2
	s_xor_b32 exec_lo, exec_lo, s13
; %bb.2188:
	v_cmp_ne_u16_e32 vcc_lo, 0, v17
	v_mov_b32_e32 v12, 0
	v_mov_b32_e32 v13, 0
	s_and_not1_b32 s2, s12, exec_lo
	s_and_b32 s3, vcc_lo, exec_lo
	s_delay_alu instid0(SALU_CYCLE_1)
	s_or_b32 s12, s2, s3
; %bb.2189:
	s_or_b32 exec_lo, exec_lo, s13
	s_and_saveexec_b32 s2, s12
	s_cbranch_execz .LBB151_2191
; %bb.2190:
	v_and_b32_e32 v12, 0xffff, v17
	v_lshlrev_b32_e32 v17, 24, v17
	s_delay_alu instid0(VALU_DEP_2) | instskip(NEXT) | instid1(VALU_DEP_2)
	v_and_b32_e32 v13, 3, v12
	v_and_b32_e32 v17, 0x80000000, v17
	s_delay_alu instid0(VALU_DEP_2) | instskip(NEXT) | instid1(VALU_DEP_1)
	v_clz_i32_u32_e32 v18, v13
	v_min_u32_e32 v18, 32, v18
	s_delay_alu instid0(VALU_DEP_1) | instskip(SKIP_1) | instid1(VALU_DEP_2)
	v_subrev_nc_u32_e32 v20, 29, v18
	v_sub_nc_u32_e32 v18, 30, v18
	v_lshlrev_b32_e32 v20, v20, v12
	v_bfe_u32 v12, v12, 2, 5
	s_delay_alu instid0(VALU_DEP_2) | instskip(NEXT) | instid1(VALU_DEP_2)
	v_and_b32_e32 v20, 3, v20
	v_cmp_eq_u32_e32 vcc_lo, 0, v12
	s_delay_alu instid0(VALU_DEP_2) | instskip(NEXT) | instid1(VALU_DEP_1)
	v_dual_cndmask_b32 v12, v12, v18 :: v_dual_cndmask_b32 v13, v13, v20
	v_lshl_add_u32 v12, v12, 23, 0x37800000
	s_delay_alu instid0(VALU_DEP_2) | instskip(NEXT) | instid1(VALU_DEP_1)
	v_lshlrev_b32_e32 v13, 21, v13
	v_or3_b32 v12, v17, v12, v13
	s_delay_alu instid0(VALU_DEP_1)
	v_cvt_f64_f32_e32 v[12:13], v12
.LBB151_2191:
	s_or_b32 exec_lo, exec_lo, s2
	s_mov_b32 s2, 0
	s_branch .LBB151_2195
.LBB151_2192:
	s_mov_b32 s3, -1
                                        ; implicit-def: $vgpr12_vgpr13
	s_branch .LBB151_2201
.LBB151_2193:
	s_mov_b32 s2, -1
                                        ; implicit-def: $vgpr12_vgpr13
	s_branch .LBB151_2198
.LBB151_2194:
	s_mov_b32 s2, -1
                                        ; implicit-def: $vgpr12_vgpr13
.LBB151_2195:
	s_delay_alu instid0(SALU_CYCLE_1)
	s_and_b32 vcc_lo, exec_lo, s2
	s_cbranch_vccz .LBB151_2197
; %bb.2196:
	global_load_u8 v12, v[15:16], off
	s_waitcnt vmcnt(0)
	v_lshlrev_b32_e32 v12, 24, v12
	s_delay_alu instid0(VALU_DEP_1) | instskip(NEXT) | instid1(VALU_DEP_1)
	v_and_b32_e32 v13, 0x7f000000, v12
	v_clz_i32_u32_e32 v17, v13
	v_add_nc_u32_e32 v20, 0x1000000, v13
	v_cmp_ne_u32_e32 vcc_lo, 0, v13
	s_delay_alu instid0(VALU_DEP_3) | instskip(NEXT) | instid1(VALU_DEP_1)
	v_min_u32_e32 v17, 32, v17
	v_sub_nc_u32_e64 v17, v17, 4 clamp
	s_delay_alu instid0(VALU_DEP_1) | instskip(SKIP_1) | instid1(VALU_DEP_2)
	v_lshlrev_b32_e32 v18, v17, v13
	v_lshlrev_b32_e32 v17, 23, v17
	v_lshrrev_b32_e32 v18, 4, v18
	s_delay_alu instid0(VALU_DEP_1) | instskip(SKIP_1) | instid1(VALU_DEP_2)
	v_sub_nc_u32_e32 v17, v18, v17
	v_ashrrev_i32_e32 v18, 8, v20
	v_add_nc_u32_e32 v17, 0x3c000000, v17
	s_delay_alu instid0(VALU_DEP_1) | instskip(NEXT) | instid1(VALU_DEP_1)
	v_and_or_b32 v17, 0x7f800000, v18, v17
	v_cndmask_b32_e32 v13, 0, v17, vcc_lo
	s_delay_alu instid0(VALU_DEP_1) | instskip(NEXT) | instid1(VALU_DEP_1)
	v_and_or_b32 v12, 0x80000000, v12, v13
	v_cvt_f64_f32_e32 v[12:13], v12
.LBB151_2197:
	s_mov_b32 s2, 0
.LBB151_2198:
	s_delay_alu instid0(SALU_CYCLE_1)
	s_and_not1_b32 vcc_lo, exec_lo, s2
	s_cbranch_vccnz .LBB151_2200
; %bb.2199:
	global_load_u8 v12, v[15:16], off
	s_waitcnt vmcnt(0)
	v_lshlrev_b32_e32 v13, 25, v12
	v_lshlrev_b16 v12, 8, v12
	s_delay_alu instid0(VALU_DEP_1) | instskip(SKIP_1) | instid1(VALU_DEP_2)
	v_and_or_b32 v18, 0x7f00, v12, 0.5
	v_bfe_i32 v12, v12, 0, 16
	v_add_f32_e32 v18, -0.5, v18
	v_lshrrev_b32_e32 v17, 4, v13
	v_cmp_gt_u32_e32 vcc_lo, 0x8000000, v13
	s_delay_alu instid0(VALU_DEP_2) | instskip(NEXT) | instid1(VALU_DEP_1)
	v_or_b32_e32 v17, 0x70000000, v17
	v_mul_f32_e32 v17, 0x7800000, v17
	s_delay_alu instid0(VALU_DEP_1) | instskip(NEXT) | instid1(VALU_DEP_1)
	v_cndmask_b32_e32 v13, v17, v18, vcc_lo
	v_and_or_b32 v12, 0x80000000, v12, v13
	s_delay_alu instid0(VALU_DEP_1)
	v_cvt_f64_f32_e32 v[12:13], v12
.LBB151_2200:
	s_mov_b32 s3, 0
	s_mov_b32 s2, -1
.LBB151_2201:
	s_and_not1_b32 vcc_lo, exec_lo, s3
	s_mov_b32 s12, 0
	s_cbranch_vccnz .LBB151_2210
; %bb.2202:
	v_cmp_lt_i16_e32 vcc_lo, 14, v19
	s_cbranch_vccz .LBB151_2205
; %bb.2203:
	v_cmp_eq_u16_e32 vcc_lo, 15, v19
	s_cbranch_vccz .LBB151_2206
; %bb.2204:
	global_load_u16 v12, v[15:16], off
	s_mov_b32 s11, 0
	s_mov_b32 s2, -1
	s_waitcnt vmcnt(0)
	v_lshlrev_b32_e32 v12, 16, v12
	s_delay_alu instid0(VALU_DEP_1)
	v_cvt_f64_f32_e32 v[12:13], v12
	s_branch .LBB151_2207
.LBB151_2205:
	s_mov_b32 s3, -1
                                        ; implicit-def: $vgpr12_vgpr13
	s_branch .LBB151_2208
.LBB151_2206:
	s_mov_b32 s11, -1
                                        ; implicit-def: $vgpr12_vgpr13
.LBB151_2207:
	s_mov_b32 s3, 0
.LBB151_2208:
	s_delay_alu instid0(SALU_CYCLE_1)
	s_and_b32 vcc_lo, exec_lo, s3
	s_cbranch_vccz .LBB151_2210
; %bb.2209:
	v_cmp_ne_u16_e64 s11, 11, v19
	s_mov_b32 s12, -1
                                        ; implicit-def: $vgpr12_vgpr13
.LBB151_2210:
	s_delay_alu instid0(VALU_DEP_1)
	s_and_b32 vcc_lo, exec_lo, s11
	s_cbranch_vccnz .LBB151_2275
; %bb.2211:
	s_and_not1_b32 vcc_lo, exec_lo, s12
	s_cbranch_vccnz .LBB151_2213
.LBB151_2212:
	global_load_u8 v12, v[15:16], off
	s_mov_b32 s2, -1
	s_waitcnt vmcnt(0)
	v_cmp_ne_u16_e32 vcc_lo, 0, v12
	v_mov_b32_e32 v12, 0
	v_cndmask_b32_e64 v13, 0, 0x3ff00000, vcc_lo
.LBB151_2213:
	s_mov_b32 s3, 0
.LBB151_2214:
	s_delay_alu instid0(SALU_CYCLE_1)
	s_and_b32 vcc_lo, exec_lo, s3
	s_cbranch_vccz .LBB151_2263
; %bb.2215:
	v_cmp_gt_i16_e32 vcc_lo, 5, v19
	s_cbranch_vccnz .LBB151_2220
; %bb.2216:
	v_cmp_gt_i16_e32 vcc_lo, 8, v19
	s_cbranch_vccnz .LBB151_2221
	;; [unrolled: 3-line block ×3, first 2 shown]
; %bb.2218:
	v_cmp_lt_i16_e32 vcc_lo, 9, v19
	s_cbranch_vccz .LBB151_2223
; %bb.2219:
	global_load_b64 v[12:13], v[15:16], off
	s_mov_b32 s2, 0
	s_branch .LBB151_2224
.LBB151_2220:
	s_mov_b32 s2, -1
                                        ; implicit-def: $vgpr12_vgpr13
	s_branch .LBB151_2242
.LBB151_2221:
	s_mov_b32 s2, -1
                                        ; implicit-def: $vgpr12_vgpr13
	s_branch .LBB151_2230
.LBB151_2222:
	s_mov_b32 s2, -1
                                        ; implicit-def: $vgpr12_vgpr13
	s_branch .LBB151_2227
.LBB151_2223:
	s_mov_b32 s2, -1
                                        ; implicit-def: $vgpr12_vgpr13
.LBB151_2224:
	s_delay_alu instid0(SALU_CYCLE_1)
	s_and_not1_b32 vcc_lo, exec_lo, s2
	s_cbranch_vccnz .LBB151_2226
; %bb.2225:
	global_load_b32 v12, v[15:16], off
	s_waitcnt vmcnt(0)
	v_cvt_f64_f32_e32 v[12:13], v12
.LBB151_2226:
	s_mov_b32 s2, 0
.LBB151_2227:
	s_delay_alu instid0(SALU_CYCLE_1)
	s_and_not1_b32 vcc_lo, exec_lo, s2
	s_cbranch_vccnz .LBB151_2229
; %bb.2228:
	global_load_b32 v12, v[15:16], off
	s_waitcnt vmcnt(0)
	v_cvt_f32_f16_e32 v12, v12
	s_delay_alu instid0(VALU_DEP_1)
	v_cvt_f64_f32_e32 v[12:13], v12
.LBB151_2229:
	s_mov_b32 s2, 0
.LBB151_2230:
	s_delay_alu instid0(SALU_CYCLE_1)
	s_and_not1_b32 vcc_lo, exec_lo, s2
	s_cbranch_vccnz .LBB151_2241
; %bb.2231:
	v_cmp_gt_i16_e32 vcc_lo, 6, v19
	s_cbranch_vccnz .LBB151_2234
; %bb.2232:
	v_cmp_lt_i16_e32 vcc_lo, 6, v19
	s_cbranch_vccz .LBB151_2235
; %bb.2233:
	global_load_b64 v[12:13], v[15:16], off
	s_mov_b32 s2, 0
	s_branch .LBB151_2236
.LBB151_2234:
	s_mov_b32 s2, -1
                                        ; implicit-def: $vgpr12_vgpr13
	s_branch .LBB151_2239
.LBB151_2235:
	s_mov_b32 s2, -1
                                        ; implicit-def: $vgpr12_vgpr13
.LBB151_2236:
	s_delay_alu instid0(SALU_CYCLE_1)
	s_and_not1_b32 vcc_lo, exec_lo, s2
	s_cbranch_vccnz .LBB151_2238
; %bb.2237:
	global_load_b32 v12, v[15:16], off
	s_waitcnt vmcnt(0)
	v_cvt_f64_f32_e32 v[12:13], v12
.LBB151_2238:
	s_mov_b32 s2, 0
.LBB151_2239:
	s_delay_alu instid0(SALU_CYCLE_1)
	s_and_not1_b32 vcc_lo, exec_lo, s2
	s_cbranch_vccnz .LBB151_2241
; %bb.2240:
	global_load_u16 v12, v[15:16], off
	s_waitcnt vmcnt(0)
	v_cvt_f32_f16_e32 v12, v12
	s_delay_alu instid0(VALU_DEP_1)
	v_cvt_f64_f32_e32 v[12:13], v12
.LBB151_2241:
	s_mov_b32 s2, 0
.LBB151_2242:
	s_delay_alu instid0(SALU_CYCLE_1)
	s_and_not1_b32 vcc_lo, exec_lo, s2
	s_cbranch_vccnz .LBB151_2262
; %bb.2243:
	v_cmp_gt_i16_e32 vcc_lo, 2, v19
	s_cbranch_vccnz .LBB151_2247
; %bb.2244:
	v_cmp_gt_i16_e32 vcc_lo, 3, v19
	s_cbranch_vccnz .LBB151_2248
; %bb.2245:
	v_cmp_lt_i16_e32 vcc_lo, 3, v19
	s_cbranch_vccz .LBB151_2249
; %bb.2246:
	global_load_b64 v[12:13], v[15:16], off
	s_mov_b32 s2, 0
	s_waitcnt vmcnt(0)
	v_cvt_f64_i32_e32 v[17:18], v13
	v_cvt_f64_u32_e32 v[12:13], v12
	s_delay_alu instid0(VALU_DEP_2) | instskip(NEXT) | instid1(VALU_DEP_1)
	v_ldexp_f64 v[17:18], v[17:18], 32
	v_add_f64 v[12:13], v[17:18], v[12:13]
	s_branch .LBB151_2250
.LBB151_2247:
	s_mov_b32 s2, -1
                                        ; implicit-def: $vgpr12_vgpr13
	s_branch .LBB151_2256
.LBB151_2248:
	s_mov_b32 s2, -1
                                        ; implicit-def: $vgpr12_vgpr13
	s_branch .LBB151_2253
.LBB151_2249:
	s_mov_b32 s2, -1
                                        ; implicit-def: $vgpr12_vgpr13
.LBB151_2250:
	s_delay_alu instid0(SALU_CYCLE_1)
	s_and_not1_b32 vcc_lo, exec_lo, s2
	s_cbranch_vccnz .LBB151_2252
; %bb.2251:
	global_load_b32 v12, v[15:16], off
	s_waitcnt vmcnt(0)
	v_cvt_f64_i32_e32 v[12:13], v12
.LBB151_2252:
	s_mov_b32 s2, 0
.LBB151_2253:
	s_delay_alu instid0(SALU_CYCLE_1)
	s_and_not1_b32 vcc_lo, exec_lo, s2
	s_cbranch_vccnz .LBB151_2255
; %bb.2254:
	global_load_i16 v12, v[15:16], off
	s_waitcnt vmcnt(0)
	v_cvt_f64_i32_e32 v[12:13], v12
.LBB151_2255:
	s_mov_b32 s2, 0
.LBB151_2256:
	s_delay_alu instid0(SALU_CYCLE_1)
	s_and_not1_b32 vcc_lo, exec_lo, s2
	s_cbranch_vccnz .LBB151_2262
; %bb.2257:
	v_cmp_lt_i16_e32 vcc_lo, 0, v19
	s_mov_b32 s2, 0
	s_cbranch_vccz .LBB151_2259
; %bb.2258:
	global_load_i8 v12, v[15:16], off
	s_waitcnt vmcnt(0)
	v_cvt_f64_i32_e32 v[12:13], v12
	s_branch .LBB151_2260
.LBB151_2259:
	s_mov_b32 s2, -1
                                        ; implicit-def: $vgpr12_vgpr13
.LBB151_2260:
	s_delay_alu instid0(SALU_CYCLE_1)
	s_and_not1_b32 vcc_lo, exec_lo, s2
	s_cbranch_vccnz .LBB151_2262
; %bb.2261:
	global_load_u8 v12, v[15:16], off
	s_waitcnt vmcnt(0)
	v_cvt_f64_u32_e32 v[12:13], v12
.LBB151_2262:
	s_mov_b32 s2, -1
.LBB151_2263:
	s_delay_alu instid0(SALU_CYCLE_1)
	s_and_not1_b32 vcc_lo, exec_lo, s2
	s_cbranch_vccnz .LBB151_3049
; %bb.2264:
	v_cmp_gt_i16_e32 vcc_lo, 11, v21
	v_add_co_u32 v16, s2, s0, v14
	s_delay_alu instid0(VALU_DEP_1)
	v_add_co_ci_u32_e64 v17, null, s1, 0, s2
	s_mov_b32 s11, 0
	s_cbranch_vccnz .LBB151_2271
; %bb.2265:
	v_cmp_lt_i16_e32 vcc_lo, 25, v21
	s_mov_b32 s3, 0
	s_cbranch_vccz .LBB151_2272
; %bb.2266:
	v_cmp_lt_i16_e32 vcc_lo, 28, v21
	s_cbranch_vccz .LBB151_2273
; %bb.2267:
	v_cmp_lt_i16_e32 vcc_lo, 43, v21
	;; [unrolled: 3-line block ×3, first 2 shown]
	s_cbranch_vccz .LBB151_2277
; %bb.2269:
	v_cmp_eq_u16_e32 vcc_lo, 46, v21
	s_mov_b32 s12, 0
	s_cbranch_vccz .LBB151_2282
; %bb.2270:
	global_load_b32 v14, v[16:17], off
	s_mov_b32 s2, 0
	s_mov_b32 s11, -1
	s_waitcnt vmcnt(0)
	v_lshlrev_b32_e32 v14, 16, v14
	s_delay_alu instid0(VALU_DEP_1) | instskip(NEXT) | instid1(VALU_DEP_1)
	v_trunc_f32_e32 v14, v14
	v_mul_f32_e64 v15, 0x2f800000, |v14|
	s_delay_alu instid0(VALU_DEP_1) | instskip(NEXT) | instid1(VALU_DEP_1)
	v_floor_f32_e32 v15, v15
	v_fma_f32 v15, 0xcf800000, v15, |v14|
	v_ashrrev_i32_e32 v14, 31, v14
	s_delay_alu instid0(VALU_DEP_2) | instskip(NEXT) | instid1(VALU_DEP_1)
	v_cvt_u32_f32_e32 v15, v15
	v_xor_b32_e32 v15, v15, v14
	s_delay_alu instid0(VALU_DEP_1)
	v_sub_nc_u32_e32 v14, v15, v14
	s_branch .LBB151_2284
.LBB151_2271:
	s_mov_b32 s2, -1
                                        ; implicit-def: $vgpr14
	s_branch .LBB151_2346
.LBB151_2272:
	s_mov_b32 s12, -1
	s_mov_b32 s2, 0
                                        ; implicit-def: $vgpr14
	s_branch .LBB151_2311
.LBB151_2273:
	s_mov_b32 s12, -1
	s_mov_b32 s2, 0
                                        ; implicit-def: $vgpr14
	s_branch .LBB151_2294
.LBB151_2274:
	s_mov_b32 s12, -1
	s_mov_b32 s2, 0
                                        ; implicit-def: $vgpr14
	s_branch .LBB151_2289
.LBB151_2275:
	s_cbranch_execnz .LBB151_2278
; %bb.2276:
	s_or_b32 s10, s10, exec_lo
                                        ; implicit-def: $vgpr12_vgpr13
	s_cbranch_execz .LBB151_2212
	s_branch .LBB151_2213
.LBB151_2277:
	s_mov_b32 s12, -1
	s_mov_b32 s2, 0
	s_branch .LBB151_2283
.LBB151_2278:
	s_trap 2
	s_sendmsg_rtn_b32 s0, sendmsg(MSG_RTN_GET_DOORBELL)
	s_mov_b32 ttmp2, m0
	s_waitcnt lgkmcnt(0)
	s_and_b32 s0, s0, 0x3ff
	s_delay_alu instid0(SALU_CYCLE_1) | instskip(NEXT) | instid1(SALU_CYCLE_1)
	s_bitset1_b32 s0, 10
	s_mov_b32 m0, s0
	s_sendmsg sendmsg(MSG_INTERRUPT)
	s_mov_b32 m0, ttmp2
.LBB151_2279:                           ; =>This Inner Loop Header: Depth=1
	s_sethalt 5
	s_branch .LBB151_2279
.LBB151_2280:
	s_or_saveexec_b32 s51, s51
                                        ; implicit-def: $sgpr52
	s_delay_alu instid0(SALU_CYCLE_1)
	s_xor_b32 exec_lo, exec_lo, s51
	s_cbranch_execz .LBB151_1161
.LBB151_2281:
	v_add_f32_e64 v3, 0x42800000, |v2|
	s_and_not1_b32 s50, s50, exec_lo
	s_mov_b32 s52, 0
	s_delay_alu instid0(VALU_DEP_1) | instskip(NEXT) | instid1(VALU_DEP_1)
	v_and_b32_e32 v3, 0xff, v3
	v_cmp_ne_u32_e32 vcc_lo, 0, v3
	s_and_b32 s53, vcc_lo, exec_lo
	s_delay_alu instid0(SALU_CYCLE_1)
	s_or_b32 s50, s50, s53
	s_or_b32 exec_lo, exec_lo, s51
	v_mov_b32_e32 v7, s52
	s_and_saveexec_b32 s51, s50
	s_cbranch_execnz .LBB151_1162
	s_branch .LBB151_1163
.LBB151_2282:
	s_mov_b32 s2, -1
.LBB151_2283:
                                        ; implicit-def: $vgpr14
.LBB151_2284:
	s_and_b32 vcc_lo, exec_lo, s12
	s_cbranch_vccz .LBB151_2288
; %bb.2285:
	v_cmp_eq_u16_e32 vcc_lo, 44, v21
	s_cbranch_vccz .LBB151_2287
; %bb.2286:
	global_load_u8 v14, v[16:17], off
	s_mov_b32 s2, 0
	s_mov_b32 s11, -1
	s_waitcnt vmcnt(0)
	v_lshlrev_b32_e32 v15, 23, v14
	v_cmp_ne_u32_e32 vcc_lo, 0, v14
	s_delay_alu instid0(VALU_DEP_2) | instskip(NEXT) | instid1(VALU_DEP_1)
	v_trunc_f32_e32 v15, v15
	v_mul_f32_e64 v18, 0x2f800000, |v15|
	s_delay_alu instid0(VALU_DEP_1) | instskip(NEXT) | instid1(VALU_DEP_1)
	v_floor_f32_e32 v18, v18
	v_fma_f32 v18, 0xcf800000, v18, |v15|
	v_ashrrev_i32_e32 v15, 31, v15
	s_delay_alu instid0(VALU_DEP_2) | instskip(NEXT) | instid1(VALU_DEP_1)
	v_cvt_u32_f32_e32 v18, v18
	v_xor_b32_e32 v18, v18, v15
	s_delay_alu instid0(VALU_DEP_1) | instskip(NEXT) | instid1(VALU_DEP_1)
	v_sub_nc_u32_e32 v15, v18, v15
	v_cndmask_b32_e32 v14, 0, v15, vcc_lo
	s_branch .LBB151_2288
.LBB151_2287:
	s_mov_b32 s2, -1
                                        ; implicit-def: $vgpr14
.LBB151_2288:
	s_mov_b32 s12, 0
.LBB151_2289:
	s_delay_alu instid0(SALU_CYCLE_1)
	s_and_b32 vcc_lo, exec_lo, s12
	s_cbranch_vccz .LBB151_2293
; %bb.2290:
	v_cmp_eq_u16_e32 vcc_lo, 29, v21
	s_cbranch_vccz .LBB151_2292
; %bb.2291:
	global_load_b64 v[14:15], v[16:17], off
	s_mov_b32 s2, 0
	s_mov_b32 s11, -1
	s_branch .LBB151_2293
.LBB151_2292:
	s_mov_b32 s2, -1
                                        ; implicit-def: $vgpr14
.LBB151_2293:
	s_mov_b32 s12, 0
.LBB151_2294:
	s_delay_alu instid0(SALU_CYCLE_1)
	s_and_b32 vcc_lo, exec_lo, s12
	s_cbranch_vccz .LBB151_2310
; %bb.2295:
	v_cmp_gt_i16_e32 vcc_lo, 27, v21
	s_cbranch_vccnz .LBB151_2298
; %bb.2296:
	v_cmp_lt_i16_e32 vcc_lo, 27, v21
	s_cbranch_vccz .LBB151_2299
; %bb.2297:
	global_load_b32 v14, v[16:17], off
	s_mov_b32 s11, 0
	s_branch .LBB151_2300
.LBB151_2298:
	s_mov_b32 s11, -1
                                        ; implicit-def: $vgpr14
	s_branch .LBB151_2303
.LBB151_2299:
	s_mov_b32 s11, -1
                                        ; implicit-def: $vgpr14
.LBB151_2300:
	s_delay_alu instid0(SALU_CYCLE_1)
	s_and_not1_b32 vcc_lo, exec_lo, s11
	s_cbranch_vccnz .LBB151_2302
; %bb.2301:
	global_load_u16 v14, v[16:17], off
.LBB151_2302:
	s_mov_b32 s11, 0
.LBB151_2303:
	s_delay_alu instid0(SALU_CYCLE_1)
	s_and_not1_b32 vcc_lo, exec_lo, s11
	s_cbranch_vccnz .LBB151_2309
; %bb.2304:
	global_load_u8 v15, v[16:17], off
	s_mov_b32 s12, 0
	s_mov_b32 s11, exec_lo
                                        ; implicit-def: $sgpr13
	s_waitcnt vmcnt(0)
	v_cmpx_lt_i16_e32 0x7f, v15
	s_xor_b32 s11, exec_lo, s11
	s_cbranch_execz .LBB151_2321
; %bb.2305:
	v_cmp_ne_u16_e32 vcc_lo, 0x80, v15
	s_mov_b32 s13, 0
	s_and_b32 s12, vcc_lo, exec_lo
	s_or_saveexec_b32 s11, s11
	v_mov_b32_e32 v14, s13
	s_xor_b32 exec_lo, exec_lo, s11
	s_cbranch_execnz .LBB151_2322
.LBB151_2306:
	s_or_b32 exec_lo, exec_lo, s11
	s_and_saveexec_b32 s11, s12
	s_cbranch_execz .LBB151_2308
.LBB151_2307:
	v_and_b32_e32 v14, 0xffff, v15
	s_delay_alu instid0(VALU_DEP_1) | instskip(NEXT) | instid1(VALU_DEP_1)
	v_and_b32_e32 v18, 7, v14
	v_clz_i32_u32_e32 v20, v18
	s_delay_alu instid0(VALU_DEP_1) | instskip(NEXT) | instid1(VALU_DEP_1)
	v_min_u32_e32 v20, 32, v20
	v_subrev_nc_u32_e32 v22, 28, v20
	v_sub_nc_u32_e32 v20, 29, v20
	s_delay_alu instid0(VALU_DEP_2) | instskip(SKIP_1) | instid1(VALU_DEP_2)
	v_lshlrev_b32_e32 v22, v22, v14
	v_bfe_u32 v14, v14, 3, 4
	v_and_b32_e32 v22, 7, v22
	s_delay_alu instid0(VALU_DEP_2) | instskip(SKIP_1) | instid1(VALU_DEP_1)
	v_cmp_eq_u32_e32 vcc_lo, 0, v14
	v_dual_cndmask_b32 v14, v14, v20 :: v_dual_lshlrev_b32 v15, 24, v15
	v_dual_cndmask_b32 v18, v18, v22 :: v_dual_and_b32 v15, 0x80000000, v15
	s_delay_alu instid0(VALU_DEP_2) | instskip(NEXT) | instid1(VALU_DEP_2)
	v_lshl_add_u32 v14, v14, 23, 0x3b800000
	v_lshlrev_b32_e32 v18, 20, v18
	s_delay_alu instid0(VALU_DEP_1) | instskip(NEXT) | instid1(VALU_DEP_1)
	v_or3_b32 v14, v15, v14, v18
	v_trunc_f32_e32 v14, v14
	s_delay_alu instid0(VALU_DEP_1) | instskip(NEXT) | instid1(VALU_DEP_1)
	v_mul_f32_e64 v15, 0x2f800000, |v14|
	v_floor_f32_e32 v15, v15
	s_delay_alu instid0(VALU_DEP_1) | instskip(SKIP_1) | instid1(VALU_DEP_2)
	v_fma_f32 v15, 0xcf800000, v15, |v14|
	v_ashrrev_i32_e32 v14, 31, v14
	v_cvt_u32_f32_e32 v15, v15
	s_delay_alu instid0(VALU_DEP_1) | instskip(NEXT) | instid1(VALU_DEP_1)
	v_xor_b32_e32 v15, v15, v14
	v_sub_nc_u32_e32 v14, v15, v14
.LBB151_2308:
	s_or_b32 exec_lo, exec_lo, s11
.LBB151_2309:
	s_mov_b32 s11, -1
.LBB151_2310:
	s_mov_b32 s12, 0
.LBB151_2311:
	s_delay_alu instid0(SALU_CYCLE_1)
	s_and_b32 vcc_lo, exec_lo, s12
	s_cbranch_vccz .LBB151_2342
; %bb.2312:
	v_cmp_lt_i16_e32 vcc_lo, 22, v21
	s_cbranch_vccz .LBB151_2320
; %bb.2313:
	v_cmp_gt_i16_e32 vcc_lo, 24, v21
	s_cbranch_vccnz .LBB151_2323
; %bb.2314:
	v_cmp_lt_i16_e32 vcc_lo, 24, v21
	s_cbranch_vccz .LBB151_2324
; %bb.2315:
	global_load_u8 v15, v[16:17], off
	s_mov_b32 s11, 0
	s_mov_b32 s3, exec_lo
                                        ; implicit-def: $sgpr12
	s_waitcnt vmcnt(0)
	v_cmpx_lt_i16_e32 0x7f, v15
	s_xor_b32 s3, exec_lo, s3
	s_cbranch_execz .LBB151_2336
; %bb.2316:
	v_cmp_ne_u16_e32 vcc_lo, 0x80, v15
	s_mov_b32 s12, 0
	s_and_b32 s11, vcc_lo, exec_lo
	s_or_saveexec_b32 s3, s3
	v_mov_b32_e32 v14, s12
	s_xor_b32 exec_lo, exec_lo, s3
	s_cbranch_execnz .LBB151_2337
.LBB151_2317:
	s_or_b32 exec_lo, exec_lo, s3
	s_and_saveexec_b32 s3, s11
	s_cbranch_execz .LBB151_2319
.LBB151_2318:
	v_and_b32_e32 v14, 0xffff, v15
	s_delay_alu instid0(VALU_DEP_1) | instskip(NEXT) | instid1(VALU_DEP_1)
	v_and_b32_e32 v18, 3, v14
	v_clz_i32_u32_e32 v20, v18
	s_delay_alu instid0(VALU_DEP_1) | instskip(NEXT) | instid1(VALU_DEP_1)
	v_min_u32_e32 v20, 32, v20
	v_subrev_nc_u32_e32 v22, 29, v20
	v_sub_nc_u32_e32 v20, 30, v20
	s_delay_alu instid0(VALU_DEP_2) | instskip(SKIP_1) | instid1(VALU_DEP_2)
	v_lshlrev_b32_e32 v22, v22, v14
	v_bfe_u32 v14, v14, 2, 5
	v_and_b32_e32 v22, 3, v22
	s_delay_alu instid0(VALU_DEP_2) | instskip(SKIP_1) | instid1(VALU_DEP_1)
	v_cmp_eq_u32_e32 vcc_lo, 0, v14
	v_dual_cndmask_b32 v14, v14, v20 :: v_dual_lshlrev_b32 v15, 24, v15
	v_dual_cndmask_b32 v18, v18, v22 :: v_dual_and_b32 v15, 0x80000000, v15
	s_delay_alu instid0(VALU_DEP_2) | instskip(NEXT) | instid1(VALU_DEP_2)
	v_lshl_add_u32 v14, v14, 23, 0x37800000
	v_lshlrev_b32_e32 v18, 21, v18
	s_delay_alu instid0(VALU_DEP_1) | instskip(NEXT) | instid1(VALU_DEP_1)
	v_or3_b32 v14, v15, v14, v18
	v_trunc_f32_e32 v14, v14
	s_delay_alu instid0(VALU_DEP_1) | instskip(NEXT) | instid1(VALU_DEP_1)
	v_mul_f32_e64 v15, 0x2f800000, |v14|
	v_floor_f32_e32 v15, v15
	s_delay_alu instid0(VALU_DEP_1) | instskip(SKIP_1) | instid1(VALU_DEP_2)
	v_fma_f32 v15, 0xcf800000, v15, |v14|
	v_ashrrev_i32_e32 v14, 31, v14
	v_cvt_u32_f32_e32 v15, v15
	s_delay_alu instid0(VALU_DEP_1) | instskip(NEXT) | instid1(VALU_DEP_1)
	v_xor_b32_e32 v15, v15, v14
	v_sub_nc_u32_e32 v14, v15, v14
.LBB151_2319:
	s_or_b32 exec_lo, exec_lo, s3
	s_mov_b32 s3, 0
	s_branch .LBB151_2325
.LBB151_2320:
	s_mov_b32 s3, -1
                                        ; implicit-def: $vgpr14
	s_branch .LBB151_2331
.LBB151_2321:
	s_or_saveexec_b32 s11, s11
	v_mov_b32_e32 v14, s13
	s_xor_b32 exec_lo, exec_lo, s11
	s_cbranch_execz .LBB151_2306
.LBB151_2322:
	v_cmp_ne_u16_e32 vcc_lo, 0, v15
	v_mov_b32_e32 v14, 0
	s_and_not1_b32 s12, s12, exec_lo
	s_and_b32 s13, vcc_lo, exec_lo
	s_delay_alu instid0(SALU_CYCLE_1)
	s_or_b32 s12, s12, s13
	s_or_b32 exec_lo, exec_lo, s11
	s_and_saveexec_b32 s11, s12
	s_cbranch_execnz .LBB151_2307
	s_branch .LBB151_2308
.LBB151_2323:
	s_mov_b32 s3, -1
                                        ; implicit-def: $vgpr14
	s_branch .LBB151_2328
.LBB151_2324:
	s_mov_b32 s3, -1
                                        ; implicit-def: $vgpr14
.LBB151_2325:
	s_delay_alu instid0(SALU_CYCLE_1)
	s_and_b32 vcc_lo, exec_lo, s3
	s_cbranch_vccz .LBB151_2327
; %bb.2326:
	global_load_u8 v14, v[16:17], off
	s_waitcnt vmcnt(0)
	v_lshlrev_b32_e32 v14, 24, v14
	s_delay_alu instid0(VALU_DEP_1) | instskip(NEXT) | instid1(VALU_DEP_1)
	v_and_b32_e32 v15, 0x7f000000, v14
	v_clz_i32_u32_e32 v18, v15
	v_cmp_ne_u32_e32 vcc_lo, 0, v15
	v_add_nc_u32_e32 v22, 0x1000000, v15
	s_delay_alu instid0(VALU_DEP_3) | instskip(NEXT) | instid1(VALU_DEP_1)
	v_min_u32_e32 v18, 32, v18
	v_sub_nc_u32_e64 v18, v18, 4 clamp
	s_delay_alu instid0(VALU_DEP_1) | instskip(SKIP_1) | instid1(VALU_DEP_2)
	v_lshlrev_b32_e32 v20, v18, v15
	v_lshlrev_b32_e32 v18, 23, v18
	v_lshrrev_b32_e32 v20, 4, v20
	s_delay_alu instid0(VALU_DEP_1) | instskip(SKIP_1) | instid1(VALU_DEP_2)
	v_sub_nc_u32_e32 v18, v20, v18
	v_ashrrev_i32_e32 v20, 8, v22
	v_add_nc_u32_e32 v18, 0x3c000000, v18
	s_delay_alu instid0(VALU_DEP_1) | instskip(NEXT) | instid1(VALU_DEP_1)
	v_and_or_b32 v18, 0x7f800000, v20, v18
	v_cndmask_b32_e32 v15, 0, v18, vcc_lo
	s_delay_alu instid0(VALU_DEP_1) | instskip(NEXT) | instid1(VALU_DEP_1)
	v_and_or_b32 v14, 0x80000000, v14, v15
	v_trunc_f32_e32 v14, v14
	s_delay_alu instid0(VALU_DEP_1) | instskip(NEXT) | instid1(VALU_DEP_1)
	v_mul_f32_e64 v15, 0x2f800000, |v14|
	v_floor_f32_e32 v15, v15
	s_delay_alu instid0(VALU_DEP_1) | instskip(SKIP_1) | instid1(VALU_DEP_2)
	v_fma_f32 v15, 0xcf800000, v15, |v14|
	v_ashrrev_i32_e32 v14, 31, v14
	v_cvt_u32_f32_e32 v15, v15
	s_delay_alu instid0(VALU_DEP_1) | instskip(NEXT) | instid1(VALU_DEP_1)
	v_xor_b32_e32 v15, v15, v14
	v_sub_nc_u32_e32 v14, v15, v14
.LBB151_2327:
	s_mov_b32 s3, 0
.LBB151_2328:
	s_delay_alu instid0(SALU_CYCLE_1)
	s_and_not1_b32 vcc_lo, exec_lo, s3
	s_cbranch_vccnz .LBB151_2330
; %bb.2329:
	global_load_u8 v14, v[16:17], off
	s_waitcnt vmcnt(0)
	v_lshlrev_b32_e32 v15, 25, v14
	v_lshlrev_b16 v14, 8, v14
	s_delay_alu instid0(VALU_DEP_1) | instskip(SKIP_1) | instid1(VALU_DEP_2)
	v_and_or_b32 v20, 0x7f00, v14, 0.5
	v_bfe_i32 v14, v14, 0, 16
	v_add_f32_e32 v20, -0.5, v20
	v_lshrrev_b32_e32 v18, 4, v15
	v_cmp_gt_u32_e32 vcc_lo, 0x8000000, v15
	s_delay_alu instid0(VALU_DEP_2) | instskip(NEXT) | instid1(VALU_DEP_1)
	v_or_b32_e32 v18, 0x70000000, v18
	v_mul_f32_e32 v18, 0x7800000, v18
	s_delay_alu instid0(VALU_DEP_1) | instskip(NEXT) | instid1(VALU_DEP_1)
	v_cndmask_b32_e32 v15, v18, v20, vcc_lo
	v_and_or_b32 v14, 0x80000000, v14, v15
	s_delay_alu instid0(VALU_DEP_1) | instskip(NEXT) | instid1(VALU_DEP_1)
	v_trunc_f32_e32 v14, v14
	v_mul_f32_e64 v15, 0x2f800000, |v14|
	s_delay_alu instid0(VALU_DEP_1) | instskip(NEXT) | instid1(VALU_DEP_1)
	v_floor_f32_e32 v15, v15
	v_fma_f32 v15, 0xcf800000, v15, |v14|
	v_ashrrev_i32_e32 v14, 31, v14
	s_delay_alu instid0(VALU_DEP_2) | instskip(NEXT) | instid1(VALU_DEP_1)
	v_cvt_u32_f32_e32 v15, v15
	v_xor_b32_e32 v15, v15, v14
	s_delay_alu instid0(VALU_DEP_1)
	v_sub_nc_u32_e32 v14, v15, v14
.LBB151_2330:
	s_mov_b32 s3, 0
	s_mov_b32 s11, -1
.LBB151_2331:
	s_and_not1_b32 vcc_lo, exec_lo, s3
	s_mov_b32 s3, 0
	s_cbranch_vccnz .LBB151_2342
; %bb.2332:
	v_cmp_lt_i16_e32 vcc_lo, 14, v21
	s_cbranch_vccz .LBB151_2335
; %bb.2333:
	v_cmp_eq_u16_e32 vcc_lo, 15, v21
	s_cbranch_vccz .LBB151_2338
; %bb.2334:
	global_load_u16 v14, v[16:17], off
	s_mov_b32 s2, 0
	s_mov_b32 s11, -1
	s_waitcnt vmcnt(0)
	v_lshlrev_b32_e32 v14, 16, v14
	s_delay_alu instid0(VALU_DEP_1) | instskip(NEXT) | instid1(VALU_DEP_1)
	v_trunc_f32_e32 v14, v14
	v_mul_f32_e64 v15, 0x2f800000, |v14|
	s_delay_alu instid0(VALU_DEP_1) | instskip(NEXT) | instid1(VALU_DEP_1)
	v_floor_f32_e32 v15, v15
	v_fma_f32 v15, 0xcf800000, v15, |v14|
	v_ashrrev_i32_e32 v14, 31, v14
	s_delay_alu instid0(VALU_DEP_2) | instskip(NEXT) | instid1(VALU_DEP_1)
	v_cvt_u32_f32_e32 v15, v15
	v_xor_b32_e32 v15, v15, v14
	s_delay_alu instid0(VALU_DEP_1)
	v_sub_nc_u32_e32 v14, v15, v14
	s_branch .LBB151_2340
.LBB151_2335:
	s_mov_b32 s3, -1
	s_branch .LBB151_2339
.LBB151_2336:
	s_or_saveexec_b32 s3, s3
	v_mov_b32_e32 v14, s12
	s_xor_b32 exec_lo, exec_lo, s3
	s_cbranch_execz .LBB151_2317
.LBB151_2337:
	v_cmp_ne_u16_e32 vcc_lo, 0, v15
	v_mov_b32_e32 v14, 0
	s_and_not1_b32 s11, s11, exec_lo
	s_and_b32 s12, vcc_lo, exec_lo
	s_delay_alu instid0(SALU_CYCLE_1)
	s_or_b32 s11, s11, s12
	s_or_b32 exec_lo, exec_lo, s3
	s_and_saveexec_b32 s3, s11
	s_cbranch_execnz .LBB151_2318
	s_branch .LBB151_2319
.LBB151_2338:
	s_mov_b32 s2, -1
.LBB151_2339:
                                        ; implicit-def: $vgpr14
.LBB151_2340:
	s_and_b32 vcc_lo, exec_lo, s3
	s_mov_b32 s3, 0
	s_cbranch_vccz .LBB151_2342
; %bb.2341:
	v_cmp_ne_u16_e64 s2, 11, v21
	s_mov_b32 s3, -1
                                        ; implicit-def: $vgpr14
.LBB151_2342:
	s_delay_alu instid0(VALU_DEP_1)
	s_and_b32 vcc_lo, exec_lo, s2
	s_cbranch_vccnz .LBB151_2407
; %bb.2343:
	s_and_not1_b32 vcc_lo, exec_lo, s3
	s_cbranch_vccnz .LBB151_2345
.LBB151_2344:
	global_load_u8 v14, v[16:17], off
	s_mov_b32 s11, -1
	s_waitcnt vmcnt(0)
	v_cmp_ne_u16_e32 vcc_lo, 0, v14
	v_cndmask_b32_e64 v14, 0, 1, vcc_lo
.LBB151_2345:
	s_mov_b32 s2, 0
.LBB151_2346:
	s_delay_alu instid0(SALU_CYCLE_1)
	s_and_b32 vcc_lo, exec_lo, s2
	s_cbranch_vccz .LBB151_2395
; %bb.2347:
	v_cmp_gt_i16_e32 vcc_lo, 5, v21
	s_cbranch_vccnz .LBB151_2352
; %bb.2348:
	v_cmp_gt_i16_e32 vcc_lo, 8, v21
	s_cbranch_vccnz .LBB151_2353
	;; [unrolled: 3-line block ×3, first 2 shown]
; %bb.2350:
	v_cmp_lt_i16_e32 vcc_lo, 9, v21
	s_cbranch_vccz .LBB151_2355
; %bb.2351:
	global_load_b64 v[14:15], v[16:17], off
	s_mov_b32 s2, 0
	s_waitcnt vmcnt(0)
	v_trunc_f64_e32 v[14:15], v[14:15]
	s_delay_alu instid0(VALU_DEP_1) | instskip(NEXT) | instid1(VALU_DEP_1)
	v_ldexp_f64 v[22:23], v[14:15], 0xffffffe0
	v_floor_f64_e32 v[22:23], v[22:23]
	s_delay_alu instid0(VALU_DEP_1) | instskip(NEXT) | instid1(VALU_DEP_1)
	v_fma_f64 v[14:15], 0xc1f00000, v[22:23], v[14:15]
	v_cvt_u32_f64_e32 v14, v[14:15]
	s_branch .LBB151_2356
.LBB151_2352:
	s_mov_b32 s2, -1
                                        ; implicit-def: $vgpr14
	s_branch .LBB151_2374
.LBB151_2353:
	s_mov_b32 s2, -1
                                        ; implicit-def: $vgpr14
	s_branch .LBB151_2362
.LBB151_2354:
	s_mov_b32 s2, -1
                                        ; implicit-def: $vgpr14
	s_branch .LBB151_2359
.LBB151_2355:
	s_mov_b32 s2, -1
                                        ; implicit-def: $vgpr14
.LBB151_2356:
	s_delay_alu instid0(SALU_CYCLE_1)
	s_and_not1_b32 vcc_lo, exec_lo, s2
	s_cbranch_vccnz .LBB151_2358
; %bb.2357:
	global_load_b32 v14, v[16:17], off
	s_waitcnt vmcnt(0)
	v_trunc_f32_e32 v14, v14
	s_delay_alu instid0(VALU_DEP_1) | instskip(NEXT) | instid1(VALU_DEP_1)
	v_mul_f32_e64 v15, 0x2f800000, |v14|
	v_floor_f32_e32 v15, v15
	s_delay_alu instid0(VALU_DEP_1) | instskip(SKIP_1) | instid1(VALU_DEP_2)
	v_fma_f32 v15, 0xcf800000, v15, |v14|
	v_ashrrev_i32_e32 v14, 31, v14
	v_cvt_u32_f32_e32 v15, v15
	s_delay_alu instid0(VALU_DEP_1) | instskip(NEXT) | instid1(VALU_DEP_1)
	v_xor_b32_e32 v15, v15, v14
	v_sub_nc_u32_e32 v14, v15, v14
.LBB151_2358:
	s_mov_b32 s2, 0
.LBB151_2359:
	s_delay_alu instid0(SALU_CYCLE_1)
	s_and_not1_b32 vcc_lo, exec_lo, s2
	s_cbranch_vccnz .LBB151_2361
; %bb.2360:
	global_load_b32 v14, v[16:17], off
	s_waitcnt vmcnt(0)
	v_cvt_f32_f16_e32 v14, v14
	s_delay_alu instid0(VALU_DEP_1)
	v_cvt_i32_f32_e32 v14, v14
.LBB151_2361:
	s_mov_b32 s2, 0
.LBB151_2362:
	s_delay_alu instid0(SALU_CYCLE_1)
	s_and_not1_b32 vcc_lo, exec_lo, s2
	s_cbranch_vccnz .LBB151_2373
; %bb.2363:
	v_cmp_gt_i16_e32 vcc_lo, 6, v21
	s_cbranch_vccnz .LBB151_2366
; %bb.2364:
	v_cmp_lt_i16_e32 vcc_lo, 6, v21
	s_cbranch_vccz .LBB151_2367
; %bb.2365:
	global_load_b64 v[14:15], v[16:17], off
	s_mov_b32 s2, 0
	s_waitcnt vmcnt(0)
	v_trunc_f64_e32 v[14:15], v[14:15]
	s_delay_alu instid0(VALU_DEP_1) | instskip(NEXT) | instid1(VALU_DEP_1)
	v_ldexp_f64 v[22:23], v[14:15], 0xffffffe0
	v_floor_f64_e32 v[22:23], v[22:23]
	s_delay_alu instid0(VALU_DEP_1) | instskip(NEXT) | instid1(VALU_DEP_1)
	v_fma_f64 v[14:15], 0xc1f00000, v[22:23], v[14:15]
	v_cvt_u32_f64_e32 v14, v[14:15]
	s_branch .LBB151_2368
.LBB151_2366:
	s_mov_b32 s2, -1
                                        ; implicit-def: $vgpr14
	s_branch .LBB151_2371
.LBB151_2367:
	s_mov_b32 s2, -1
                                        ; implicit-def: $vgpr14
.LBB151_2368:
	s_delay_alu instid0(SALU_CYCLE_1)
	s_and_not1_b32 vcc_lo, exec_lo, s2
	s_cbranch_vccnz .LBB151_2370
; %bb.2369:
	global_load_b32 v14, v[16:17], off
	s_waitcnt vmcnt(0)
	v_trunc_f32_e32 v14, v14
	s_delay_alu instid0(VALU_DEP_1) | instskip(NEXT) | instid1(VALU_DEP_1)
	v_mul_f32_e64 v15, 0x2f800000, |v14|
	v_floor_f32_e32 v15, v15
	s_delay_alu instid0(VALU_DEP_1) | instskip(SKIP_1) | instid1(VALU_DEP_2)
	v_fma_f32 v15, 0xcf800000, v15, |v14|
	v_ashrrev_i32_e32 v14, 31, v14
	v_cvt_u32_f32_e32 v15, v15
	s_delay_alu instid0(VALU_DEP_1) | instskip(NEXT) | instid1(VALU_DEP_1)
	v_xor_b32_e32 v15, v15, v14
	v_sub_nc_u32_e32 v14, v15, v14
.LBB151_2370:
	s_mov_b32 s2, 0
.LBB151_2371:
	s_delay_alu instid0(SALU_CYCLE_1)
	s_and_not1_b32 vcc_lo, exec_lo, s2
	s_cbranch_vccnz .LBB151_2373
; %bb.2372:
	global_load_u16 v14, v[16:17], off
	s_waitcnt vmcnt(0)
	v_cvt_f32_f16_e32 v14, v14
	s_delay_alu instid0(VALU_DEP_1)
	v_cvt_i32_f32_e32 v14, v14
.LBB151_2373:
	s_mov_b32 s2, 0
.LBB151_2374:
	s_delay_alu instid0(SALU_CYCLE_1)
	s_and_not1_b32 vcc_lo, exec_lo, s2
	s_cbranch_vccnz .LBB151_2394
; %bb.2375:
	v_cmp_gt_i16_e32 vcc_lo, 2, v21
	s_cbranch_vccnz .LBB151_2379
; %bb.2376:
	v_cmp_gt_i16_e32 vcc_lo, 3, v21
	s_cbranch_vccnz .LBB151_2380
; %bb.2377:
	v_cmp_lt_i16_e32 vcc_lo, 3, v21
	s_cbranch_vccz .LBB151_2381
; %bb.2378:
	global_load_b64 v[14:15], v[16:17], off
	s_mov_b32 s2, 0
	s_branch .LBB151_2382
.LBB151_2379:
	s_mov_b32 s2, -1
                                        ; implicit-def: $vgpr14
	s_branch .LBB151_2388
.LBB151_2380:
	s_mov_b32 s2, -1
                                        ; implicit-def: $vgpr14
	s_branch .LBB151_2385
.LBB151_2381:
	s_mov_b32 s2, -1
                                        ; implicit-def: $vgpr14
.LBB151_2382:
	s_delay_alu instid0(SALU_CYCLE_1)
	s_and_not1_b32 vcc_lo, exec_lo, s2
	s_cbranch_vccnz .LBB151_2384
; %bb.2383:
	global_load_b32 v14, v[16:17], off
.LBB151_2384:
	s_mov_b32 s2, 0
.LBB151_2385:
	s_delay_alu instid0(SALU_CYCLE_1)
	s_and_not1_b32 vcc_lo, exec_lo, s2
	s_cbranch_vccnz .LBB151_2387
; %bb.2386:
	global_load_u16 v14, v[16:17], off
.LBB151_2387:
	s_mov_b32 s2, 0
.LBB151_2388:
	s_delay_alu instid0(SALU_CYCLE_1)
	s_and_not1_b32 vcc_lo, exec_lo, s2
	s_cbranch_vccnz .LBB151_2394
; %bb.2389:
	v_cmp_lt_i16_e32 vcc_lo, 0, v21
	s_mov_b32 s2, 0
	s_cbranch_vccz .LBB151_2391
; %bb.2390:
	global_load_u8 v14, v[16:17], off
	s_branch .LBB151_2392
.LBB151_2391:
	s_mov_b32 s2, -1
                                        ; implicit-def: $vgpr14
.LBB151_2392:
	s_delay_alu instid0(SALU_CYCLE_1)
	s_and_not1_b32 vcc_lo, exec_lo, s2
	s_cbranch_vccnz .LBB151_2394
; %bb.2393:
	global_load_u8 v14, v[16:17], off
.LBB151_2394:
	s_mov_b32 s11, -1
.LBB151_2395:
	s_delay_alu instid0(SALU_CYCLE_1)
	s_and_not1_b32 vcc_lo, exec_lo, s11
	s_cbranch_vccnz .LBB151_3049
; %bb.2396:
	v_cmp_gt_i16_e32 vcc_lo, 11, v19
	v_add_co_u32 v17, s2, s6, v10
	s_delay_alu instid0(VALU_DEP_1)
	v_add_co_ci_u32_e64 v18, null, s7, 0, s2
	s_mov_b32 s2, 0
	s_cbranch_vccnz .LBB151_2403
; %bb.2397:
	v_cmp_lt_i16_e32 vcc_lo, 25, v19
	s_mov_b32 s7, 0
	s_cbranch_vccz .LBB151_2404
; %bb.2398:
	v_cmp_lt_i16_e32 vcc_lo, 28, v19
	s_cbranch_vccz .LBB151_2405
; %bb.2399:
	v_cmp_lt_i16_e32 vcc_lo, 43, v19
	;; [unrolled: 3-line block ×3, first 2 shown]
	s_cbranch_vccz .LBB151_2409
; %bb.2401:
	v_cmp_eq_u16_e32 vcc_lo, 46, v19
	s_mov_b32 s3, 0
	s_cbranch_vccz .LBB151_2412
; %bb.2402:
	global_load_b32 v10, v[17:18], off
	s_mov_b32 s6, 0
	s_mov_b32 s2, -1
	s_waitcnt vmcnt(0)
	v_lshlrev_b32_e32 v10, 16, v10
	s_delay_alu instid0(VALU_DEP_1)
	v_cvt_f64_f32_e32 v[15:16], v10
	s_branch .LBB151_2414
.LBB151_2403:
	s_mov_b32 s3, -1
                                        ; implicit-def: $vgpr15_vgpr16
	s_branch .LBB151_2480
.LBB151_2404:
	s_mov_b32 s3, -1
	s_mov_b32 s6, 0
                                        ; implicit-def: $vgpr15_vgpr16
	s_branch .LBB151_2445
.LBB151_2405:
	s_mov_b32 s3, -1
	s_mov_b32 s6, 0
                                        ; implicit-def: $vgpr15_vgpr16
	s_branch .LBB151_2424
.LBB151_2406:
	s_mov_b32 s3, -1
	s_mov_b32 s6, 0
                                        ; implicit-def: $vgpr15_vgpr16
	s_branch .LBB151_2419
.LBB151_2407:
	s_cbranch_execnz .LBB151_2410
; %bb.2408:
	s_or_b32 s10, s10, exec_lo
                                        ; implicit-def: $vgpr14
	s_cbranch_execz .LBB151_2344
	s_branch .LBB151_2345
.LBB151_2409:
	s_mov_b32 s3, -1
	s_mov_b32 s6, 0
	s_branch .LBB151_2413
.LBB151_2410:
	s_trap 2
	s_sendmsg_rtn_b32 s0, sendmsg(MSG_RTN_GET_DOORBELL)
	s_mov_b32 ttmp2, m0
	s_waitcnt lgkmcnt(0)
	s_and_b32 s0, s0, 0x3ff
	s_delay_alu instid0(SALU_CYCLE_1) | instskip(NEXT) | instid1(SALU_CYCLE_1)
	s_bitset1_b32 s0, 10
	s_mov_b32 m0, s0
	s_sendmsg sendmsg(MSG_INTERRUPT)
	s_mov_b32 m0, ttmp2
.LBB151_2411:                           ; =>This Inner Loop Header: Depth=1
	s_sethalt 5
	s_branch .LBB151_2411
.LBB151_2412:
	s_mov_b32 s6, -1
.LBB151_2413:
                                        ; implicit-def: $vgpr15_vgpr16
.LBB151_2414:
	s_and_b32 vcc_lo, exec_lo, s3
	s_cbranch_vccz .LBB151_2418
; %bb.2415:
	v_cmp_eq_u16_e32 vcc_lo, 44, v19
	s_cbranch_vccz .LBB151_2417
; %bb.2416:
	global_load_u8 v10, v[17:18], off
	s_mov_b32 s6, 0
	s_mov_b32 s2, -1
	s_waitcnt vmcnt(0)
	v_cmp_ne_u32_e32 vcc_lo, 0xff, v10
	v_lshlrev_b32_e32 v15, 23, v10
	s_delay_alu instid0(VALU_DEP_1) | instskip(NEXT) | instid1(VALU_DEP_1)
	v_cvt_f64_f32_e32 v[15:16], v15
	v_cndmask_b32_e32 v16, 0x7ff80000, v16, vcc_lo
	s_delay_alu instid0(VALU_DEP_2) | instskip(SKIP_1) | instid1(VALU_DEP_3)
	v_cndmask_b32_e32 v15, 0x20000000, v15, vcc_lo
	v_cmp_ne_u32_e32 vcc_lo, 0, v10
	v_cndmask_b32_e32 v16, 0x38000000, v16, vcc_lo
	s_delay_alu instid0(VALU_DEP_3)
	v_cndmask_b32_e32 v15, 0, v15, vcc_lo
	s_branch .LBB151_2418
.LBB151_2417:
	s_mov_b32 s6, -1
                                        ; implicit-def: $vgpr15_vgpr16
.LBB151_2418:
	s_mov_b32 s3, 0
.LBB151_2419:
	s_delay_alu instid0(SALU_CYCLE_1)
	s_and_b32 vcc_lo, exec_lo, s3
	s_cbranch_vccz .LBB151_2423
; %bb.2420:
	v_cmp_eq_u16_e32 vcc_lo, 29, v19
	s_cbranch_vccz .LBB151_2422
; %bb.2421:
	global_load_b64 v[15:16], v[17:18], off
	s_mov_b32 s6, 0
	s_mov_b32 s2, -1
	s_mov_b32 s3, 0
	s_waitcnt vmcnt(0)
	v_cvt_f64_u32_e32 v[22:23], v16
	v_cvt_f64_u32_e32 v[15:16], v15
	s_delay_alu instid0(VALU_DEP_2) | instskip(NEXT) | instid1(VALU_DEP_1)
	v_ldexp_f64 v[22:23], v[22:23], 32
	v_add_f64 v[15:16], v[22:23], v[15:16]
	s_branch .LBB151_2424
.LBB151_2422:
	s_mov_b32 s6, -1
                                        ; implicit-def: $vgpr15_vgpr16
.LBB151_2423:
	s_mov_b32 s3, 0
.LBB151_2424:
	s_delay_alu instid0(SALU_CYCLE_1)
	s_and_b32 vcc_lo, exec_lo, s3
	s_cbranch_vccz .LBB151_2444
; %bb.2425:
	v_cmp_gt_i16_e32 vcc_lo, 27, v19
	s_cbranch_vccnz .LBB151_2428
; %bb.2426:
	v_cmp_lt_i16_e32 vcc_lo, 27, v19
	s_cbranch_vccz .LBB151_2429
; %bb.2427:
	global_load_b32 v10, v[17:18], off
	s_mov_b32 s2, 0
	s_waitcnt vmcnt(0)
	v_cvt_f64_u32_e32 v[15:16], v10
	s_branch .LBB151_2430
.LBB151_2428:
	s_mov_b32 s2, -1
                                        ; implicit-def: $vgpr15_vgpr16
	s_branch .LBB151_2433
.LBB151_2429:
	s_mov_b32 s2, -1
                                        ; implicit-def: $vgpr15_vgpr16
.LBB151_2430:
	s_delay_alu instid0(SALU_CYCLE_1)
	s_and_not1_b32 vcc_lo, exec_lo, s2
	s_cbranch_vccnz .LBB151_2432
; %bb.2431:
	global_load_u16 v10, v[17:18], off
	s_waitcnt vmcnt(0)
	v_cvt_f64_u32_e32 v[15:16], v10
.LBB151_2432:
	s_mov_b32 s2, 0
.LBB151_2433:
	s_delay_alu instid0(SALU_CYCLE_1)
	s_and_not1_b32 vcc_lo, exec_lo, s2
	s_cbranch_vccnz .LBB151_2443
; %bb.2434:
	global_load_u8 v10, v[17:18], off
	s_mov_b32 s11, 0
	s_mov_b32 s12, exec_lo
                                        ; implicit-def: $sgpr2_sgpr3
	s_waitcnt vmcnt(0)
	v_cmpx_lt_i16_e32 0x7f, v10
	s_xor_b32 s12, exec_lo, s12
	s_cbranch_execz .LBB151_2438
; %bb.2435:
	s_mov_b32 s13, -1
	s_mov_b32 s11, exec_lo
                                        ; implicit-def: $sgpr2_sgpr3
	v_cmpx_eq_u16_e32 0x80, v10
; %bb.2436:
	s_mov_b32 s3, 0x7ff80000
	s_brev_b32 s2, 4
	s_xor_b32 s13, exec_lo, -1
; %bb.2437:
	s_or_b32 exec_lo, exec_lo, s11
	s_delay_alu instid0(SALU_CYCLE_1)
	s_and_b32 s11, s13, exec_lo
.LBB151_2438:
	s_or_saveexec_b32 s12, s12
	v_dual_mov_b32 v16, s3 :: v_dual_mov_b32 v15, s2
	s_xor_b32 exec_lo, exec_lo, s12
; %bb.2439:
	v_cmp_ne_u16_e32 vcc_lo, 0, v10
	v_mov_b32_e32 v15, 0
	v_mov_b32_e32 v16, 0
	s_and_not1_b32 s2, s11, exec_lo
	s_and_b32 s3, vcc_lo, exec_lo
	s_delay_alu instid0(SALU_CYCLE_1)
	s_or_b32 s11, s2, s3
; %bb.2440:
	s_or_b32 exec_lo, exec_lo, s12
	s_and_saveexec_b32 s2, s11
	s_cbranch_execz .LBB151_2442
; %bb.2441:
	v_and_b32_e32 v15, 0xffff, v10
	v_lshlrev_b32_e32 v10, 24, v10
	s_delay_alu instid0(VALU_DEP_2) | instskip(NEXT) | instid1(VALU_DEP_2)
	v_and_b32_e32 v16, 7, v15
	v_and_b32_e32 v10, 0x80000000, v10
	s_delay_alu instid0(VALU_DEP_2) | instskip(NEXT) | instid1(VALU_DEP_1)
	v_clz_i32_u32_e32 v20, v16
	v_min_u32_e32 v20, 32, v20
	s_delay_alu instid0(VALU_DEP_1) | instskip(SKIP_1) | instid1(VALU_DEP_2)
	v_subrev_nc_u32_e32 v22, 28, v20
	v_sub_nc_u32_e32 v20, 29, v20
	v_lshlrev_b32_e32 v22, v22, v15
	v_bfe_u32 v15, v15, 3, 4
	s_delay_alu instid0(VALU_DEP_2) | instskip(NEXT) | instid1(VALU_DEP_2)
	v_and_b32_e32 v22, 7, v22
	v_cmp_eq_u32_e32 vcc_lo, 0, v15
	s_delay_alu instid0(VALU_DEP_2) | instskip(NEXT) | instid1(VALU_DEP_1)
	v_dual_cndmask_b32 v15, v15, v20 :: v_dual_cndmask_b32 v16, v16, v22
	v_lshl_add_u32 v15, v15, 23, 0x3b800000
	s_delay_alu instid0(VALU_DEP_2) | instskip(NEXT) | instid1(VALU_DEP_1)
	v_lshlrev_b32_e32 v16, 20, v16
	v_or3_b32 v10, v10, v15, v16
	s_delay_alu instid0(VALU_DEP_1)
	v_cvt_f64_f32_e32 v[15:16], v10
.LBB151_2442:
	s_or_b32 exec_lo, exec_lo, s2
.LBB151_2443:
	s_mov_b32 s2, -1
.LBB151_2444:
	s_mov_b32 s3, 0
.LBB151_2445:
	s_delay_alu instid0(SALU_CYCLE_1)
	s_and_b32 vcc_lo, exec_lo, s3
	s_cbranch_vccz .LBB151_2476
; %bb.2446:
	v_cmp_lt_i16_e32 vcc_lo, 22, v19
	s_cbranch_vccz .LBB151_2458
; %bb.2447:
	v_cmp_gt_i16_e32 vcc_lo, 24, v19
	s_cbranch_vccnz .LBB151_2459
; %bb.2448:
	v_cmp_lt_i16_e32 vcc_lo, 24, v19
	s_cbranch_vccz .LBB151_2460
; %bb.2449:
	global_load_u8 v10, v[17:18], off
	s_mov_b32 s11, exec_lo
                                        ; implicit-def: $sgpr2_sgpr3
	s_waitcnt vmcnt(0)
	v_cmpx_lt_i16_e32 0x7f, v10
	s_xor_b32 s11, exec_lo, s11
	s_cbranch_execz .LBB151_2453
; %bb.2450:
	s_mov_b32 s12, -1
	s_mov_b32 s7, exec_lo
                                        ; implicit-def: $sgpr2_sgpr3
	v_cmpx_eq_u16_e32 0x80, v10
; %bb.2451:
	s_mov_b32 s3, 0x7ff80000
	s_brev_b32 s2, 4
	s_xor_b32 s12, exec_lo, -1
; %bb.2452:
	s_or_b32 exec_lo, exec_lo, s7
	s_delay_alu instid0(SALU_CYCLE_1)
	s_and_b32 s7, s12, exec_lo
.LBB151_2453:
	s_or_saveexec_b32 s11, s11
	v_dual_mov_b32 v16, s3 :: v_dual_mov_b32 v15, s2
	s_xor_b32 exec_lo, exec_lo, s11
; %bb.2454:
	v_cmp_ne_u16_e32 vcc_lo, 0, v10
	v_mov_b32_e32 v15, 0
	v_mov_b32_e32 v16, 0
	s_and_not1_b32 s2, s7, exec_lo
	s_and_b32 s3, vcc_lo, exec_lo
	s_delay_alu instid0(SALU_CYCLE_1)
	s_or_b32 s7, s2, s3
; %bb.2455:
	s_or_b32 exec_lo, exec_lo, s11
	s_and_saveexec_b32 s2, s7
	s_cbranch_execz .LBB151_2457
; %bb.2456:
	v_and_b32_e32 v15, 0xffff, v10
	v_lshlrev_b32_e32 v10, 24, v10
	s_delay_alu instid0(VALU_DEP_2) | instskip(NEXT) | instid1(VALU_DEP_2)
	v_and_b32_e32 v16, 3, v15
	v_and_b32_e32 v10, 0x80000000, v10
	s_delay_alu instid0(VALU_DEP_2) | instskip(NEXT) | instid1(VALU_DEP_1)
	v_clz_i32_u32_e32 v20, v16
	v_min_u32_e32 v20, 32, v20
	s_delay_alu instid0(VALU_DEP_1) | instskip(SKIP_1) | instid1(VALU_DEP_2)
	v_subrev_nc_u32_e32 v22, 29, v20
	v_sub_nc_u32_e32 v20, 30, v20
	v_lshlrev_b32_e32 v22, v22, v15
	v_bfe_u32 v15, v15, 2, 5
	s_delay_alu instid0(VALU_DEP_2) | instskip(NEXT) | instid1(VALU_DEP_2)
	v_and_b32_e32 v22, 3, v22
	v_cmp_eq_u32_e32 vcc_lo, 0, v15
	s_delay_alu instid0(VALU_DEP_2) | instskip(NEXT) | instid1(VALU_DEP_1)
	v_dual_cndmask_b32 v15, v15, v20 :: v_dual_cndmask_b32 v16, v16, v22
	v_lshl_add_u32 v15, v15, 23, 0x37800000
	s_delay_alu instid0(VALU_DEP_2) | instskip(NEXT) | instid1(VALU_DEP_1)
	v_lshlrev_b32_e32 v16, 21, v16
	v_or3_b32 v10, v10, v15, v16
	s_delay_alu instid0(VALU_DEP_1)
	v_cvt_f64_f32_e32 v[15:16], v10
.LBB151_2457:
	s_or_b32 exec_lo, exec_lo, s2
	s_mov_b32 s2, 0
	s_branch .LBB151_2461
.LBB151_2458:
	s_mov_b32 s3, -1
                                        ; implicit-def: $vgpr15_vgpr16
	s_branch .LBB151_2467
.LBB151_2459:
	s_mov_b32 s2, -1
                                        ; implicit-def: $vgpr15_vgpr16
	s_branch .LBB151_2464
.LBB151_2460:
	s_mov_b32 s2, -1
                                        ; implicit-def: $vgpr15_vgpr16
.LBB151_2461:
	s_delay_alu instid0(SALU_CYCLE_1)
	s_and_b32 vcc_lo, exec_lo, s2
	s_cbranch_vccz .LBB151_2463
; %bb.2462:
	global_load_u8 v10, v[17:18], off
	s_waitcnt vmcnt(0)
	v_lshlrev_b32_e32 v10, 24, v10
	s_delay_alu instid0(VALU_DEP_1) | instskip(NEXT) | instid1(VALU_DEP_1)
	v_and_b32_e32 v15, 0x7f000000, v10
	v_clz_i32_u32_e32 v16, v15
	v_add_nc_u32_e32 v22, 0x1000000, v15
	v_cmp_ne_u32_e32 vcc_lo, 0, v15
	s_delay_alu instid0(VALU_DEP_3) | instskip(NEXT) | instid1(VALU_DEP_1)
	v_min_u32_e32 v16, 32, v16
	v_sub_nc_u32_e64 v16, v16, 4 clamp
	s_delay_alu instid0(VALU_DEP_1) | instskip(SKIP_1) | instid1(VALU_DEP_2)
	v_lshlrev_b32_e32 v20, v16, v15
	v_lshlrev_b32_e32 v16, 23, v16
	v_lshrrev_b32_e32 v20, 4, v20
	s_delay_alu instid0(VALU_DEP_1) | instskip(SKIP_1) | instid1(VALU_DEP_2)
	v_sub_nc_u32_e32 v16, v20, v16
	v_ashrrev_i32_e32 v20, 8, v22
	v_add_nc_u32_e32 v16, 0x3c000000, v16
	s_delay_alu instid0(VALU_DEP_1) | instskip(NEXT) | instid1(VALU_DEP_1)
	v_and_or_b32 v16, 0x7f800000, v20, v16
	v_cndmask_b32_e32 v15, 0, v16, vcc_lo
	s_delay_alu instid0(VALU_DEP_1) | instskip(NEXT) | instid1(VALU_DEP_1)
	v_and_or_b32 v10, 0x80000000, v10, v15
	v_cvt_f64_f32_e32 v[15:16], v10
.LBB151_2463:
	s_mov_b32 s2, 0
.LBB151_2464:
	s_delay_alu instid0(SALU_CYCLE_1)
	s_and_not1_b32 vcc_lo, exec_lo, s2
	s_cbranch_vccnz .LBB151_2466
; %bb.2465:
	global_load_u8 v10, v[17:18], off
	s_waitcnt vmcnt(0)
	v_lshlrev_b32_e32 v15, 25, v10
	v_lshlrev_b16 v10, 8, v10
	s_delay_alu instid0(VALU_DEP_1) | instskip(SKIP_1) | instid1(VALU_DEP_2)
	v_and_or_b32 v20, 0x7f00, v10, 0.5
	v_bfe_i32 v10, v10, 0, 16
	v_add_f32_e32 v20, -0.5, v20
	v_lshrrev_b32_e32 v16, 4, v15
	v_cmp_gt_u32_e32 vcc_lo, 0x8000000, v15
	s_delay_alu instid0(VALU_DEP_2) | instskip(NEXT) | instid1(VALU_DEP_1)
	v_or_b32_e32 v16, 0x70000000, v16
	v_mul_f32_e32 v16, 0x7800000, v16
	s_delay_alu instid0(VALU_DEP_1) | instskip(NEXT) | instid1(VALU_DEP_1)
	v_cndmask_b32_e32 v15, v16, v20, vcc_lo
	v_and_or_b32 v10, 0x80000000, v10, v15
	s_delay_alu instid0(VALU_DEP_1)
	v_cvt_f64_f32_e32 v[15:16], v10
.LBB151_2466:
	s_mov_b32 s3, 0
	s_mov_b32 s2, -1
.LBB151_2467:
	s_and_not1_b32 vcc_lo, exec_lo, s3
	s_mov_b32 s7, 0
	s_cbranch_vccnz .LBB151_2476
; %bb.2468:
	v_cmp_lt_i16_e32 vcc_lo, 14, v19
	s_cbranch_vccz .LBB151_2471
; %bb.2469:
	v_cmp_eq_u16_e32 vcc_lo, 15, v19
	s_cbranch_vccz .LBB151_2472
; %bb.2470:
	global_load_u16 v10, v[17:18], off
	s_mov_b32 s6, 0
	s_mov_b32 s2, -1
	s_waitcnt vmcnt(0)
	v_lshlrev_b32_e32 v10, 16, v10
	s_delay_alu instid0(VALU_DEP_1)
	v_cvt_f64_f32_e32 v[15:16], v10
	s_branch .LBB151_2473
.LBB151_2471:
	s_mov_b32 s3, -1
                                        ; implicit-def: $vgpr15_vgpr16
	s_branch .LBB151_2474
.LBB151_2472:
	s_mov_b32 s6, -1
                                        ; implicit-def: $vgpr15_vgpr16
.LBB151_2473:
	s_mov_b32 s3, 0
.LBB151_2474:
	s_delay_alu instid0(SALU_CYCLE_1)
	s_and_b32 vcc_lo, exec_lo, s3
	s_cbranch_vccz .LBB151_2476
; %bb.2475:
	v_cmp_ne_u16_e64 s6, 11, v19
	s_mov_b32 s7, -1
                                        ; implicit-def: $vgpr15_vgpr16
.LBB151_2476:
	s_delay_alu instid0(VALU_DEP_1)
	s_and_b32 vcc_lo, exec_lo, s6
	s_cbranch_vccnz .LBB151_2541
; %bb.2477:
	s_and_not1_b32 vcc_lo, exec_lo, s7
	s_cbranch_vccnz .LBB151_2479
.LBB151_2478:
	global_load_u8 v10, v[17:18], off
	s_waitcnt vmcnt(1)
	v_mov_b32_e32 v15, 0
	s_mov_b32 s2, -1
	s_waitcnt vmcnt(0)
	v_cmp_ne_u16_e32 vcc_lo, 0, v10
	v_cndmask_b32_e64 v16, 0, 0x3ff00000, vcc_lo
.LBB151_2479:
	s_mov_b32 s3, 0
.LBB151_2480:
	s_delay_alu instid0(SALU_CYCLE_1)
	s_and_b32 vcc_lo, exec_lo, s3
	s_cbranch_vccz .LBB151_2529
; %bb.2481:
	v_cmp_gt_i16_e32 vcc_lo, 5, v19
	s_cbranch_vccnz .LBB151_2486
; %bb.2482:
	v_cmp_gt_i16_e32 vcc_lo, 8, v19
	s_cbranch_vccnz .LBB151_2487
	;; [unrolled: 3-line block ×3, first 2 shown]
; %bb.2484:
	v_cmp_lt_i16_e32 vcc_lo, 9, v19
	s_cbranch_vccz .LBB151_2489
; %bb.2485:
	global_load_b64 v[15:16], v[17:18], off
	s_mov_b32 s2, 0
	s_branch .LBB151_2490
.LBB151_2486:
	s_mov_b32 s2, -1
                                        ; implicit-def: $vgpr15_vgpr16
	s_branch .LBB151_2508
.LBB151_2487:
	s_mov_b32 s2, -1
                                        ; implicit-def: $vgpr15_vgpr16
	s_branch .LBB151_2496
.LBB151_2488:
	s_mov_b32 s2, -1
                                        ; implicit-def: $vgpr15_vgpr16
	s_branch .LBB151_2493
.LBB151_2489:
	s_mov_b32 s2, -1
                                        ; implicit-def: $vgpr15_vgpr16
.LBB151_2490:
	s_delay_alu instid0(SALU_CYCLE_1)
	s_and_not1_b32 vcc_lo, exec_lo, s2
	s_cbranch_vccnz .LBB151_2492
; %bb.2491:
	global_load_b32 v10, v[17:18], off
	s_waitcnt vmcnt(0)
	v_cvt_f64_f32_e32 v[15:16], v10
.LBB151_2492:
	s_mov_b32 s2, 0
.LBB151_2493:
	s_delay_alu instid0(SALU_CYCLE_1)
	s_and_not1_b32 vcc_lo, exec_lo, s2
	s_cbranch_vccnz .LBB151_2495
; %bb.2494:
	global_load_b32 v10, v[17:18], off
	s_waitcnt vmcnt(0)
	v_cvt_f32_f16_e32 v10, v10
	s_delay_alu instid0(VALU_DEP_1)
	v_cvt_f64_f32_e32 v[15:16], v10
.LBB151_2495:
	s_mov_b32 s2, 0
.LBB151_2496:
	s_delay_alu instid0(SALU_CYCLE_1)
	s_and_not1_b32 vcc_lo, exec_lo, s2
	s_cbranch_vccnz .LBB151_2507
; %bb.2497:
	v_cmp_gt_i16_e32 vcc_lo, 6, v19
	s_cbranch_vccnz .LBB151_2500
; %bb.2498:
	v_cmp_lt_i16_e32 vcc_lo, 6, v19
	s_cbranch_vccz .LBB151_2501
; %bb.2499:
	global_load_b64 v[15:16], v[17:18], off
	s_mov_b32 s2, 0
	s_branch .LBB151_2502
.LBB151_2500:
	s_mov_b32 s2, -1
                                        ; implicit-def: $vgpr15_vgpr16
	s_branch .LBB151_2505
.LBB151_2501:
	s_mov_b32 s2, -1
                                        ; implicit-def: $vgpr15_vgpr16
.LBB151_2502:
	s_delay_alu instid0(SALU_CYCLE_1)
	s_and_not1_b32 vcc_lo, exec_lo, s2
	s_cbranch_vccnz .LBB151_2504
; %bb.2503:
	global_load_b32 v10, v[17:18], off
	s_waitcnt vmcnt(0)
	v_cvt_f64_f32_e32 v[15:16], v10
.LBB151_2504:
	s_mov_b32 s2, 0
.LBB151_2505:
	s_delay_alu instid0(SALU_CYCLE_1)
	s_and_not1_b32 vcc_lo, exec_lo, s2
	s_cbranch_vccnz .LBB151_2507
; %bb.2506:
	global_load_u16 v10, v[17:18], off
	s_waitcnt vmcnt(0)
	v_cvt_f32_f16_e32 v10, v10
	s_delay_alu instid0(VALU_DEP_1)
	v_cvt_f64_f32_e32 v[15:16], v10
.LBB151_2507:
	s_mov_b32 s2, 0
.LBB151_2508:
	s_delay_alu instid0(SALU_CYCLE_1)
	s_and_not1_b32 vcc_lo, exec_lo, s2
	s_cbranch_vccnz .LBB151_2528
; %bb.2509:
	v_cmp_gt_i16_e32 vcc_lo, 2, v19
	s_cbranch_vccnz .LBB151_2513
; %bb.2510:
	v_cmp_gt_i16_e32 vcc_lo, 3, v19
	s_cbranch_vccnz .LBB151_2514
; %bb.2511:
	v_cmp_lt_i16_e32 vcc_lo, 3, v19
	s_cbranch_vccz .LBB151_2515
; %bb.2512:
	global_load_b64 v[15:16], v[17:18], off
	s_mov_b32 s2, 0
	s_waitcnt vmcnt(0)
	v_cvt_f64_i32_e32 v[22:23], v16
	v_cvt_f64_u32_e32 v[15:16], v15
	s_delay_alu instid0(VALU_DEP_2) | instskip(NEXT) | instid1(VALU_DEP_1)
	v_ldexp_f64 v[22:23], v[22:23], 32
	v_add_f64 v[15:16], v[22:23], v[15:16]
	s_branch .LBB151_2516
.LBB151_2513:
	s_mov_b32 s2, -1
                                        ; implicit-def: $vgpr15_vgpr16
	s_branch .LBB151_2522
.LBB151_2514:
	s_mov_b32 s2, -1
                                        ; implicit-def: $vgpr15_vgpr16
	s_branch .LBB151_2519
.LBB151_2515:
	s_mov_b32 s2, -1
                                        ; implicit-def: $vgpr15_vgpr16
.LBB151_2516:
	s_delay_alu instid0(SALU_CYCLE_1)
	s_and_not1_b32 vcc_lo, exec_lo, s2
	s_cbranch_vccnz .LBB151_2518
; %bb.2517:
	global_load_b32 v10, v[17:18], off
	s_waitcnt vmcnt(0)
	v_cvt_f64_i32_e32 v[15:16], v10
.LBB151_2518:
	s_mov_b32 s2, 0
.LBB151_2519:
	s_delay_alu instid0(SALU_CYCLE_1)
	s_and_not1_b32 vcc_lo, exec_lo, s2
	s_cbranch_vccnz .LBB151_2521
; %bb.2520:
	global_load_i16 v10, v[17:18], off
	s_waitcnt vmcnt(0)
	v_cvt_f64_i32_e32 v[15:16], v10
.LBB151_2521:
	s_mov_b32 s2, 0
.LBB151_2522:
	s_delay_alu instid0(SALU_CYCLE_1)
	s_and_not1_b32 vcc_lo, exec_lo, s2
	s_cbranch_vccnz .LBB151_2528
; %bb.2523:
	v_cmp_lt_i16_e32 vcc_lo, 0, v19
	s_mov_b32 s2, 0
	s_cbranch_vccz .LBB151_2525
; %bb.2524:
	global_load_i8 v10, v[17:18], off
	s_waitcnt vmcnt(0)
	v_cvt_f64_i32_e32 v[15:16], v10
	s_branch .LBB151_2526
.LBB151_2525:
	s_mov_b32 s2, -1
                                        ; implicit-def: $vgpr15_vgpr16
.LBB151_2526:
	s_delay_alu instid0(SALU_CYCLE_1)
	s_and_not1_b32 vcc_lo, exec_lo, s2
	s_cbranch_vccnz .LBB151_2528
; %bb.2527:
	global_load_u8 v10, v[17:18], off
	s_waitcnt vmcnt(0)
	v_cvt_f64_u32_e32 v[15:16], v10
.LBB151_2528:
	s_mov_b32 s2, -1
.LBB151_2529:
	s_delay_alu instid0(SALU_CYCLE_1)
	s_and_not1_b32 vcc_lo, exec_lo, s2
	s_cbranch_vccnz .LBB151_3049
; %bb.2530:
	v_cmp_gt_i16_e32 vcc_lo, 11, v21
	v_add_co_u32 v19, s0, s0, v3
	s_delay_alu instid0(VALU_DEP_1)
	v_add_co_ci_u32_e64 v20, null, s1, 0, s0
	s_mov_b32 s2, 0
	s_cbranch_vccnz .LBB151_2537
; %bb.2531:
	v_cmp_lt_i16_e32 vcc_lo, 25, v21
	s_mov_b32 s1, 0
	s_cbranch_vccz .LBB151_2538
; %bb.2532:
	v_cmp_lt_i16_e32 vcc_lo, 28, v21
	s_cbranch_vccz .LBB151_2539
; %bb.2533:
	v_cmp_lt_i16_e32 vcc_lo, 43, v21
	;; [unrolled: 3-line block ×3, first 2 shown]
	s_cbranch_vccz .LBB151_2543
; %bb.2535:
	v_cmp_eq_u16_e32 vcc_lo, 46, v21
	s_mov_b32 s3, 0
	s_cbranch_vccz .LBB151_2546
; %bb.2536:
	global_load_b32 v3, v[19:20], off
	s_mov_b32 s0, 0
	s_mov_b32 s2, -1
	s_waitcnt vmcnt(0)
	v_lshlrev_b32_e32 v3, 16, v3
	s_delay_alu instid0(VALU_DEP_1) | instskip(NEXT) | instid1(VALU_DEP_1)
	v_trunc_f32_e32 v3, v3
	v_mul_f32_e64 v10, 0x2f800000, |v3|
	s_delay_alu instid0(VALU_DEP_1) | instskip(NEXT) | instid1(VALU_DEP_1)
	v_floor_f32_e32 v10, v10
	v_fma_f32 v10, 0xcf800000, v10, |v3|
	v_ashrrev_i32_e32 v3, 31, v3
	s_delay_alu instid0(VALU_DEP_2) | instskip(NEXT) | instid1(VALU_DEP_1)
	v_cvt_u32_f32_e32 v10, v10
	v_xor_b32_e32 v10, v10, v3
	s_delay_alu instid0(VALU_DEP_1)
	v_sub_nc_u32_e32 v17, v10, v3
	s_branch .LBB151_2548
.LBB151_2537:
	s_mov_b32 s0, -1
                                        ; implicit-def: $vgpr17
	s_branch .LBB151_2610
.LBB151_2538:
	s_mov_b32 s3, -1
	s_mov_b32 s0, 0
                                        ; implicit-def: $vgpr17
	s_branch .LBB151_2575
.LBB151_2539:
	s_mov_b32 s3, -1
	s_mov_b32 s0, 0
                                        ; implicit-def: $vgpr17
	s_branch .LBB151_2558
.LBB151_2540:
	s_mov_b32 s3, -1
	s_mov_b32 s0, 0
                                        ; implicit-def: $vgpr17
	s_branch .LBB151_2553
.LBB151_2541:
	s_cbranch_execnz .LBB151_2544
; %bb.2542:
	s_or_b32 s10, s10, exec_lo
                                        ; implicit-def: $vgpr15_vgpr16
	s_cbranch_execz .LBB151_2478
	s_branch .LBB151_2479
.LBB151_2543:
	s_mov_b32 s3, -1
	s_mov_b32 s0, 0
	s_branch .LBB151_2547
.LBB151_2544:
	s_trap 2
	s_sendmsg_rtn_b32 s0, sendmsg(MSG_RTN_GET_DOORBELL)
	s_mov_b32 ttmp2, m0
	s_waitcnt lgkmcnt(0)
	s_and_b32 s0, s0, 0x3ff
	s_delay_alu instid0(SALU_CYCLE_1) | instskip(NEXT) | instid1(SALU_CYCLE_1)
	s_bitset1_b32 s0, 10
	s_mov_b32 m0, s0
	s_sendmsg sendmsg(MSG_INTERRUPT)
	s_mov_b32 m0, ttmp2
.LBB151_2545:                           ; =>This Inner Loop Header: Depth=1
	s_sethalt 5
	s_branch .LBB151_2545
.LBB151_2546:
	s_mov_b32 s0, -1
.LBB151_2547:
                                        ; implicit-def: $vgpr17
.LBB151_2548:
	s_and_b32 vcc_lo, exec_lo, s3
	s_cbranch_vccz .LBB151_2552
; %bb.2549:
	v_cmp_eq_u16_e32 vcc_lo, 44, v21
	s_cbranch_vccz .LBB151_2551
; %bb.2550:
	global_load_u8 v3, v[19:20], off
	s_mov_b32 s0, 0
	s_mov_b32 s2, -1
	s_waitcnt vmcnt(0)
	v_lshlrev_b32_e32 v10, 23, v3
	v_cmp_ne_u32_e32 vcc_lo, 0, v3
	s_delay_alu instid0(VALU_DEP_2) | instskip(NEXT) | instid1(VALU_DEP_1)
	v_trunc_f32_e32 v10, v10
	v_mul_f32_e64 v17, 0x2f800000, |v10|
	s_delay_alu instid0(VALU_DEP_1) | instskip(NEXT) | instid1(VALU_DEP_1)
	v_floor_f32_e32 v17, v17
	v_fma_f32 v17, 0xcf800000, v17, |v10|
	v_ashrrev_i32_e32 v10, 31, v10
	s_delay_alu instid0(VALU_DEP_2) | instskip(NEXT) | instid1(VALU_DEP_1)
	v_cvt_u32_f32_e32 v17, v17
	v_xor_b32_e32 v17, v17, v10
	s_delay_alu instid0(VALU_DEP_1) | instskip(NEXT) | instid1(VALU_DEP_1)
	v_sub_nc_u32_e32 v10, v17, v10
	v_cndmask_b32_e32 v17, 0, v10, vcc_lo
	s_branch .LBB151_2552
.LBB151_2551:
	s_mov_b32 s0, -1
                                        ; implicit-def: $vgpr17
.LBB151_2552:
	s_mov_b32 s3, 0
.LBB151_2553:
	s_delay_alu instid0(SALU_CYCLE_1)
	s_and_b32 vcc_lo, exec_lo, s3
	s_cbranch_vccz .LBB151_2557
; %bb.2554:
	v_cmp_eq_u16_e32 vcc_lo, 29, v21
	s_cbranch_vccz .LBB151_2556
; %bb.2555:
	global_load_b64 v[17:18], v[19:20], off
	s_mov_b32 s0, 0
	s_mov_b32 s2, -1
	s_branch .LBB151_2557
.LBB151_2556:
	s_mov_b32 s0, -1
                                        ; implicit-def: $vgpr17
.LBB151_2557:
	s_mov_b32 s3, 0
.LBB151_2558:
	s_delay_alu instid0(SALU_CYCLE_1)
	s_and_b32 vcc_lo, exec_lo, s3
	s_cbranch_vccz .LBB151_2574
; %bb.2559:
	v_cmp_gt_i16_e32 vcc_lo, 27, v21
	s_cbranch_vccnz .LBB151_2562
; %bb.2560:
	v_cmp_lt_i16_e32 vcc_lo, 27, v21
	s_cbranch_vccz .LBB151_2563
; %bb.2561:
	global_load_b32 v17, v[19:20], off
	s_mov_b32 s2, 0
	s_branch .LBB151_2564
.LBB151_2562:
	s_mov_b32 s2, -1
                                        ; implicit-def: $vgpr17
	s_branch .LBB151_2567
.LBB151_2563:
	s_mov_b32 s2, -1
                                        ; implicit-def: $vgpr17
.LBB151_2564:
	s_delay_alu instid0(SALU_CYCLE_1)
	s_and_not1_b32 vcc_lo, exec_lo, s2
	s_cbranch_vccnz .LBB151_2566
; %bb.2565:
	global_load_u16 v17, v[19:20], off
.LBB151_2566:
	s_mov_b32 s2, 0
.LBB151_2567:
	s_delay_alu instid0(SALU_CYCLE_1)
	s_and_not1_b32 vcc_lo, exec_lo, s2
	s_cbranch_vccnz .LBB151_2573
; %bb.2568:
	global_load_u8 v3, v[19:20], off
	s_mov_b32 s3, 0
	s_mov_b32 s2, exec_lo
                                        ; implicit-def: $sgpr6
	s_waitcnt vmcnt(0)
	v_cmpx_lt_i16_e32 0x7f, v3
	s_xor_b32 s2, exec_lo, s2
	s_cbranch_execz .LBB151_2585
; %bb.2569:
	v_cmp_ne_u16_e32 vcc_lo, 0x80, v3
	s_mov_b32 s6, 0
	s_and_b32 s3, vcc_lo, exec_lo
	s_or_saveexec_b32 s2, s2
	v_mov_b32_e32 v17, s6
	s_xor_b32 exec_lo, exec_lo, s2
	s_cbranch_execnz .LBB151_2586
.LBB151_2570:
	s_or_b32 exec_lo, exec_lo, s2
	s_and_saveexec_b32 s2, s3
	s_cbranch_execz .LBB151_2572
.LBB151_2571:
	v_and_b32_e32 v10, 0xffff, v3
	s_delay_alu instid0(VALU_DEP_1) | instskip(NEXT) | instid1(VALU_DEP_1)
	v_and_b32_e32 v17, 7, v10
	v_clz_i32_u32_e32 v18, v17
	s_delay_alu instid0(VALU_DEP_1) | instskip(NEXT) | instid1(VALU_DEP_1)
	v_min_u32_e32 v18, 32, v18
	v_subrev_nc_u32_e32 v22, 28, v18
	v_sub_nc_u32_e32 v18, 29, v18
	s_delay_alu instid0(VALU_DEP_2) | instskip(SKIP_1) | instid1(VALU_DEP_2)
	v_lshlrev_b32_e32 v22, v22, v10
	v_bfe_u32 v10, v10, 3, 4
	v_and_b32_e32 v22, 7, v22
	s_delay_alu instid0(VALU_DEP_2) | instskip(SKIP_1) | instid1(VALU_DEP_3)
	v_cmp_eq_u32_e32 vcc_lo, 0, v10
	v_dual_cndmask_b32 v10, v10, v18 :: v_dual_lshlrev_b32 v3, 24, v3
	v_cndmask_b32_e32 v17, v17, v22, vcc_lo
	s_delay_alu instid0(VALU_DEP_2) | instskip(NEXT) | instid1(VALU_DEP_3)
	v_and_b32_e32 v3, 0x80000000, v3
	v_lshl_add_u32 v10, v10, 23, 0x3b800000
	s_delay_alu instid0(VALU_DEP_3) | instskip(NEXT) | instid1(VALU_DEP_1)
	v_lshlrev_b32_e32 v17, 20, v17
	v_or3_b32 v3, v3, v10, v17
	s_delay_alu instid0(VALU_DEP_1) | instskip(NEXT) | instid1(VALU_DEP_1)
	v_trunc_f32_e32 v3, v3
	v_mul_f32_e64 v10, 0x2f800000, |v3|
	s_delay_alu instid0(VALU_DEP_1) | instskip(NEXT) | instid1(VALU_DEP_1)
	v_floor_f32_e32 v10, v10
	v_fma_f32 v10, 0xcf800000, v10, |v3|
	v_ashrrev_i32_e32 v3, 31, v3
	s_delay_alu instid0(VALU_DEP_2) | instskip(NEXT) | instid1(VALU_DEP_1)
	v_cvt_u32_f32_e32 v10, v10
	v_xor_b32_e32 v10, v10, v3
	s_delay_alu instid0(VALU_DEP_1)
	v_sub_nc_u32_e32 v17, v10, v3
.LBB151_2572:
	s_or_b32 exec_lo, exec_lo, s2
.LBB151_2573:
	s_mov_b32 s2, -1
.LBB151_2574:
	s_mov_b32 s3, 0
.LBB151_2575:
	s_delay_alu instid0(SALU_CYCLE_1)
	s_and_b32 vcc_lo, exec_lo, s3
	s_cbranch_vccz .LBB151_2606
; %bb.2576:
	v_cmp_lt_i16_e32 vcc_lo, 22, v21
	s_cbranch_vccz .LBB151_2584
; %bb.2577:
	v_cmp_gt_i16_e32 vcc_lo, 24, v21
	s_cbranch_vccnz .LBB151_2587
; %bb.2578:
	v_cmp_lt_i16_e32 vcc_lo, 24, v21
	s_cbranch_vccz .LBB151_2588
; %bb.2579:
	global_load_u8 v3, v[19:20], off
	s_mov_b32 s2, 0
	s_mov_b32 s1, exec_lo
                                        ; implicit-def: $sgpr3
	s_waitcnt vmcnt(0)
	v_cmpx_lt_i16_e32 0x7f, v3
	s_xor_b32 s1, exec_lo, s1
	s_cbranch_execz .LBB151_2600
; %bb.2580:
	v_cmp_ne_u16_e32 vcc_lo, 0x80, v3
	s_mov_b32 s3, 0
	s_and_b32 s2, vcc_lo, exec_lo
	s_or_saveexec_b32 s1, s1
	v_mov_b32_e32 v17, s3
	s_xor_b32 exec_lo, exec_lo, s1
	s_cbranch_execnz .LBB151_2601
.LBB151_2581:
	s_or_b32 exec_lo, exec_lo, s1
	s_and_saveexec_b32 s1, s2
	s_cbranch_execz .LBB151_2583
.LBB151_2582:
	v_and_b32_e32 v10, 0xffff, v3
	s_delay_alu instid0(VALU_DEP_1) | instskip(NEXT) | instid1(VALU_DEP_1)
	v_and_b32_e32 v17, 3, v10
	v_clz_i32_u32_e32 v18, v17
	s_delay_alu instid0(VALU_DEP_1) | instskip(NEXT) | instid1(VALU_DEP_1)
	v_min_u32_e32 v18, 32, v18
	v_subrev_nc_u32_e32 v22, 29, v18
	v_sub_nc_u32_e32 v18, 30, v18
	s_delay_alu instid0(VALU_DEP_2) | instskip(SKIP_1) | instid1(VALU_DEP_2)
	v_lshlrev_b32_e32 v22, v22, v10
	v_bfe_u32 v10, v10, 2, 5
	v_and_b32_e32 v22, 3, v22
	s_delay_alu instid0(VALU_DEP_2) | instskip(SKIP_1) | instid1(VALU_DEP_3)
	v_cmp_eq_u32_e32 vcc_lo, 0, v10
	v_dual_cndmask_b32 v10, v10, v18 :: v_dual_lshlrev_b32 v3, 24, v3
	v_cndmask_b32_e32 v17, v17, v22, vcc_lo
	s_delay_alu instid0(VALU_DEP_2) | instskip(NEXT) | instid1(VALU_DEP_3)
	v_and_b32_e32 v3, 0x80000000, v3
	v_lshl_add_u32 v10, v10, 23, 0x37800000
	s_delay_alu instid0(VALU_DEP_3) | instskip(NEXT) | instid1(VALU_DEP_1)
	v_lshlrev_b32_e32 v17, 21, v17
	v_or3_b32 v3, v3, v10, v17
	s_delay_alu instid0(VALU_DEP_1) | instskip(NEXT) | instid1(VALU_DEP_1)
	v_trunc_f32_e32 v3, v3
	v_mul_f32_e64 v10, 0x2f800000, |v3|
	s_delay_alu instid0(VALU_DEP_1) | instskip(NEXT) | instid1(VALU_DEP_1)
	v_floor_f32_e32 v10, v10
	v_fma_f32 v10, 0xcf800000, v10, |v3|
	v_ashrrev_i32_e32 v3, 31, v3
	s_delay_alu instid0(VALU_DEP_2) | instskip(NEXT) | instid1(VALU_DEP_1)
	v_cvt_u32_f32_e32 v10, v10
	v_xor_b32_e32 v10, v10, v3
	s_delay_alu instid0(VALU_DEP_1)
	v_sub_nc_u32_e32 v17, v10, v3
.LBB151_2583:
	s_or_b32 exec_lo, exec_lo, s1
	s_mov_b32 s1, 0
	s_branch .LBB151_2589
.LBB151_2584:
	s_mov_b32 s1, -1
                                        ; implicit-def: $vgpr17
	s_branch .LBB151_2595
.LBB151_2585:
	s_or_saveexec_b32 s2, s2
	v_mov_b32_e32 v17, s6
	s_xor_b32 exec_lo, exec_lo, s2
	s_cbranch_execz .LBB151_2570
.LBB151_2586:
	v_cmp_ne_u16_e32 vcc_lo, 0, v3
	v_mov_b32_e32 v17, 0
	s_and_not1_b32 s3, s3, exec_lo
	s_and_b32 s6, vcc_lo, exec_lo
	s_delay_alu instid0(SALU_CYCLE_1)
	s_or_b32 s3, s3, s6
	s_or_b32 exec_lo, exec_lo, s2
	s_and_saveexec_b32 s2, s3
	s_cbranch_execnz .LBB151_2571
	s_branch .LBB151_2572
.LBB151_2587:
	s_mov_b32 s1, -1
                                        ; implicit-def: $vgpr17
	s_branch .LBB151_2592
.LBB151_2588:
	s_mov_b32 s1, -1
                                        ; implicit-def: $vgpr17
.LBB151_2589:
	s_delay_alu instid0(SALU_CYCLE_1)
	s_and_b32 vcc_lo, exec_lo, s1
	s_cbranch_vccz .LBB151_2591
; %bb.2590:
	global_load_u8 v3, v[19:20], off
	s_waitcnt vmcnt(0)
	v_lshlrev_b32_e32 v3, 24, v3
	s_delay_alu instid0(VALU_DEP_1) | instskip(NEXT) | instid1(VALU_DEP_1)
	v_and_b32_e32 v10, 0x7f000000, v3
	v_clz_i32_u32_e32 v17, v10
	v_add_nc_u32_e32 v22, 0x1000000, v10
	v_cmp_ne_u32_e32 vcc_lo, 0, v10
	s_delay_alu instid0(VALU_DEP_3) | instskip(NEXT) | instid1(VALU_DEP_1)
	v_min_u32_e32 v17, 32, v17
	v_sub_nc_u32_e64 v17, v17, 4 clamp
	s_delay_alu instid0(VALU_DEP_1) | instskip(SKIP_1) | instid1(VALU_DEP_2)
	v_lshlrev_b32_e32 v18, v17, v10
	v_lshlrev_b32_e32 v17, 23, v17
	v_lshrrev_b32_e32 v18, 4, v18
	s_delay_alu instid0(VALU_DEP_1) | instskip(SKIP_1) | instid1(VALU_DEP_2)
	v_sub_nc_u32_e32 v17, v18, v17
	v_ashrrev_i32_e32 v18, 8, v22
	v_add_nc_u32_e32 v17, 0x3c000000, v17
	s_delay_alu instid0(VALU_DEP_1) | instskip(NEXT) | instid1(VALU_DEP_1)
	v_and_or_b32 v17, 0x7f800000, v18, v17
	v_cndmask_b32_e32 v10, 0, v17, vcc_lo
	s_delay_alu instid0(VALU_DEP_1) | instskip(NEXT) | instid1(VALU_DEP_1)
	v_and_or_b32 v3, 0x80000000, v3, v10
	v_trunc_f32_e32 v3, v3
	s_delay_alu instid0(VALU_DEP_1) | instskip(NEXT) | instid1(VALU_DEP_1)
	v_mul_f32_e64 v10, 0x2f800000, |v3|
	v_floor_f32_e32 v10, v10
	s_delay_alu instid0(VALU_DEP_1) | instskip(SKIP_1) | instid1(VALU_DEP_2)
	v_fma_f32 v10, 0xcf800000, v10, |v3|
	v_ashrrev_i32_e32 v3, 31, v3
	v_cvt_u32_f32_e32 v10, v10
	s_delay_alu instid0(VALU_DEP_1) | instskip(NEXT) | instid1(VALU_DEP_1)
	v_xor_b32_e32 v10, v10, v3
	v_sub_nc_u32_e32 v17, v10, v3
.LBB151_2591:
	s_mov_b32 s1, 0
.LBB151_2592:
	s_delay_alu instid0(SALU_CYCLE_1)
	s_and_not1_b32 vcc_lo, exec_lo, s1
	s_cbranch_vccnz .LBB151_2594
; %bb.2593:
	global_load_u8 v3, v[19:20], off
	s_waitcnt vmcnt(0)
	v_lshlrev_b32_e32 v10, 25, v3
	v_lshlrev_b16 v3, 8, v3
	s_delay_alu instid0(VALU_DEP_2) | instskip(NEXT) | instid1(VALU_DEP_2)
	v_lshrrev_b32_e32 v17, 4, v10
	v_and_or_b32 v18, 0x7f00, v3, 0.5
	v_bfe_i32 v3, v3, 0, 16
	s_delay_alu instid0(VALU_DEP_3) | instskip(NEXT) | instid1(VALU_DEP_1)
	v_or_b32_e32 v17, 0x70000000, v17
	v_dual_add_f32 v18, -0.5, v18 :: v_dual_mul_f32 v17, 0x7800000, v17
	v_cmp_gt_u32_e32 vcc_lo, 0x8000000, v10
	s_delay_alu instid0(VALU_DEP_2) | instskip(NEXT) | instid1(VALU_DEP_1)
	v_cndmask_b32_e32 v10, v17, v18, vcc_lo
	v_and_or_b32 v3, 0x80000000, v3, v10
	s_delay_alu instid0(VALU_DEP_1) | instskip(NEXT) | instid1(VALU_DEP_1)
	v_trunc_f32_e32 v3, v3
	v_mul_f32_e64 v10, 0x2f800000, |v3|
	s_delay_alu instid0(VALU_DEP_1) | instskip(NEXT) | instid1(VALU_DEP_1)
	v_floor_f32_e32 v10, v10
	v_fma_f32 v10, 0xcf800000, v10, |v3|
	v_ashrrev_i32_e32 v3, 31, v3
	s_delay_alu instid0(VALU_DEP_2) | instskip(NEXT) | instid1(VALU_DEP_1)
	v_cvt_u32_f32_e32 v10, v10
	v_xor_b32_e32 v10, v10, v3
	s_delay_alu instid0(VALU_DEP_1)
	v_sub_nc_u32_e32 v17, v10, v3
.LBB151_2594:
	s_mov_b32 s1, 0
	s_mov_b32 s2, -1
.LBB151_2595:
	s_and_not1_b32 vcc_lo, exec_lo, s1
	s_mov_b32 s1, 0
	s_cbranch_vccnz .LBB151_2606
; %bb.2596:
	v_cmp_lt_i16_e32 vcc_lo, 14, v21
	s_cbranch_vccz .LBB151_2599
; %bb.2597:
	v_cmp_eq_u16_e32 vcc_lo, 15, v21
	s_cbranch_vccz .LBB151_2602
; %bb.2598:
	global_load_u16 v3, v[19:20], off
	s_mov_b32 s0, 0
	s_mov_b32 s2, -1
	s_waitcnt vmcnt(0)
	v_lshlrev_b32_e32 v3, 16, v3
	s_delay_alu instid0(VALU_DEP_1) | instskip(NEXT) | instid1(VALU_DEP_1)
	v_trunc_f32_e32 v3, v3
	v_mul_f32_e64 v10, 0x2f800000, |v3|
	s_delay_alu instid0(VALU_DEP_1) | instskip(NEXT) | instid1(VALU_DEP_1)
	v_floor_f32_e32 v10, v10
	v_fma_f32 v10, 0xcf800000, v10, |v3|
	v_ashrrev_i32_e32 v3, 31, v3
	s_delay_alu instid0(VALU_DEP_2) | instskip(NEXT) | instid1(VALU_DEP_1)
	v_cvt_u32_f32_e32 v10, v10
	v_xor_b32_e32 v10, v10, v3
	s_delay_alu instid0(VALU_DEP_1)
	v_sub_nc_u32_e32 v17, v10, v3
	s_branch .LBB151_2604
.LBB151_2599:
	s_mov_b32 s1, -1
	s_branch .LBB151_2603
.LBB151_2600:
	s_or_saveexec_b32 s1, s1
	v_mov_b32_e32 v17, s3
	s_xor_b32 exec_lo, exec_lo, s1
	s_cbranch_execz .LBB151_2581
.LBB151_2601:
	v_cmp_ne_u16_e32 vcc_lo, 0, v3
	v_mov_b32_e32 v17, 0
	s_and_not1_b32 s2, s2, exec_lo
	s_and_b32 s3, vcc_lo, exec_lo
	s_delay_alu instid0(SALU_CYCLE_1)
	s_or_b32 s2, s2, s3
	s_or_b32 exec_lo, exec_lo, s1
	s_and_saveexec_b32 s1, s2
	s_cbranch_execnz .LBB151_2582
	s_branch .LBB151_2583
.LBB151_2602:
	s_mov_b32 s0, -1
.LBB151_2603:
                                        ; implicit-def: $vgpr17
.LBB151_2604:
	s_and_b32 vcc_lo, exec_lo, s1
	s_mov_b32 s1, 0
	s_cbranch_vccz .LBB151_2606
; %bb.2605:
	v_cmp_ne_u16_e64 s0, 11, v21
	s_mov_b32 s1, -1
                                        ; implicit-def: $vgpr17
.LBB151_2606:
	s_delay_alu instid0(VALU_DEP_1)
	s_and_b32 vcc_lo, exec_lo, s0
	s_cbranch_vccnz .LBB151_2669
; %bb.2607:
	s_and_not1_b32 vcc_lo, exec_lo, s1
	s_cbranch_vccnz .LBB151_2609
.LBB151_2608:
	global_load_u8 v3, v[19:20], off
	s_mov_b32 s2, -1
	s_waitcnt vmcnt(0)
	v_cmp_ne_u16_e32 vcc_lo, 0, v3
	v_cndmask_b32_e64 v17, 0, 1, vcc_lo
.LBB151_2609:
	s_mov_b32 s0, 0
.LBB151_2610:
	s_delay_alu instid0(SALU_CYCLE_1)
	s_and_b32 vcc_lo, exec_lo, s0
	s_cbranch_vccz .LBB151_2659
; %bb.2611:
	v_cmp_gt_i16_e32 vcc_lo, 5, v21
	s_cbranch_vccnz .LBB151_2616
; %bb.2612:
	v_cmp_gt_i16_e32 vcc_lo, 8, v21
	s_cbranch_vccnz .LBB151_2617
	;; [unrolled: 3-line block ×3, first 2 shown]
; %bb.2614:
	v_cmp_lt_i16_e32 vcc_lo, 9, v21
	s_cbranch_vccz .LBB151_2619
; %bb.2615:
	global_load_b64 v[17:18], v[19:20], off
	s_mov_b32 s0, 0
	s_waitcnt vmcnt(0)
	v_trunc_f64_e32 v[17:18], v[17:18]
	s_delay_alu instid0(VALU_DEP_1) | instskip(NEXT) | instid1(VALU_DEP_1)
	v_ldexp_f64 v[22:23], v[17:18], 0xffffffe0
	v_floor_f64_e32 v[22:23], v[22:23]
	s_delay_alu instid0(VALU_DEP_1) | instskip(NEXT) | instid1(VALU_DEP_1)
	v_fma_f64 v[17:18], 0xc1f00000, v[22:23], v[17:18]
	v_cvt_u32_f64_e32 v17, v[17:18]
	s_branch .LBB151_2620
.LBB151_2616:
	s_mov_b32 s0, -1
                                        ; implicit-def: $vgpr17
	s_branch .LBB151_2638
.LBB151_2617:
	s_mov_b32 s0, -1
                                        ; implicit-def: $vgpr17
	s_branch .LBB151_2626
.LBB151_2618:
	s_mov_b32 s0, -1
                                        ; implicit-def: $vgpr17
	s_branch .LBB151_2623
.LBB151_2619:
	s_mov_b32 s0, -1
                                        ; implicit-def: $vgpr17
.LBB151_2620:
	s_delay_alu instid0(SALU_CYCLE_1)
	s_and_not1_b32 vcc_lo, exec_lo, s0
	s_cbranch_vccnz .LBB151_2622
; %bb.2621:
	global_load_b32 v3, v[19:20], off
	s_waitcnt vmcnt(0)
	v_trunc_f32_e32 v3, v3
	s_delay_alu instid0(VALU_DEP_1) | instskip(NEXT) | instid1(VALU_DEP_1)
	v_mul_f32_e64 v10, 0x2f800000, |v3|
	v_floor_f32_e32 v10, v10
	s_delay_alu instid0(VALU_DEP_1) | instskip(SKIP_1) | instid1(VALU_DEP_2)
	v_fma_f32 v10, 0xcf800000, v10, |v3|
	v_ashrrev_i32_e32 v3, 31, v3
	v_cvt_u32_f32_e32 v10, v10
	s_delay_alu instid0(VALU_DEP_1) | instskip(NEXT) | instid1(VALU_DEP_1)
	v_xor_b32_e32 v10, v10, v3
	v_sub_nc_u32_e32 v17, v10, v3
.LBB151_2622:
	s_mov_b32 s0, 0
.LBB151_2623:
	s_delay_alu instid0(SALU_CYCLE_1)
	s_and_not1_b32 vcc_lo, exec_lo, s0
	s_cbranch_vccnz .LBB151_2625
; %bb.2624:
	global_load_b32 v3, v[19:20], off
	s_waitcnt vmcnt(0)
	v_cvt_f32_f16_e32 v3, v3
	s_delay_alu instid0(VALU_DEP_1)
	v_cvt_i32_f32_e32 v17, v3
.LBB151_2625:
	s_mov_b32 s0, 0
.LBB151_2626:
	s_delay_alu instid0(SALU_CYCLE_1)
	s_and_not1_b32 vcc_lo, exec_lo, s0
	s_cbranch_vccnz .LBB151_2637
; %bb.2627:
	v_cmp_gt_i16_e32 vcc_lo, 6, v21
	s_cbranch_vccnz .LBB151_2630
; %bb.2628:
	v_cmp_lt_i16_e32 vcc_lo, 6, v21
	s_cbranch_vccz .LBB151_2631
; %bb.2629:
	global_load_b64 v[17:18], v[19:20], off
	s_mov_b32 s0, 0
	s_waitcnt vmcnt(0)
	v_trunc_f64_e32 v[17:18], v[17:18]
	s_delay_alu instid0(VALU_DEP_1) | instskip(NEXT) | instid1(VALU_DEP_1)
	v_ldexp_f64 v[22:23], v[17:18], 0xffffffe0
	v_floor_f64_e32 v[22:23], v[22:23]
	s_delay_alu instid0(VALU_DEP_1) | instskip(NEXT) | instid1(VALU_DEP_1)
	v_fma_f64 v[17:18], 0xc1f00000, v[22:23], v[17:18]
	v_cvt_u32_f64_e32 v17, v[17:18]
	s_branch .LBB151_2632
.LBB151_2630:
	s_mov_b32 s0, -1
                                        ; implicit-def: $vgpr17
	s_branch .LBB151_2635
.LBB151_2631:
	s_mov_b32 s0, -1
                                        ; implicit-def: $vgpr17
.LBB151_2632:
	s_delay_alu instid0(SALU_CYCLE_1)
	s_and_not1_b32 vcc_lo, exec_lo, s0
	s_cbranch_vccnz .LBB151_2634
; %bb.2633:
	global_load_b32 v3, v[19:20], off
	s_waitcnt vmcnt(0)
	v_trunc_f32_e32 v3, v3
	s_delay_alu instid0(VALU_DEP_1) | instskip(NEXT) | instid1(VALU_DEP_1)
	v_mul_f32_e64 v10, 0x2f800000, |v3|
	v_floor_f32_e32 v10, v10
	s_delay_alu instid0(VALU_DEP_1) | instskip(SKIP_1) | instid1(VALU_DEP_2)
	v_fma_f32 v10, 0xcf800000, v10, |v3|
	v_ashrrev_i32_e32 v3, 31, v3
	v_cvt_u32_f32_e32 v10, v10
	s_delay_alu instid0(VALU_DEP_1) | instskip(NEXT) | instid1(VALU_DEP_1)
	v_xor_b32_e32 v10, v10, v3
	v_sub_nc_u32_e32 v17, v10, v3
.LBB151_2634:
	s_mov_b32 s0, 0
.LBB151_2635:
	s_delay_alu instid0(SALU_CYCLE_1)
	s_and_not1_b32 vcc_lo, exec_lo, s0
	s_cbranch_vccnz .LBB151_2637
; %bb.2636:
	global_load_u16 v3, v[19:20], off
	s_waitcnt vmcnt(0)
	v_cvt_f32_f16_e32 v3, v3
	s_delay_alu instid0(VALU_DEP_1)
	v_cvt_i32_f32_e32 v17, v3
.LBB151_2637:
	s_mov_b32 s0, 0
.LBB151_2638:
	s_delay_alu instid0(SALU_CYCLE_1)
	s_and_not1_b32 vcc_lo, exec_lo, s0
	s_cbranch_vccnz .LBB151_2658
; %bb.2639:
	v_cmp_gt_i16_e32 vcc_lo, 2, v21
	s_cbranch_vccnz .LBB151_2643
; %bb.2640:
	v_cmp_gt_i16_e32 vcc_lo, 3, v21
	s_cbranch_vccnz .LBB151_2644
; %bb.2641:
	v_cmp_lt_i16_e32 vcc_lo, 3, v21
	s_cbranch_vccz .LBB151_2645
; %bb.2642:
	global_load_b64 v[17:18], v[19:20], off
	s_mov_b32 s0, 0
	s_branch .LBB151_2646
.LBB151_2643:
	s_mov_b32 s0, -1
                                        ; implicit-def: $vgpr17
	s_branch .LBB151_2652
.LBB151_2644:
	s_mov_b32 s0, -1
                                        ; implicit-def: $vgpr17
	s_branch .LBB151_2649
.LBB151_2645:
	s_mov_b32 s0, -1
                                        ; implicit-def: $vgpr17
.LBB151_2646:
	s_delay_alu instid0(SALU_CYCLE_1)
	s_and_not1_b32 vcc_lo, exec_lo, s0
	s_cbranch_vccnz .LBB151_2648
; %bb.2647:
	global_load_b32 v17, v[19:20], off
.LBB151_2648:
	s_mov_b32 s0, 0
.LBB151_2649:
	s_delay_alu instid0(SALU_CYCLE_1)
	s_and_not1_b32 vcc_lo, exec_lo, s0
	s_cbranch_vccnz .LBB151_2651
; %bb.2650:
	global_load_u16 v17, v[19:20], off
.LBB151_2651:
	s_mov_b32 s0, 0
.LBB151_2652:
	s_delay_alu instid0(SALU_CYCLE_1)
	s_and_not1_b32 vcc_lo, exec_lo, s0
	s_cbranch_vccnz .LBB151_2658
; %bb.2653:
	v_cmp_lt_i16_e32 vcc_lo, 0, v21
	s_mov_b32 s0, 0
	s_cbranch_vccz .LBB151_2655
; %bb.2654:
	global_load_u8 v17, v[19:20], off
	s_branch .LBB151_2656
.LBB151_2655:
	s_mov_b32 s0, -1
                                        ; implicit-def: $vgpr17
.LBB151_2656:
	s_delay_alu instid0(SALU_CYCLE_1)
	s_and_not1_b32 vcc_lo, exec_lo, s0
	s_cbranch_vccnz .LBB151_2658
; %bb.2657:
	global_load_u8 v17, v[19:20], off
.LBB151_2658:
	s_mov_b32 s2, -1
.LBB151_2659:
	s_delay_alu instid0(SALU_CYCLE_1)
	s_and_not1_b32 vcc_lo, exec_lo, s2
	s_cbranch_vccnz .LBB151_3049
; %bb.2660:
	s_waitcnt vmcnt(0)
	v_and_b32_e32 v3, 0xff, v7
	s_clause 0x1
	s_load_b64 s[2:3], s[20:21], 0x1a0
	s_load_b32 s0, s[20:21], 0x1a8
	s_mov_b32 s7, 0
	v_and_b32_e32 v3, 0xffff, v3
	s_delay_alu instid0(VALU_DEP_1) | instskip(SKIP_2) | instid1(SALU_CYCLE_1)
	v_cvt_f64_u32_e32 v[18:19], v3
	s_waitcnt lgkmcnt(0)
	s_and_b32 s6, s0, 0xff
	v_cmp_lt_i16_e64 s0, s6, 11
	s_delay_alu instid0(VALU_DEP_1) | instskip(SKIP_1) | instid1(VALU_DEP_2)
	s_and_b32 vcc_lo, exec_lo, s0
	s_mov_b32 s0, -1
	v_mul_f64 v[0:1], v[0:1], v[18:19]
	v_add_co_u32 v18, s1, s4, v2
	s_delay_alu instid0(VALU_DEP_1) | instskip(NEXT) | instid1(VALU_DEP_3)
	v_add_co_ci_u32_e64 v19, null, s5, 0, s1
	v_mul_f64 v[0:1], s[2:3], v[0:1]
	s_cbranch_vccnz .LBB151_2743
; %bb.2661:
	v_cmp_gt_i16_e64 s0, s6, 25
	s_mov_b32 s11, -1
	s_mov_b32 s1, 0
	s_delay_alu instid0(VALU_DEP_1)
	s_and_b32 vcc_lo, exec_lo, s0
	s_mov_b32 s0, 0
	s_cbranch_vccz .LBB151_2699
; %bb.2662:
	v_cmp_gt_i16_e64 s0, s6, 28
	s_delay_alu instid0(VALU_DEP_1)
	s_and_b32 vcc_lo, exec_lo, s0
	s_cbranch_vccz .LBB151_2667
; %bb.2663:
	v_cmp_gt_i16_e64 s0, s6, 43
	s_delay_alu instid0(VALU_DEP_1)
	s_and_b32 vcc_lo, exec_lo, s0
	;; [unrolled: 5-line block ×3, first 2 shown]
	s_cbranch_vccz .LBB151_2671
; %bb.2665:
	v_cmp_eq_u16_e64 s7, s6, 46
	s_mov_b32 s0, -1
	s_mov_b32 s11, 0
	s_delay_alu instid0(VALU_DEP_1)
	s_and_b32 vcc_lo, exec_lo, s7
	s_mov_b32 s7, 0
	s_cbranch_vccz .LBB151_2672
; %bb.2666:
	v_cvt_f32_f64_e32 v2, v[0:1]
	s_mov_b32 s0, 0
	s_mov_b32 s7, -1
	s_delay_alu instid0(VALU_DEP_1) | instskip(SKIP_1) | instid1(VALU_DEP_2)
	v_bfe_u32 v3, v2, 16, 1
	v_cmp_o_f32_e32 vcc_lo, v2, v2
	v_add3_u32 v3, v2, v3, 0x7fff
	s_delay_alu instid0(VALU_DEP_1) | instskip(NEXT) | instid1(VALU_DEP_1)
	v_lshrrev_b32_e32 v3, 16, v3
	v_cndmask_b32_e32 v2, 0x7fc0, v3, vcc_lo
	global_store_b32 v[18:19], v2, off
	s_branch .LBB151_2672
.LBB151_2667:
	s_mov_b32 s0, 0
	s_branch .LBB151_2682
.LBB151_2668:
	s_mov_b32 s0, 0
	s_branch .LBB151_2678
.LBB151_2669:
	s_cbranch_execnz .LBB151_2794
; %bb.2670:
	s_or_b32 s10, s10, exec_lo
                                        ; implicit-def: $vgpr17
	s_cbranch_execz .LBB151_2608
	s_branch .LBB151_2609
.LBB151_2671:
	s_mov_b32 s0, 0
.LBB151_2672:
	s_and_b32 vcc_lo, exec_lo, s11
	s_cbranch_vccz .LBB151_2677
; %bb.2673:
	v_cmp_eq_u16_e64 s0, s6, 44
	s_delay_alu instid0(VALU_DEP_1)
	s_and_b32 vcc_lo, exec_lo, s0
	s_mov_b32 s0, -1
	s_cbranch_vccz .LBB151_2677
; %bb.2674:
	v_cvt_f32_f64_e32 v2, v[0:1]
	v_mov_b32_e32 v3, 0xff
	s_mov_b32 s7, exec_lo
	s_delay_alu instid0(VALU_DEP_2) | instskip(NEXT) | instid1(VALU_DEP_1)
	v_bfe_u32 v7, v2, 23, 8
	v_cmpx_ne_u32_e32 0xff, v7
; %bb.2675:
	v_and_b32_e32 v3, 0x400000, v2
	v_and_or_b32 v7, 0x3fffff, v2, v7
	v_lshrrev_b32_e32 v2, 23, v2
	s_delay_alu instid0(VALU_DEP_3) | instskip(NEXT) | instid1(VALU_DEP_3)
	v_cmp_ne_u32_e32 vcc_lo, 0, v3
	v_cmp_ne_u32_e64 s0, 0, v7
	s_delay_alu instid0(VALU_DEP_1) | instskip(NEXT) | instid1(SALU_CYCLE_1)
	s_and_b32 s0, vcc_lo, s0
	v_cndmask_b32_e64 v3, 0, 1, s0
	s_delay_alu instid0(VALU_DEP_1)
	v_add_nc_u32_e32 v3, v2, v3
; %bb.2676:
	s_or_b32 exec_lo, exec_lo, s7
	s_mov_b32 s0, 0
	s_mov_b32 s7, -1
	global_store_b8 v[18:19], v3, off
.LBB151_2677:
	s_mov_b32 s11, 0
.LBB151_2678:
	s_delay_alu instid0(SALU_CYCLE_1)
	s_and_b32 vcc_lo, exec_lo, s11
	s_cbranch_vccz .LBB151_2681
; %bb.2679:
	v_cmp_eq_u16_e64 s0, s6, 29
	s_delay_alu instid0(VALU_DEP_1)
	s_and_b32 vcc_lo, exec_lo, s0
	s_mov_b32 s0, -1
	s_cbranch_vccz .LBB151_2681
; %bb.2680:
	v_trunc_f64_e32 v[2:3], v[0:1]
	s_mov_b32 s0, 0
	s_mov_b32 s7, -1
	s_mov_b32 s11, 0
	s_delay_alu instid0(VALU_DEP_1) | instskip(NEXT) | instid1(VALU_DEP_1)
	v_ldexp_f64 v[20:21], v[2:3], 0xffffffe0
	v_floor_f64_e32 v[20:21], v[20:21]
	s_delay_alu instid0(VALU_DEP_1) | instskip(SKIP_1) | instid1(VALU_DEP_2)
	v_fma_f64 v[2:3], 0xc1f00000, v[20:21], v[2:3]
	v_cvt_u32_f64_e32 v21, v[20:21]
	v_cvt_u32_f64_e32 v20, v[2:3]
	global_store_b64 v[18:19], v[20:21], off
	s_branch .LBB151_2682
.LBB151_2681:
	s_mov_b32 s11, 0
.LBB151_2682:
	s_delay_alu instid0(SALU_CYCLE_1)
	s_and_b32 vcc_lo, exec_lo, s11
	s_cbranch_vccz .LBB151_2698
; %bb.2683:
	v_cmp_lt_i16_e64 s7, s6, 27
	s_delay_alu instid0(VALU_DEP_1)
	s_and_b32 vcc_lo, exec_lo, s7
	s_mov_b32 s7, -1
	s_cbranch_vccnz .LBB151_2689
; %bb.2684:
	s_delay_alu instid0(VALU_DEP_4) | instskip(SKIP_1) | instid1(VALU_DEP_1)
	v_cvt_u32_f64_e32 v2, v[0:1]
	v_cmp_gt_i16_e64 s7, s6, 27
	s_and_b32 vcc_lo, exec_lo, s7
	s_mov_b32 s7, -1
	s_cbranch_vccz .LBB151_2686
; %bb.2685:
	s_mov_b32 s7, 0
	global_store_b32 v[18:19], v2, off
.LBB151_2686:
	s_and_not1_b32 vcc_lo, exec_lo, s7
	s_cbranch_vccnz .LBB151_2688
; %bb.2687:
	global_store_b16 v[18:19], v2, off
.LBB151_2688:
	s_mov_b32 s7, 0
.LBB151_2689:
	s_delay_alu instid0(SALU_CYCLE_1)
	s_and_not1_b32 vcc_lo, exec_lo, s7
	s_cbranch_vccnz .LBB151_2697
; %bb.2690:
	s_delay_alu instid0(VALU_DEP_4) | instskip(SKIP_2) | instid1(VALU_DEP_2)
	v_cvt_f32_f64_e32 v2, v[0:1]
	v_mov_b32_e32 v7, 0x80
	s_mov_b32 s7, exec_lo
	v_and_b32_e32 v3, 0x7fffffff, v2
	s_delay_alu instid0(VALU_DEP_1)
	v_cmpx_gt_u32_e32 0x43800000, v3
	s_cbranch_execz .LBB151_2696
; %bb.2691:
	v_cmp_lt_u32_e32 vcc_lo, 0x3bffffff, v3
	s_mov_b32 s11, 0
                                        ; implicit-def: $vgpr3
	s_and_saveexec_b32 s12, vcc_lo
	s_delay_alu instid0(SALU_CYCLE_1)
	s_xor_b32 s12, exec_lo, s12
	s_cbranch_execz .LBB151_2791
; %bb.2692:
	v_bfe_u32 v3, v2, 20, 1
	s_mov_b32 s11, exec_lo
	s_delay_alu instid0(VALU_DEP_1) | instskip(NEXT) | instid1(VALU_DEP_1)
	v_add3_u32 v3, v2, v3, 0x487ffff
	v_lshrrev_b32_e32 v3, 20, v3
	s_or_saveexec_b32 s12, s12
                                        ; implicit-def: $sgpr13
	s_delay_alu instid0(SALU_CYCLE_1)
	s_xor_b32 exec_lo, exec_lo, s12
	s_cbranch_execnz .LBB151_2792
.LBB151_2693:
	s_or_b32 exec_lo, exec_lo, s12
	v_mov_b32_e32 v7, s13
	s_and_saveexec_b32 s12, s11
.LBB151_2694:
	v_lshrrev_b32_e32 v2, 24, v2
	s_delay_alu instid0(VALU_DEP_1)
	v_and_or_b32 v7, 0x80, v2, v3
.LBB151_2695:
	s_or_b32 exec_lo, exec_lo, s12
.LBB151_2696:
	s_delay_alu instid0(SALU_CYCLE_1)
	s_or_b32 exec_lo, exec_lo, s7
	global_store_b8 v[18:19], v7, off
.LBB151_2697:
	s_mov_b32 s7, -1
.LBB151_2698:
	s_mov_b32 s11, 0
.LBB151_2699:
	s_delay_alu instid0(SALU_CYCLE_1)
	s_and_b32 vcc_lo, exec_lo, s11
	s_cbranch_vccz .LBB151_2739
; %bb.2700:
	v_cmp_gt_i16_e64 s1, s6, 22
	s_delay_alu instid0(VALU_DEP_1)
	s_and_b32 vcc_lo, exec_lo, s1
	s_mov_b32 s1, -1
	s_cbranch_vccz .LBB151_2732
; %bb.2701:
	v_cmp_lt_i16_e64 s1, s6, 24
	s_delay_alu instid0(VALU_DEP_1)
	s_and_b32 vcc_lo, exec_lo, s1
	s_mov_b32 s1, -1
	s_cbranch_vccnz .LBB151_2721
; %bb.2702:
	v_cmp_gt_i16_e64 s1, s6, 24
	s_delay_alu instid0(VALU_DEP_1)
	s_and_b32 vcc_lo, exec_lo, s1
	s_mov_b32 s1, -1
	s_cbranch_vccz .LBB151_2710
; %bb.2703:
	v_cvt_f32_f64_e32 v2, v[0:1]
	v_mov_b32_e32 v7, 0x80
	s_mov_b32 s1, exec_lo
	s_delay_alu instid0(VALU_DEP_2) | instskip(NEXT) | instid1(VALU_DEP_1)
	v_and_b32_e32 v3, 0x7fffffff, v2
	v_cmpx_gt_u32_e32 0x47800000, v3
	s_cbranch_execz .LBB151_2709
; %bb.2704:
	v_cmp_lt_u32_e32 vcc_lo, 0x37ffffff, v3
	s_mov_b32 s7, 0
                                        ; implicit-def: $vgpr3
	s_and_saveexec_b32 s11, vcc_lo
	s_delay_alu instid0(SALU_CYCLE_1)
	s_xor_b32 s11, exec_lo, s11
	s_cbranch_execz .LBB151_2798
; %bb.2705:
	v_bfe_u32 v3, v2, 21, 1
	s_mov_b32 s7, exec_lo
	s_delay_alu instid0(VALU_DEP_1) | instskip(NEXT) | instid1(VALU_DEP_1)
	v_add3_u32 v3, v2, v3, 0x88fffff
	v_lshrrev_b32_e32 v3, 21, v3
	s_or_saveexec_b32 s11, s11
                                        ; implicit-def: $sgpr12
	s_delay_alu instid0(SALU_CYCLE_1)
	s_xor_b32 exec_lo, exec_lo, s11
	s_cbranch_execnz .LBB151_2799
.LBB151_2706:
	s_or_b32 exec_lo, exec_lo, s11
	v_mov_b32_e32 v7, s12
	s_and_saveexec_b32 s11, s7
.LBB151_2707:
	v_lshrrev_b32_e32 v2, 24, v2
	s_delay_alu instid0(VALU_DEP_1)
	v_and_or_b32 v7, 0x80, v2, v3
.LBB151_2708:
	s_or_b32 exec_lo, exec_lo, s11
.LBB151_2709:
	s_delay_alu instid0(SALU_CYCLE_1)
	s_or_b32 exec_lo, exec_lo, s1
	s_mov_b32 s1, 0
	global_store_b8 v[18:19], v7, off
.LBB151_2710:
	s_and_b32 vcc_lo, exec_lo, s1
	s_cbranch_vccz .LBB151_2720
; %bb.2711:
	v_cvt_f32_f64_e32 v2, v[0:1]
	s_mov_b32 s1, exec_lo
                                        ; implicit-def: $vgpr3
	s_delay_alu instid0(VALU_DEP_1) | instskip(NEXT) | instid1(VALU_DEP_1)
	v_and_b32_e32 v7, 0x7fffffff, v2
	v_cmpx_gt_u32_e32 0x43f00000, v7
	s_xor_b32 s1, exec_lo, s1
	s_cbranch_execz .LBB151_2717
; %bb.2712:
	s_mov_b32 s7, exec_lo
                                        ; implicit-def: $vgpr3
	v_cmpx_lt_u32_e32 0x3c7fffff, v7
	s_xor_b32 s7, exec_lo, s7
; %bb.2713:
	v_bfe_u32 v3, v2, 20, 1
	s_delay_alu instid0(VALU_DEP_1) | instskip(NEXT) | instid1(VALU_DEP_1)
	v_add3_u32 v3, v2, v3, 0x407ffff
	v_and_b32_e32 v7, 0xff00000, v3
	v_lshrrev_b32_e32 v3, 20, v3
	s_delay_alu instid0(VALU_DEP_2) | instskip(NEXT) | instid1(VALU_DEP_2)
	v_cmp_ne_u32_e32 vcc_lo, 0x7f00000, v7
	v_cndmask_b32_e32 v3, 0x7e, v3, vcc_lo
; %bb.2714:
	s_and_not1_saveexec_b32 s7, s7
; %bb.2715:
	v_add_f32_e64 v3, 0x46800000, |v2|
; %bb.2716:
	s_or_b32 exec_lo, exec_lo, s7
                                        ; implicit-def: $vgpr7
.LBB151_2717:
	s_and_not1_saveexec_b32 s1, s1
; %bb.2718:
	v_mov_b32_e32 v3, 0x7f
	v_cmp_lt_u32_e32 vcc_lo, 0x7f800000, v7
	s_delay_alu instid0(VALU_DEP_2)
	v_cndmask_b32_e32 v3, 0x7e, v3, vcc_lo
; %bb.2719:
	s_or_b32 exec_lo, exec_lo, s1
	v_lshrrev_b32_e32 v2, 24, v2
	s_delay_alu instid0(VALU_DEP_1)
	v_and_or_b32 v2, 0x80, v2, v3
	global_store_b8 v[18:19], v2, off
.LBB151_2720:
	s_mov_b32 s1, 0
.LBB151_2721:
	s_delay_alu instid0(SALU_CYCLE_1)
	s_and_not1_b32 vcc_lo, exec_lo, s1
	s_cbranch_vccnz .LBB151_2731
; %bb.2722:
	s_delay_alu instid0(VALU_DEP_4) | instskip(SKIP_1) | instid1(VALU_DEP_1)
	v_cvt_f32_f64_e32 v2, v[0:1]
	s_mov_b32 s1, exec_lo
                                        ; implicit-def: $vgpr3
	v_and_b32_e32 v7, 0x7fffffff, v2
	s_delay_alu instid0(VALU_DEP_1)
	v_cmpx_gt_u32_e32 0x47800000, v7
	s_xor_b32 s1, exec_lo, s1
	s_cbranch_execz .LBB151_2728
; %bb.2723:
	s_mov_b32 s7, exec_lo
                                        ; implicit-def: $vgpr3
	v_cmpx_lt_u32_e32 0x387fffff, v7
	s_xor_b32 s7, exec_lo, s7
; %bb.2724:
	v_bfe_u32 v3, v2, 21, 1
	s_delay_alu instid0(VALU_DEP_1) | instskip(NEXT) | instid1(VALU_DEP_1)
	v_add3_u32 v3, v2, v3, 0x80fffff
	v_lshrrev_b32_e32 v3, 21, v3
; %bb.2725:
	s_and_not1_saveexec_b32 s7, s7
; %bb.2726:
	v_add_f32_e64 v3, 0x43000000, |v2|
; %bb.2727:
	s_or_b32 exec_lo, exec_lo, s7
                                        ; implicit-def: $vgpr7
.LBB151_2728:
	s_and_not1_saveexec_b32 s1, s1
; %bb.2729:
	v_mov_b32_e32 v3, 0x7f
	v_cmp_lt_u32_e32 vcc_lo, 0x7f800000, v7
	s_delay_alu instid0(VALU_DEP_2)
	v_cndmask_b32_e32 v3, 0x7c, v3, vcc_lo
; %bb.2730:
	s_or_b32 exec_lo, exec_lo, s1
	v_lshrrev_b32_e32 v2, 24, v2
	s_delay_alu instid0(VALU_DEP_1)
	v_and_or_b32 v2, 0x80, v2, v3
	global_store_b8 v[18:19], v2, off
.LBB151_2731:
	s_mov_b32 s1, 0
	s_mov_b32 s7, -1
.LBB151_2732:
	s_and_not1_b32 vcc_lo, exec_lo, s1
	s_mov_b32 s1, 0
	s_cbranch_vccnz .LBB151_2739
; %bb.2733:
	v_cmp_gt_i16_e64 s1, s6, 14
	s_delay_alu instid0(VALU_DEP_1)
	s_and_b32 vcc_lo, exec_lo, s1
	s_mov_b32 s1, -1
	s_cbranch_vccz .LBB151_2737
; %bb.2734:
	v_cmp_eq_u16_e64 s0, s6, 15
	s_delay_alu instid0(VALU_DEP_1)
	s_and_b32 vcc_lo, exec_lo, s0
	s_mov_b32 s0, -1
	s_cbranch_vccz .LBB151_2736
; %bb.2735:
	v_cvt_f32_f64_e32 v2, v[0:1]
	s_mov_b32 s0, 0
	s_mov_b32 s7, -1
	s_delay_alu instid0(VALU_DEP_1) | instskip(SKIP_1) | instid1(VALU_DEP_2)
	v_bfe_u32 v3, v2, 16, 1
	v_cmp_o_f32_e32 vcc_lo, v2, v2
	v_add3_u32 v3, v2, v3, 0x7fff
	s_delay_alu instid0(VALU_DEP_1) | instskip(NEXT) | instid1(VALU_DEP_1)
	v_lshrrev_b32_e32 v3, 16, v3
	v_cndmask_b32_e32 v2, 0x7fc0, v3, vcc_lo
	global_store_b16 v[18:19], v2, off
.LBB151_2736:
	s_mov_b32 s1, 0
.LBB151_2737:
	s_delay_alu instid0(SALU_CYCLE_1)
	s_and_b32 vcc_lo, exec_lo, s1
	s_mov_b32 s1, 0
	s_cbranch_vccz .LBB151_2739
; %bb.2738:
	v_cmp_ne_u16_e64 s0, s6, 11
	s_mov_b32 s1, -1
.LBB151_2739:
	s_delay_alu instid0(VALU_DEP_1)
	s_and_b32 vcc_lo, exec_lo, s0
	s_cbranch_vccnz .LBB151_2796
; %bb.2740:
	s_and_not1_b32 vcc_lo, exec_lo, s1
	s_cbranch_vccnz .LBB151_2742
.LBB151_2741:
	s_delay_alu instid0(VALU_DEP_2)
	v_cmp_neq_f64_e32 vcc_lo, 0, v[0:1]
	s_mov_b32 s7, -1
	v_cndmask_b32_e64 v2, 0, 1, vcc_lo
	global_store_b8 v[18:19], v2, off
.LBB151_2742:
	s_mov_b32 s0, 0
.LBB151_2743:
	s_delay_alu instid0(SALU_CYCLE_1)
	s_and_b32 vcc_lo, exec_lo, s0
	s_cbranch_vccz .LBB151_2782
; %bb.2744:
	v_cmp_lt_i16_e64 s0, s6, 5
	s_delay_alu instid0(VALU_DEP_1)
	s_and_b32 vcc_lo, exec_lo, s0
	s_mov_b32 s0, -1
	s_cbranch_vccnz .LBB151_2765
; %bb.2745:
	v_cmp_lt_i16_e64 s0, s6, 8
	s_delay_alu instid0(VALU_DEP_1)
	s_and_b32 vcc_lo, exec_lo, s0
	s_mov_b32 s0, -1
	s_cbranch_vccnz .LBB151_2755
	;; [unrolled: 6-line block ×3, first 2 shown]
; %bb.2747:
	v_cmp_gt_i16_e64 s0, s6, 9
	s_delay_alu instid0(VALU_DEP_1)
	s_and_b32 vcc_lo, exec_lo, s0
	s_mov_b32 s0, -1
	s_cbranch_vccz .LBB151_2749
; %bb.2748:
	v_mov_b32_e32 v2, 0
	s_mov_b32 s0, 0
	s_delay_alu instid0(VALU_DEP_1)
	v_mov_b32_e32 v3, v2
	global_store_b128 v[18:19], v[0:3], off
.LBB151_2749:
	s_and_not1_b32 vcc_lo, exec_lo, s0
	s_cbranch_vccnz .LBB151_2751
; %bb.2750:
	v_cvt_f32_f64_e32 v2, v[0:1]
	v_mov_b32_e32 v3, 0
	global_store_b64 v[18:19], v[2:3], off
.LBB151_2751:
	s_mov_b32 s0, 0
.LBB151_2752:
	s_delay_alu instid0(SALU_CYCLE_1)
	s_and_not1_b32 vcc_lo, exec_lo, s0
	s_cbranch_vccnz .LBB151_2754
; %bb.2753:
	s_delay_alu instid0(VALU_DEP_4) | instskip(NEXT) | instid1(VALU_DEP_1)
	v_cvt_f32_f64_e32 v2, v[0:1]
	v_cvt_f16_f32_e32 v2, v2
	s_delay_alu instid0(VALU_DEP_1)
	v_and_b32_e32 v2, 0xffff, v2
	global_store_b32 v[18:19], v2, off
.LBB151_2754:
	s_mov_b32 s0, 0
.LBB151_2755:
	s_delay_alu instid0(SALU_CYCLE_1)
	s_and_not1_b32 vcc_lo, exec_lo, s0
	s_cbranch_vccnz .LBB151_2764
; %bb.2756:
	v_cmp_lt_i16_e64 s0, s6, 6
	s_delay_alu instid0(VALU_DEP_1)
	s_and_b32 vcc_lo, exec_lo, s0
	s_mov_b32 s0, -1
	s_cbranch_vccnz .LBB151_2762
; %bb.2757:
	v_cmp_gt_i16_e64 s0, s6, 6
	s_delay_alu instid0(VALU_DEP_1)
	s_and_b32 vcc_lo, exec_lo, s0
	s_mov_b32 s0, -1
	s_cbranch_vccz .LBB151_2759
; %bb.2758:
	s_mov_b32 s0, 0
	global_store_b64 v[18:19], v[0:1], off
.LBB151_2759:
	s_and_not1_b32 vcc_lo, exec_lo, s0
	s_cbranch_vccnz .LBB151_2761
; %bb.2760:
	v_cvt_f32_f64_e32 v2, v[0:1]
	global_store_b32 v[18:19], v2, off
.LBB151_2761:
	s_mov_b32 s0, 0
.LBB151_2762:
	s_delay_alu instid0(SALU_CYCLE_1)
	s_and_not1_b32 vcc_lo, exec_lo, s0
	s_cbranch_vccnz .LBB151_2764
; %bb.2763:
	s_delay_alu instid0(VALU_DEP_4) | instskip(NEXT) | instid1(VALU_DEP_1)
	v_cvt_f32_f64_e32 v2, v[0:1]
	v_cvt_f16_f32_e32 v2, v2
	global_store_b16 v[18:19], v2, off
.LBB151_2764:
	s_mov_b32 s0, 0
.LBB151_2765:
	s_delay_alu instid0(SALU_CYCLE_1)
	s_and_not1_b32 vcc_lo, exec_lo, s0
	s_cbranch_vccnz .LBB151_2781
; %bb.2766:
	v_cmp_lt_i16_e64 s0, s6, 2
	s_delay_alu instid0(VALU_DEP_1)
	s_and_b32 vcc_lo, exec_lo, s0
	s_mov_b32 s0, -1
	s_cbranch_vccnz .LBB151_2776
; %bb.2767:
	v_cmp_lt_i16_e64 s0, s6, 3
	s_delay_alu instid0(VALU_DEP_1)
	s_and_b32 vcc_lo, exec_lo, s0
	s_mov_b32 s0, -1
	s_cbranch_vccnz .LBB151_2773
; %bb.2768:
	v_cmp_gt_i16_e64 s0, s6, 3
	s_delay_alu instid0(VALU_DEP_1)
	s_and_b32 vcc_lo, exec_lo, s0
	s_mov_b32 s0, -1
	s_cbranch_vccz .LBB151_2770
; %bb.2769:
	v_trunc_f64_e32 v[2:3], v[0:1]
	s_mov_b32 s0, 0
	s_delay_alu instid0(VALU_DEP_1) | instskip(NEXT) | instid1(VALU_DEP_1)
	v_ldexp_f64 v[20:21], v[2:3], 0xffffffe0
	v_floor_f64_e32 v[20:21], v[20:21]
	s_delay_alu instid0(VALU_DEP_1) | instskip(SKIP_1) | instid1(VALU_DEP_2)
	v_fma_f64 v[2:3], 0xc1f00000, v[20:21], v[2:3]
	v_cvt_i32_f64_e32 v21, v[20:21]
	v_cvt_u32_f64_e32 v20, v[2:3]
	global_store_b64 v[18:19], v[20:21], off
.LBB151_2770:
	s_and_not1_b32 vcc_lo, exec_lo, s0
	s_cbranch_vccnz .LBB151_2772
; %bb.2771:
	v_cvt_i32_f64_e32 v2, v[0:1]
	global_store_b32 v[18:19], v2, off
.LBB151_2772:
	s_mov_b32 s0, 0
.LBB151_2773:
	s_delay_alu instid0(SALU_CYCLE_1)
	s_and_not1_b32 vcc_lo, exec_lo, s0
	s_cbranch_vccnz .LBB151_2775
; %bb.2774:
	s_delay_alu instid0(VALU_DEP_4)
	v_cvt_i32_f64_e32 v2, v[0:1]
	global_store_b16 v[18:19], v2, off
.LBB151_2775:
	s_mov_b32 s0, 0
.LBB151_2776:
	s_delay_alu instid0(SALU_CYCLE_1)
	s_and_not1_b32 vcc_lo, exec_lo, s0
	s_cbranch_vccnz .LBB151_2781
; %bb.2777:
	v_cmp_gt_i16_e64 s0, s6, 0
	s_delay_alu instid0(VALU_DEP_1)
	s_and_b32 vcc_lo, exec_lo, s0
	s_mov_b32 s0, -1
	s_cbranch_vccz .LBB151_2779
; %bb.2778:
	s_delay_alu instid0(VALU_DEP_4)
	v_cvt_i32_f64_e32 v2, v[0:1]
	s_mov_b32 s0, 0
	global_store_b8 v[18:19], v2, off
.LBB151_2779:
	s_and_not1_b32 vcc_lo, exec_lo, s0
	s_cbranch_vccnz .LBB151_2781
; %bb.2780:
	s_delay_alu instid0(VALU_DEP_4) | instskip(NEXT) | instid1(VALU_DEP_1)
	v_trunc_f64_e32 v[0:1], v[0:1]
	v_ldexp_f64 v[2:3], v[0:1], 0xffffffe0
	s_delay_alu instid0(VALU_DEP_1) | instskip(NEXT) | instid1(VALU_DEP_1)
	v_floor_f64_e32 v[2:3], v[2:3]
	v_fma_f64 v[0:1], 0xc1f00000, v[2:3], v[0:1]
	s_delay_alu instid0(VALU_DEP_1)
	v_cvt_u32_f64_e32 v0, v[0:1]
	global_store_b8 v[18:19], v0, off
.LBB151_2781:
	s_mov_b32 s7, -1
.LBB151_2782:
	s_delay_alu instid0(SALU_CYCLE_1)
	s_and_not1_b32 vcc_lo, exec_lo, s7
	s_cbranch_vccnz .LBB151_3049
; %bb.2783:
	v_and_b32_e32 v0, 0xff, v11
	v_cmp_lt_i16_e64 s0, s6, 11
	v_add_co_u32 v6, s1, s4, v6
	s_delay_alu instid0(VALU_DEP_1) | instskip(NEXT) | instid1(VALU_DEP_4)
	v_add_co_ci_u32_e64 v7, null, s5, 0, s1
	v_and_b32_e32 v0, 0xffff, v0
	s_mov_b32 s7, 0
	s_and_b32 vcc_lo, exec_lo, s0
	s_mov_b32 s0, -1
	s_delay_alu instid0(VALU_DEP_1) | instskip(NEXT) | instid1(VALU_DEP_1)
	v_cvt_f64_u32_e32 v[0:1], v0
	v_mul_f64 v[0:1], v[8:9], v[0:1]
	s_delay_alu instid0(VALU_DEP_1)
	v_mul_f64 v[0:1], s[2:3], v[0:1]
	s_cbranch_vccnz .LBB151_2872
; %bb.2784:
	v_cmp_gt_i16_e64 s0, s6, 25
	s_mov_b32 s11, -1
	s_mov_b32 s1, 0
	s_delay_alu instid0(VALU_DEP_1)
	s_and_b32 vcc_lo, exec_lo, s0
	s_mov_b32 s0, 0
	s_cbranch_vccz .LBB151_2828
; %bb.2785:
	v_cmp_gt_i16_e64 s0, s6, 28
	s_delay_alu instid0(VALU_DEP_1)
	s_and_b32 vcc_lo, exec_lo, s0
	s_cbranch_vccz .LBB151_2790
; %bb.2786:
	v_cmp_gt_i16_e64 s0, s6, 43
	s_delay_alu instid0(VALU_DEP_1)
	s_and_b32 vcc_lo, exec_lo, s0
	;; [unrolled: 5-line block ×3, first 2 shown]
	s_cbranch_vccz .LBB151_2800
; %bb.2788:
	v_cmp_eq_u16_e64 s7, s6, 46
	s_mov_b32 s0, -1
	s_mov_b32 s11, 0
	s_delay_alu instid0(VALU_DEP_1)
	s_and_b32 vcc_lo, exec_lo, s7
	s_mov_b32 s7, 0
	s_cbranch_vccz .LBB151_2801
; %bb.2789:
	v_cvt_f32_f64_e32 v2, v[0:1]
	s_mov_b32 s0, 0
	s_mov_b32 s7, -1
	s_delay_alu instid0(VALU_DEP_1) | instskip(SKIP_1) | instid1(VALU_DEP_2)
	v_bfe_u32 v3, v2, 16, 1
	v_cmp_o_f32_e32 vcc_lo, v2, v2
	v_add3_u32 v3, v2, v3, 0x7fff
	s_delay_alu instid0(VALU_DEP_1) | instskip(NEXT) | instid1(VALU_DEP_1)
	v_lshrrev_b32_e32 v3, 16, v3
	v_cndmask_b32_e32 v2, 0x7fc0, v3, vcc_lo
	global_store_b32 v[6:7], v2, off
	s_branch .LBB151_2801
.LBB151_2790:
	s_mov_b32 s0, 0
	s_branch .LBB151_2811
.LBB151_2791:
	s_or_saveexec_b32 s12, s12
                                        ; implicit-def: $sgpr13
	s_delay_alu instid0(SALU_CYCLE_1)
	s_xor_b32 exec_lo, exec_lo, s12
	s_cbranch_execz .LBB151_2693
.LBB151_2792:
	v_add_f32_e64 v3, 0x46000000, |v2|
	s_and_not1_b32 s11, s11, exec_lo
	s_mov_b32 s13, 0
	s_delay_alu instid0(VALU_DEP_1) | instskip(NEXT) | instid1(VALU_DEP_1)
	v_and_b32_e32 v3, 0xff, v3
	v_cmp_ne_u32_e32 vcc_lo, 0, v3
	s_and_b32 s14, vcc_lo, exec_lo
	s_delay_alu instid0(SALU_CYCLE_1)
	s_or_b32 s11, s11, s14
	s_or_b32 exec_lo, exec_lo, s12
	v_mov_b32_e32 v7, s13
	s_and_saveexec_b32 s12, s11
	s_cbranch_execnz .LBB151_2694
	s_branch .LBB151_2695
.LBB151_2793:
	s_mov_b32 s0, 0
	s_branch .LBB151_2807
.LBB151_2794:
	s_trap 2
	s_sendmsg_rtn_b32 s0, sendmsg(MSG_RTN_GET_DOORBELL)
	s_mov_b32 ttmp2, m0
	s_waitcnt lgkmcnt(0)
	s_and_b32 s0, s0, 0x3ff
	s_delay_alu instid0(SALU_CYCLE_1) | instskip(NEXT) | instid1(SALU_CYCLE_1)
	s_bitset1_b32 s0, 10
	s_mov_b32 m0, s0
	s_sendmsg sendmsg(MSG_INTERRUPT)
	s_mov_b32 m0, ttmp2
.LBB151_2795:                           ; =>This Inner Loop Header: Depth=1
	s_sethalt 5
	s_branch .LBB151_2795
.LBB151_2796:
	s_cbranch_execnz .LBB151_2923
; %bb.2797:
	s_or_b32 s10, s10, exec_lo
	s_cbranch_execz .LBB151_2741
	s_branch .LBB151_2742
.LBB151_2798:
	s_or_saveexec_b32 s11, s11
                                        ; implicit-def: $sgpr12
	s_delay_alu instid0(SALU_CYCLE_1)
	s_xor_b32 exec_lo, exec_lo, s11
	s_cbranch_execz .LBB151_2706
.LBB151_2799:
	v_add_f32_e64 v3, 0x42800000, |v2|
	s_and_not1_b32 s7, s7, exec_lo
	s_mov_b32 s12, 0
	s_delay_alu instid0(VALU_DEP_1) | instskip(NEXT) | instid1(VALU_DEP_1)
	v_and_b32_e32 v3, 0xff, v3
	v_cmp_ne_u32_e32 vcc_lo, 0, v3
	s_and_b32 s13, vcc_lo, exec_lo
	s_delay_alu instid0(SALU_CYCLE_1)
	s_or_b32 s7, s7, s13
	s_or_b32 exec_lo, exec_lo, s11
	v_mov_b32_e32 v7, s12
	s_and_saveexec_b32 s11, s7
	s_cbranch_execnz .LBB151_2707
	s_branch .LBB151_2708
.LBB151_2800:
	s_mov_b32 s0, 0
.LBB151_2801:
	s_and_b32 vcc_lo, exec_lo, s11
	s_cbranch_vccz .LBB151_2806
; %bb.2802:
	v_cmp_eq_u16_e64 s0, s6, 44
	s_delay_alu instid0(VALU_DEP_1)
	s_and_b32 vcc_lo, exec_lo, s0
	s_mov_b32 s0, -1
	s_cbranch_vccz .LBB151_2806
; %bb.2803:
	v_cvt_f32_f64_e32 v2, v[0:1]
	v_mov_b32_e32 v3, 0xff
	s_mov_b32 s7, exec_lo
	s_delay_alu instid0(VALU_DEP_2) | instskip(NEXT) | instid1(VALU_DEP_1)
	v_bfe_u32 v8, v2, 23, 8
	v_cmpx_ne_u32_e32 0xff, v8
; %bb.2804:
	v_and_b32_e32 v3, 0x400000, v2
	v_and_or_b32 v8, 0x3fffff, v2, v8
	v_lshrrev_b32_e32 v2, 23, v2
	s_delay_alu instid0(VALU_DEP_3) | instskip(NEXT) | instid1(VALU_DEP_3)
	v_cmp_ne_u32_e32 vcc_lo, 0, v3
	v_cmp_ne_u32_e64 s0, 0, v8
	s_delay_alu instid0(VALU_DEP_1) | instskip(NEXT) | instid1(SALU_CYCLE_1)
	s_and_b32 s0, vcc_lo, s0
	v_cndmask_b32_e64 v3, 0, 1, s0
	s_delay_alu instid0(VALU_DEP_1)
	v_add_nc_u32_e32 v3, v2, v3
; %bb.2805:
	s_or_b32 exec_lo, exec_lo, s7
	s_mov_b32 s0, 0
	s_mov_b32 s7, -1
	global_store_b8 v[6:7], v3, off
.LBB151_2806:
	s_mov_b32 s11, 0
.LBB151_2807:
	s_delay_alu instid0(SALU_CYCLE_1)
	s_and_b32 vcc_lo, exec_lo, s11
	s_cbranch_vccz .LBB151_2810
; %bb.2808:
	v_cmp_eq_u16_e64 s0, s6, 29
	s_delay_alu instid0(VALU_DEP_1)
	s_and_b32 vcc_lo, exec_lo, s0
	s_mov_b32 s0, -1
	s_cbranch_vccz .LBB151_2810
; %bb.2809:
	v_trunc_f64_e32 v[2:3], v[0:1]
	s_mov_b32 s0, 0
	s_mov_b32 s7, -1
	s_mov_b32 s11, 0
	s_delay_alu instid0(VALU_DEP_1) | instskip(NEXT) | instid1(VALU_DEP_1)
	v_ldexp_f64 v[8:9], v[2:3], 0xffffffe0
	v_floor_f64_e32 v[8:9], v[8:9]
	s_delay_alu instid0(VALU_DEP_1) | instskip(SKIP_1) | instid1(VALU_DEP_2)
	v_fma_f64 v[2:3], 0xc1f00000, v[8:9], v[2:3]
	v_cvt_u32_f64_e32 v9, v[8:9]
	v_cvt_u32_f64_e32 v8, v[2:3]
	global_store_b64 v[6:7], v[8:9], off
	s_branch .LBB151_2811
.LBB151_2810:
	s_mov_b32 s11, 0
.LBB151_2811:
	s_delay_alu instid0(SALU_CYCLE_1)
	s_and_b32 vcc_lo, exec_lo, s11
	s_cbranch_vccz .LBB151_2827
; %bb.2812:
	v_cmp_lt_i16_e64 s7, s6, 27
	s_delay_alu instid0(VALU_DEP_1)
	s_and_b32 vcc_lo, exec_lo, s7
	s_mov_b32 s7, -1
	s_cbranch_vccnz .LBB151_2818
; %bb.2813:
	s_delay_alu instid0(VALU_DEP_4) | instskip(SKIP_1) | instid1(VALU_DEP_1)
	v_cvt_u32_f64_e32 v2, v[0:1]
	v_cmp_gt_i16_e64 s7, s6, 27
	s_and_b32 vcc_lo, exec_lo, s7
	s_mov_b32 s7, -1
	s_cbranch_vccz .LBB151_2815
; %bb.2814:
	s_mov_b32 s7, 0
	global_store_b32 v[6:7], v2, off
.LBB151_2815:
	s_and_not1_b32 vcc_lo, exec_lo, s7
	s_cbranch_vccnz .LBB151_2817
; %bb.2816:
	global_store_b16 v[6:7], v2, off
.LBB151_2817:
	s_mov_b32 s7, 0
.LBB151_2818:
	s_delay_alu instid0(SALU_CYCLE_1)
	s_and_not1_b32 vcc_lo, exec_lo, s7
	s_cbranch_vccnz .LBB151_2826
; %bb.2819:
	s_delay_alu instid0(VALU_DEP_4) | instskip(SKIP_2) | instid1(VALU_DEP_2)
	v_cvt_f32_f64_e32 v2, v[0:1]
	v_mov_b32_e32 v8, 0x80
	s_mov_b32 s7, exec_lo
	v_and_b32_e32 v3, 0x7fffffff, v2
	s_delay_alu instid0(VALU_DEP_1)
	v_cmpx_gt_u32_e32 0x43800000, v3
	s_cbranch_execz .LBB151_2825
; %bb.2820:
	v_cmp_lt_u32_e32 vcc_lo, 0x3bffffff, v3
	s_mov_b32 s11, 0
                                        ; implicit-def: $vgpr3
	s_and_saveexec_b32 s12, vcc_lo
	s_delay_alu instid0(SALU_CYCLE_1)
	s_xor_b32 s12, exec_lo, s12
	s_cbranch_execz .LBB151_2920
; %bb.2821:
	v_bfe_u32 v3, v2, 20, 1
	s_mov_b32 s11, exec_lo
	s_delay_alu instid0(VALU_DEP_1) | instskip(NEXT) | instid1(VALU_DEP_1)
	v_add3_u32 v3, v2, v3, 0x487ffff
	v_lshrrev_b32_e32 v3, 20, v3
	s_or_saveexec_b32 s12, s12
                                        ; implicit-def: $sgpr13
	s_delay_alu instid0(SALU_CYCLE_1)
	s_xor_b32 exec_lo, exec_lo, s12
	s_cbranch_execnz .LBB151_2921
.LBB151_2822:
	s_or_b32 exec_lo, exec_lo, s12
	v_mov_b32_e32 v8, s13
	s_and_saveexec_b32 s12, s11
.LBB151_2823:
	v_lshrrev_b32_e32 v2, 24, v2
	s_delay_alu instid0(VALU_DEP_1)
	v_and_or_b32 v8, 0x80, v2, v3
.LBB151_2824:
	s_or_b32 exec_lo, exec_lo, s12
.LBB151_2825:
	s_delay_alu instid0(SALU_CYCLE_1)
	s_or_b32 exec_lo, exec_lo, s7
	global_store_b8 v[6:7], v8, off
.LBB151_2826:
	s_mov_b32 s7, -1
.LBB151_2827:
	s_mov_b32 s11, 0
.LBB151_2828:
	s_delay_alu instid0(SALU_CYCLE_1)
	s_and_b32 vcc_lo, exec_lo, s11
	s_cbranch_vccz .LBB151_2868
; %bb.2829:
	v_cmp_gt_i16_e64 s1, s6, 22
	s_delay_alu instid0(VALU_DEP_1)
	s_and_b32 vcc_lo, exec_lo, s1
	s_mov_b32 s1, -1
	s_cbranch_vccz .LBB151_2861
; %bb.2830:
	v_cmp_lt_i16_e64 s1, s6, 24
	s_delay_alu instid0(VALU_DEP_1)
	s_and_b32 vcc_lo, exec_lo, s1
	s_mov_b32 s1, -1
	s_cbranch_vccnz .LBB151_2850
; %bb.2831:
	v_cmp_gt_i16_e64 s1, s6, 24
	s_delay_alu instid0(VALU_DEP_1)
	s_and_b32 vcc_lo, exec_lo, s1
	s_mov_b32 s1, -1
	s_cbranch_vccz .LBB151_2839
; %bb.2832:
	v_cvt_f32_f64_e32 v2, v[0:1]
	v_mov_b32_e32 v8, 0x80
	s_mov_b32 s1, exec_lo
	s_delay_alu instid0(VALU_DEP_2) | instskip(NEXT) | instid1(VALU_DEP_1)
	v_and_b32_e32 v3, 0x7fffffff, v2
	v_cmpx_gt_u32_e32 0x47800000, v3
	s_cbranch_execz .LBB151_2838
; %bb.2833:
	v_cmp_lt_u32_e32 vcc_lo, 0x37ffffff, v3
	s_mov_b32 s7, 0
                                        ; implicit-def: $vgpr3
	s_and_saveexec_b32 s11, vcc_lo
	s_delay_alu instid0(SALU_CYCLE_1)
	s_xor_b32 s11, exec_lo, s11
	s_cbranch_execz .LBB151_2927
; %bb.2834:
	v_bfe_u32 v3, v2, 21, 1
	s_mov_b32 s7, exec_lo
	s_delay_alu instid0(VALU_DEP_1) | instskip(NEXT) | instid1(VALU_DEP_1)
	v_add3_u32 v3, v2, v3, 0x88fffff
	v_lshrrev_b32_e32 v3, 21, v3
	s_or_saveexec_b32 s11, s11
                                        ; implicit-def: $sgpr12
	s_delay_alu instid0(SALU_CYCLE_1)
	s_xor_b32 exec_lo, exec_lo, s11
	s_cbranch_execnz .LBB151_2928
.LBB151_2835:
	s_or_b32 exec_lo, exec_lo, s11
	v_mov_b32_e32 v8, s12
	s_and_saveexec_b32 s11, s7
.LBB151_2836:
	v_lshrrev_b32_e32 v2, 24, v2
	s_delay_alu instid0(VALU_DEP_1)
	v_and_or_b32 v8, 0x80, v2, v3
.LBB151_2837:
	s_or_b32 exec_lo, exec_lo, s11
.LBB151_2838:
	s_delay_alu instid0(SALU_CYCLE_1)
	s_or_b32 exec_lo, exec_lo, s1
	s_mov_b32 s1, 0
	global_store_b8 v[6:7], v8, off
.LBB151_2839:
	s_and_b32 vcc_lo, exec_lo, s1
	s_cbranch_vccz .LBB151_2849
; %bb.2840:
	v_cvt_f32_f64_e32 v2, v[0:1]
	s_mov_b32 s1, exec_lo
                                        ; implicit-def: $vgpr3
	s_delay_alu instid0(VALU_DEP_1) | instskip(NEXT) | instid1(VALU_DEP_1)
	v_and_b32_e32 v8, 0x7fffffff, v2
	v_cmpx_gt_u32_e32 0x43f00000, v8
	s_xor_b32 s1, exec_lo, s1
	s_cbranch_execz .LBB151_2846
; %bb.2841:
	s_mov_b32 s7, exec_lo
                                        ; implicit-def: $vgpr3
	v_cmpx_lt_u32_e32 0x3c7fffff, v8
	s_xor_b32 s7, exec_lo, s7
; %bb.2842:
	v_bfe_u32 v3, v2, 20, 1
	s_delay_alu instid0(VALU_DEP_1) | instskip(NEXT) | instid1(VALU_DEP_1)
	v_add3_u32 v3, v2, v3, 0x407ffff
	v_and_b32_e32 v8, 0xff00000, v3
	v_lshrrev_b32_e32 v3, 20, v3
	s_delay_alu instid0(VALU_DEP_2) | instskip(NEXT) | instid1(VALU_DEP_2)
	v_cmp_ne_u32_e32 vcc_lo, 0x7f00000, v8
	v_cndmask_b32_e32 v3, 0x7e, v3, vcc_lo
; %bb.2843:
	s_and_not1_saveexec_b32 s7, s7
; %bb.2844:
	v_add_f32_e64 v3, 0x46800000, |v2|
; %bb.2845:
	s_or_b32 exec_lo, exec_lo, s7
                                        ; implicit-def: $vgpr8
.LBB151_2846:
	s_and_not1_saveexec_b32 s1, s1
; %bb.2847:
	v_mov_b32_e32 v3, 0x7f
	v_cmp_lt_u32_e32 vcc_lo, 0x7f800000, v8
	s_delay_alu instid0(VALU_DEP_2)
	v_cndmask_b32_e32 v3, 0x7e, v3, vcc_lo
; %bb.2848:
	s_or_b32 exec_lo, exec_lo, s1
	v_lshrrev_b32_e32 v2, 24, v2
	s_delay_alu instid0(VALU_DEP_1)
	v_and_or_b32 v2, 0x80, v2, v3
	global_store_b8 v[6:7], v2, off
.LBB151_2849:
	s_mov_b32 s1, 0
.LBB151_2850:
	s_delay_alu instid0(SALU_CYCLE_1)
	s_and_not1_b32 vcc_lo, exec_lo, s1
	s_cbranch_vccnz .LBB151_2860
; %bb.2851:
	s_delay_alu instid0(VALU_DEP_4) | instskip(SKIP_1) | instid1(VALU_DEP_1)
	v_cvt_f32_f64_e32 v2, v[0:1]
	s_mov_b32 s1, exec_lo
                                        ; implicit-def: $vgpr3
	v_and_b32_e32 v8, 0x7fffffff, v2
	s_delay_alu instid0(VALU_DEP_1)
	v_cmpx_gt_u32_e32 0x47800000, v8
	s_xor_b32 s1, exec_lo, s1
	s_cbranch_execz .LBB151_2857
; %bb.2852:
	s_mov_b32 s7, exec_lo
                                        ; implicit-def: $vgpr3
	v_cmpx_lt_u32_e32 0x387fffff, v8
	s_xor_b32 s7, exec_lo, s7
; %bb.2853:
	v_bfe_u32 v3, v2, 21, 1
	s_delay_alu instid0(VALU_DEP_1) | instskip(NEXT) | instid1(VALU_DEP_1)
	v_add3_u32 v3, v2, v3, 0x80fffff
	v_lshrrev_b32_e32 v3, 21, v3
; %bb.2854:
	s_and_not1_saveexec_b32 s7, s7
; %bb.2855:
	v_add_f32_e64 v3, 0x43000000, |v2|
; %bb.2856:
	s_or_b32 exec_lo, exec_lo, s7
                                        ; implicit-def: $vgpr8
.LBB151_2857:
	s_and_not1_saveexec_b32 s1, s1
; %bb.2858:
	v_mov_b32_e32 v3, 0x7f
	v_cmp_lt_u32_e32 vcc_lo, 0x7f800000, v8
	s_delay_alu instid0(VALU_DEP_2)
	v_cndmask_b32_e32 v3, 0x7c, v3, vcc_lo
; %bb.2859:
	s_or_b32 exec_lo, exec_lo, s1
	v_lshrrev_b32_e32 v2, 24, v2
	s_delay_alu instid0(VALU_DEP_1)
	v_and_or_b32 v2, 0x80, v2, v3
	global_store_b8 v[6:7], v2, off
.LBB151_2860:
	s_mov_b32 s1, 0
	s_mov_b32 s7, -1
.LBB151_2861:
	s_and_not1_b32 vcc_lo, exec_lo, s1
	s_mov_b32 s1, 0
	s_cbranch_vccnz .LBB151_2868
; %bb.2862:
	v_cmp_gt_i16_e64 s1, s6, 14
	s_delay_alu instid0(VALU_DEP_1)
	s_and_b32 vcc_lo, exec_lo, s1
	s_mov_b32 s1, -1
	s_cbranch_vccz .LBB151_2866
; %bb.2863:
	v_cmp_eq_u16_e64 s0, s6, 15
	s_delay_alu instid0(VALU_DEP_1)
	s_and_b32 vcc_lo, exec_lo, s0
	s_mov_b32 s0, -1
	s_cbranch_vccz .LBB151_2865
; %bb.2864:
	v_cvt_f32_f64_e32 v2, v[0:1]
	s_mov_b32 s0, 0
	s_mov_b32 s7, -1
	s_delay_alu instid0(VALU_DEP_1) | instskip(SKIP_1) | instid1(VALU_DEP_2)
	v_bfe_u32 v3, v2, 16, 1
	v_cmp_o_f32_e32 vcc_lo, v2, v2
	v_add3_u32 v3, v2, v3, 0x7fff
	s_delay_alu instid0(VALU_DEP_1) | instskip(NEXT) | instid1(VALU_DEP_1)
	v_lshrrev_b32_e32 v3, 16, v3
	v_cndmask_b32_e32 v2, 0x7fc0, v3, vcc_lo
	global_store_b16 v[6:7], v2, off
.LBB151_2865:
	s_mov_b32 s1, 0
.LBB151_2866:
	s_delay_alu instid0(SALU_CYCLE_1)
	s_and_b32 vcc_lo, exec_lo, s1
	s_mov_b32 s1, 0
	s_cbranch_vccz .LBB151_2868
; %bb.2867:
	v_cmp_ne_u16_e64 s0, s6, 11
	s_mov_b32 s1, -1
.LBB151_2868:
	s_delay_alu instid0(VALU_DEP_1)
	s_and_b32 vcc_lo, exec_lo, s0
	s_cbranch_vccnz .LBB151_2925
; %bb.2869:
	s_and_not1_b32 vcc_lo, exec_lo, s1
	s_cbranch_vccnz .LBB151_2871
.LBB151_2870:
	s_delay_alu instid0(VALU_DEP_2)
	v_cmp_neq_f64_e32 vcc_lo, 0, v[0:1]
	s_mov_b32 s7, -1
	v_cndmask_b32_e64 v2, 0, 1, vcc_lo
	global_store_b8 v[6:7], v2, off
.LBB151_2871:
	s_mov_b32 s0, 0
.LBB151_2872:
	s_delay_alu instid0(SALU_CYCLE_1)
	s_and_b32 vcc_lo, exec_lo, s0
	s_cbranch_vccz .LBB151_2911
; %bb.2873:
	v_cmp_lt_i16_e64 s0, s6, 5
	s_delay_alu instid0(VALU_DEP_1)
	s_and_b32 vcc_lo, exec_lo, s0
	s_mov_b32 s0, -1
	s_cbranch_vccnz .LBB151_2894
; %bb.2874:
	v_cmp_lt_i16_e64 s0, s6, 8
	s_delay_alu instid0(VALU_DEP_1)
	s_and_b32 vcc_lo, exec_lo, s0
	s_mov_b32 s0, -1
	s_cbranch_vccnz .LBB151_2884
; %bb.2875:
	v_cmp_lt_i16_e64 s0, s6, 9
	s_delay_alu instid0(VALU_DEP_1)
	s_and_b32 vcc_lo, exec_lo, s0
	s_mov_b32 s0, -1
	s_cbranch_vccnz .LBB151_2881
; %bb.2876:
	v_cmp_gt_i16_e64 s0, s6, 9
	s_delay_alu instid0(VALU_DEP_1)
	s_and_b32 vcc_lo, exec_lo, s0
	s_mov_b32 s0, -1
	s_cbranch_vccz .LBB151_2878
; %bb.2877:
	v_mov_b32_e32 v2, 0
	s_mov_b32 s0, 0
	s_delay_alu instid0(VALU_DEP_1)
	v_mov_b32_e32 v3, v2
	global_store_b128 v[6:7], v[0:3], off
.LBB151_2878:
	s_and_not1_b32 vcc_lo, exec_lo, s0
	s_cbranch_vccnz .LBB151_2880
; %bb.2879:
	v_cvt_f32_f64_e32 v2, v[0:1]
	v_mov_b32_e32 v3, 0
	global_store_b64 v[6:7], v[2:3], off
.LBB151_2880:
	s_mov_b32 s0, 0
.LBB151_2881:
	s_delay_alu instid0(SALU_CYCLE_1)
	s_and_not1_b32 vcc_lo, exec_lo, s0
	s_cbranch_vccnz .LBB151_2883
; %bb.2882:
	s_delay_alu instid0(VALU_DEP_4) | instskip(NEXT) | instid1(VALU_DEP_1)
	v_cvt_f32_f64_e32 v2, v[0:1]
	v_cvt_f16_f32_e32 v2, v2
	s_delay_alu instid0(VALU_DEP_1)
	v_and_b32_e32 v2, 0xffff, v2
	global_store_b32 v[6:7], v2, off
.LBB151_2883:
	s_mov_b32 s0, 0
.LBB151_2884:
	s_delay_alu instid0(SALU_CYCLE_1)
	s_and_not1_b32 vcc_lo, exec_lo, s0
	s_cbranch_vccnz .LBB151_2893
; %bb.2885:
	v_cmp_lt_i16_e64 s0, s6, 6
	s_delay_alu instid0(VALU_DEP_1)
	s_and_b32 vcc_lo, exec_lo, s0
	s_mov_b32 s0, -1
	s_cbranch_vccnz .LBB151_2891
; %bb.2886:
	v_cmp_gt_i16_e64 s0, s6, 6
	s_delay_alu instid0(VALU_DEP_1)
	s_and_b32 vcc_lo, exec_lo, s0
	s_mov_b32 s0, -1
	s_cbranch_vccz .LBB151_2888
; %bb.2887:
	s_mov_b32 s0, 0
	global_store_b64 v[6:7], v[0:1], off
.LBB151_2888:
	s_and_not1_b32 vcc_lo, exec_lo, s0
	s_cbranch_vccnz .LBB151_2890
; %bb.2889:
	v_cvt_f32_f64_e32 v2, v[0:1]
	global_store_b32 v[6:7], v2, off
.LBB151_2890:
	s_mov_b32 s0, 0
.LBB151_2891:
	s_delay_alu instid0(SALU_CYCLE_1)
	s_and_not1_b32 vcc_lo, exec_lo, s0
	s_cbranch_vccnz .LBB151_2893
; %bb.2892:
	s_delay_alu instid0(VALU_DEP_4) | instskip(NEXT) | instid1(VALU_DEP_1)
	v_cvt_f32_f64_e32 v2, v[0:1]
	v_cvt_f16_f32_e32 v2, v2
	global_store_b16 v[6:7], v2, off
.LBB151_2893:
	s_mov_b32 s0, 0
.LBB151_2894:
	s_delay_alu instid0(SALU_CYCLE_1)
	s_and_not1_b32 vcc_lo, exec_lo, s0
	s_cbranch_vccnz .LBB151_2910
; %bb.2895:
	v_cmp_lt_i16_e64 s0, s6, 2
	s_delay_alu instid0(VALU_DEP_1)
	s_and_b32 vcc_lo, exec_lo, s0
	s_mov_b32 s0, -1
	s_cbranch_vccnz .LBB151_2905
; %bb.2896:
	v_cmp_lt_i16_e64 s0, s6, 3
	s_delay_alu instid0(VALU_DEP_1)
	s_and_b32 vcc_lo, exec_lo, s0
	s_mov_b32 s0, -1
	s_cbranch_vccnz .LBB151_2902
; %bb.2897:
	v_cmp_gt_i16_e64 s0, s6, 3
	s_delay_alu instid0(VALU_DEP_1)
	s_and_b32 vcc_lo, exec_lo, s0
	s_mov_b32 s0, -1
	s_cbranch_vccz .LBB151_2899
; %bb.2898:
	v_trunc_f64_e32 v[2:3], v[0:1]
	s_mov_b32 s0, 0
	s_delay_alu instid0(VALU_DEP_1) | instskip(NEXT) | instid1(VALU_DEP_1)
	v_ldexp_f64 v[8:9], v[2:3], 0xffffffe0
	v_floor_f64_e32 v[8:9], v[8:9]
	s_delay_alu instid0(VALU_DEP_1) | instskip(SKIP_1) | instid1(VALU_DEP_2)
	v_fma_f64 v[2:3], 0xc1f00000, v[8:9], v[2:3]
	v_cvt_i32_f64_e32 v9, v[8:9]
	v_cvt_u32_f64_e32 v8, v[2:3]
	global_store_b64 v[6:7], v[8:9], off
.LBB151_2899:
	s_and_not1_b32 vcc_lo, exec_lo, s0
	s_cbranch_vccnz .LBB151_2901
; %bb.2900:
	v_cvt_i32_f64_e32 v2, v[0:1]
	global_store_b32 v[6:7], v2, off
.LBB151_2901:
	s_mov_b32 s0, 0
.LBB151_2902:
	s_delay_alu instid0(SALU_CYCLE_1)
	s_and_not1_b32 vcc_lo, exec_lo, s0
	s_cbranch_vccnz .LBB151_2904
; %bb.2903:
	s_delay_alu instid0(VALU_DEP_4)
	v_cvt_i32_f64_e32 v2, v[0:1]
	global_store_b16 v[6:7], v2, off
.LBB151_2904:
	s_mov_b32 s0, 0
.LBB151_2905:
	s_delay_alu instid0(SALU_CYCLE_1)
	s_and_not1_b32 vcc_lo, exec_lo, s0
	s_cbranch_vccnz .LBB151_2910
; %bb.2906:
	v_cmp_gt_i16_e64 s0, s6, 0
	s_delay_alu instid0(VALU_DEP_1)
	s_and_b32 vcc_lo, exec_lo, s0
	s_mov_b32 s0, -1
	s_cbranch_vccz .LBB151_2908
; %bb.2907:
	s_delay_alu instid0(VALU_DEP_4)
	v_cvt_i32_f64_e32 v2, v[0:1]
	s_mov_b32 s0, 0
	global_store_b8 v[6:7], v2, off
.LBB151_2908:
	s_and_not1_b32 vcc_lo, exec_lo, s0
	s_cbranch_vccnz .LBB151_2910
; %bb.2909:
	s_delay_alu instid0(VALU_DEP_4) | instskip(NEXT) | instid1(VALU_DEP_1)
	v_trunc_f64_e32 v[0:1], v[0:1]
	v_ldexp_f64 v[2:3], v[0:1], 0xffffffe0
	s_delay_alu instid0(VALU_DEP_1) | instskip(NEXT) | instid1(VALU_DEP_1)
	v_floor_f64_e32 v[2:3], v[2:3]
	v_fma_f64 v[0:1], 0xc1f00000, v[2:3], v[0:1]
	s_delay_alu instid0(VALU_DEP_1)
	v_cvt_u32_f64_e32 v0, v[0:1]
	global_store_b8 v[6:7], v0, off
.LBB151_2910:
	s_mov_b32 s7, -1
.LBB151_2911:
	s_delay_alu instid0(SALU_CYCLE_1)
	s_and_not1_b32 vcc_lo, exec_lo, s7
	s_cbranch_vccnz .LBB151_3049
; %bb.2912:
	v_and_b32_e32 v0, 0xff, v14
	v_cmp_lt_i16_e64 s0, s6, 11
	v_add_co_u32 v5, s1, s4, v5
	s_delay_alu instid0(VALU_DEP_1) | instskip(NEXT) | instid1(VALU_DEP_4)
	v_add_co_ci_u32_e64 v6, null, s5, 0, s1
	v_and_b32_e32 v0, 0xffff, v0
	s_mov_b32 s7, 0
	s_and_b32 vcc_lo, exec_lo, s0
	s_mov_b32 s0, -1
	s_delay_alu instid0(VALU_DEP_1) | instskip(NEXT) | instid1(VALU_DEP_1)
	v_cvt_f64_u32_e32 v[0:1], v0
	v_mul_f64 v[0:1], v[12:13], v[0:1]
	s_delay_alu instid0(VALU_DEP_1)
	v_mul_f64 v[0:1], s[2:3], v[0:1]
	s_cbranch_vccnz .LBB151_3001
; %bb.2913:
	v_cmp_gt_i16_e64 s0, s6, 25
	s_mov_b32 s11, -1
	s_mov_b32 s1, 0
	s_delay_alu instid0(VALU_DEP_1)
	s_and_b32 vcc_lo, exec_lo, s0
	s_mov_b32 s0, 0
	s_cbranch_vccz .LBB151_2957
; %bb.2914:
	v_cmp_gt_i16_e64 s0, s6, 28
	s_delay_alu instid0(VALU_DEP_1)
	s_and_b32 vcc_lo, exec_lo, s0
	s_cbranch_vccz .LBB151_2919
; %bb.2915:
	v_cmp_gt_i16_e64 s0, s6, 43
	s_delay_alu instid0(VALU_DEP_1)
	s_and_b32 vcc_lo, exec_lo, s0
	s_cbranch_vccz .LBB151_2922
; %bb.2916:
	v_cmp_gt_i16_e64 s0, s6, 45
	s_delay_alu instid0(VALU_DEP_1)
	s_and_b32 vcc_lo, exec_lo, s0
	s_cbranch_vccz .LBB151_2929
; %bb.2917:
	v_cmp_eq_u16_e64 s7, s6, 46
	s_mov_b32 s0, -1
	s_mov_b32 s11, 0
	s_delay_alu instid0(VALU_DEP_1)
	s_and_b32 vcc_lo, exec_lo, s7
	s_mov_b32 s7, 0
	s_cbranch_vccz .LBB151_2930
; %bb.2918:
	v_cvt_f32_f64_e32 v2, v[0:1]
	s_mov_b32 s0, 0
	s_mov_b32 s7, -1
	s_delay_alu instid0(VALU_DEP_1) | instskip(SKIP_1) | instid1(VALU_DEP_2)
	v_bfe_u32 v3, v2, 16, 1
	v_cmp_o_f32_e32 vcc_lo, v2, v2
	v_add3_u32 v3, v2, v3, 0x7fff
	s_delay_alu instid0(VALU_DEP_1) | instskip(NEXT) | instid1(VALU_DEP_1)
	v_lshrrev_b32_e32 v3, 16, v3
	v_cndmask_b32_e32 v2, 0x7fc0, v3, vcc_lo
	global_store_b32 v[5:6], v2, off
	s_branch .LBB151_2930
.LBB151_2919:
	s_mov_b32 s0, 0
	s_branch .LBB151_2940
.LBB151_2920:
	s_or_saveexec_b32 s12, s12
                                        ; implicit-def: $sgpr13
	s_delay_alu instid0(SALU_CYCLE_1)
	s_xor_b32 exec_lo, exec_lo, s12
	s_cbranch_execz .LBB151_2822
.LBB151_2921:
	v_add_f32_e64 v3, 0x46000000, |v2|
	s_and_not1_b32 s11, s11, exec_lo
	s_mov_b32 s13, 0
	s_delay_alu instid0(VALU_DEP_1) | instskip(NEXT) | instid1(VALU_DEP_1)
	v_and_b32_e32 v3, 0xff, v3
	v_cmp_ne_u32_e32 vcc_lo, 0, v3
	s_and_b32 s14, vcc_lo, exec_lo
	s_delay_alu instid0(SALU_CYCLE_1)
	s_or_b32 s11, s11, s14
	s_or_b32 exec_lo, exec_lo, s12
	v_mov_b32_e32 v8, s13
	s_and_saveexec_b32 s12, s11
	s_cbranch_execnz .LBB151_2823
	s_branch .LBB151_2824
.LBB151_2922:
	s_mov_b32 s0, 0
	s_branch .LBB151_2936
.LBB151_2923:
	s_trap 2
	s_sendmsg_rtn_b32 s0, sendmsg(MSG_RTN_GET_DOORBELL)
	s_mov_b32 ttmp2, m0
	s_waitcnt lgkmcnt(0)
	s_and_b32 s0, s0, 0x3ff
	s_delay_alu instid0(SALU_CYCLE_1) | instskip(NEXT) | instid1(SALU_CYCLE_1)
	s_bitset1_b32 s0, 10
	s_mov_b32 m0, s0
	s_sendmsg sendmsg(MSG_INTERRUPT)
	s_mov_b32 m0, ttmp2
.LBB151_2924:                           ; =>This Inner Loop Header: Depth=1
	s_sethalt 5
	s_branch .LBB151_2924
.LBB151_2925:
	s_cbranch_execnz .LBB151_3098
; %bb.2926:
	s_or_b32 s10, s10, exec_lo
	s_cbranch_execz .LBB151_2870
	s_branch .LBB151_2871
.LBB151_2927:
	s_or_saveexec_b32 s11, s11
                                        ; implicit-def: $sgpr12
	s_delay_alu instid0(SALU_CYCLE_1)
	s_xor_b32 exec_lo, exec_lo, s11
	s_cbranch_execz .LBB151_2835
.LBB151_2928:
	v_add_f32_e64 v3, 0x42800000, |v2|
	s_and_not1_b32 s7, s7, exec_lo
	s_mov_b32 s12, 0
	s_delay_alu instid0(VALU_DEP_1) | instskip(NEXT) | instid1(VALU_DEP_1)
	v_and_b32_e32 v3, 0xff, v3
	v_cmp_ne_u32_e32 vcc_lo, 0, v3
	s_and_b32 s13, vcc_lo, exec_lo
	s_delay_alu instid0(SALU_CYCLE_1)
	s_or_b32 s7, s7, s13
	s_or_b32 exec_lo, exec_lo, s11
	v_mov_b32_e32 v8, s12
	s_and_saveexec_b32 s11, s7
	s_cbranch_execnz .LBB151_2836
	s_branch .LBB151_2837
.LBB151_2929:
	s_mov_b32 s0, 0
.LBB151_2930:
	s_and_b32 vcc_lo, exec_lo, s11
	s_cbranch_vccz .LBB151_2935
; %bb.2931:
	v_cmp_eq_u16_e64 s0, s6, 44
	s_delay_alu instid0(VALU_DEP_1)
	s_and_b32 vcc_lo, exec_lo, s0
	s_mov_b32 s0, -1
	s_cbranch_vccz .LBB151_2935
; %bb.2932:
	v_cvt_f32_f64_e32 v2, v[0:1]
	v_mov_b32_e32 v3, 0xff
	s_mov_b32 s7, exec_lo
	s_delay_alu instid0(VALU_DEP_2) | instskip(NEXT) | instid1(VALU_DEP_1)
	v_bfe_u32 v7, v2, 23, 8
	v_cmpx_ne_u32_e32 0xff, v7
; %bb.2933:
	v_and_b32_e32 v3, 0x400000, v2
	v_and_or_b32 v7, 0x3fffff, v2, v7
	v_lshrrev_b32_e32 v2, 23, v2
	s_delay_alu instid0(VALU_DEP_3) | instskip(NEXT) | instid1(VALU_DEP_3)
	v_cmp_ne_u32_e32 vcc_lo, 0, v3
	v_cmp_ne_u32_e64 s0, 0, v7
	s_delay_alu instid0(VALU_DEP_1) | instskip(NEXT) | instid1(SALU_CYCLE_1)
	s_and_b32 s0, vcc_lo, s0
	v_cndmask_b32_e64 v3, 0, 1, s0
	s_delay_alu instid0(VALU_DEP_1)
	v_add_nc_u32_e32 v3, v2, v3
; %bb.2934:
	s_or_b32 exec_lo, exec_lo, s7
	s_mov_b32 s0, 0
	s_mov_b32 s7, -1
	global_store_b8 v[5:6], v3, off
.LBB151_2935:
	s_mov_b32 s11, 0
.LBB151_2936:
	s_delay_alu instid0(SALU_CYCLE_1)
	s_and_b32 vcc_lo, exec_lo, s11
	s_cbranch_vccz .LBB151_2939
; %bb.2937:
	v_cmp_eq_u16_e64 s0, s6, 29
	s_delay_alu instid0(VALU_DEP_1)
	s_and_b32 vcc_lo, exec_lo, s0
	s_mov_b32 s0, -1
	s_cbranch_vccz .LBB151_2939
; %bb.2938:
	v_trunc_f64_e32 v[2:3], v[0:1]
	s_mov_b32 s0, 0
	s_mov_b32 s7, -1
	s_mov_b32 s11, 0
	s_delay_alu instid0(VALU_DEP_1) | instskip(NEXT) | instid1(VALU_DEP_1)
	v_ldexp_f64 v[7:8], v[2:3], 0xffffffe0
	v_floor_f64_e32 v[7:8], v[7:8]
	s_delay_alu instid0(VALU_DEP_1) | instskip(SKIP_1) | instid1(VALU_DEP_2)
	v_fma_f64 v[2:3], 0xc1f00000, v[7:8], v[2:3]
	v_cvt_u32_f64_e32 v8, v[7:8]
	v_cvt_u32_f64_e32 v7, v[2:3]
	global_store_b64 v[5:6], v[7:8], off
	s_branch .LBB151_2940
.LBB151_2939:
	s_mov_b32 s11, 0
.LBB151_2940:
	s_delay_alu instid0(SALU_CYCLE_1)
	s_and_b32 vcc_lo, exec_lo, s11
	s_cbranch_vccz .LBB151_2956
; %bb.2941:
	v_cmp_lt_i16_e64 s7, s6, 27
	s_delay_alu instid0(VALU_DEP_1)
	s_and_b32 vcc_lo, exec_lo, s7
	s_mov_b32 s7, -1
	s_cbranch_vccnz .LBB151_2947
; %bb.2942:
	v_cmp_gt_i16_e64 s7, s6, 27
	s_delay_alu instid0(VALU_DEP_1)
	s_and_b32 vcc_lo, exec_lo, s7
	s_mov_b32 s7, -1
	s_cbranch_vccz .LBB151_2944
; %bb.2943:
	v_cvt_u32_f64_e32 v2, v[0:1]
	s_mov_b32 s7, 0
	global_store_b32 v[5:6], v2, off
.LBB151_2944:
	s_and_not1_b32 vcc_lo, exec_lo, s7
	s_cbranch_vccnz .LBB151_2946
; %bb.2945:
	v_cvt_u32_f64_e32 v2, v[0:1]
	global_store_b16 v[5:6], v2, off
.LBB151_2946:
	s_mov_b32 s7, 0
.LBB151_2947:
	s_delay_alu instid0(SALU_CYCLE_1)
	s_and_not1_b32 vcc_lo, exec_lo, s7
	s_cbranch_vccnz .LBB151_2955
; %bb.2948:
	s_delay_alu instid0(VALU_DEP_4) | instskip(SKIP_2) | instid1(VALU_DEP_2)
	v_cvt_f32_f64_e32 v2, v[0:1]
	v_mov_b32_e32 v7, 0x80
	s_mov_b32 s7, exec_lo
	v_and_b32_e32 v3, 0x7fffffff, v2
	s_delay_alu instid0(VALU_DEP_1)
	v_cmpx_gt_u32_e32 0x43800000, v3
	s_cbranch_execz .LBB151_2954
; %bb.2949:
	v_cmp_lt_u32_e32 vcc_lo, 0x3bffffff, v3
	s_mov_b32 s11, 0
                                        ; implicit-def: $vgpr3
	s_and_saveexec_b32 s12, vcc_lo
	s_delay_alu instid0(SALU_CYCLE_1)
	s_xor_b32 s12, exec_lo, s12
	s_cbranch_execz .LBB151_3095
; %bb.2950:
	v_bfe_u32 v3, v2, 20, 1
	s_mov_b32 s11, exec_lo
	s_delay_alu instid0(VALU_DEP_1) | instskip(NEXT) | instid1(VALU_DEP_1)
	v_add3_u32 v3, v2, v3, 0x487ffff
	v_lshrrev_b32_e32 v3, 20, v3
	s_or_saveexec_b32 s12, s12
                                        ; implicit-def: $sgpr13
	s_delay_alu instid0(SALU_CYCLE_1)
	s_xor_b32 exec_lo, exec_lo, s12
	s_cbranch_execnz .LBB151_3096
.LBB151_2951:
	s_or_b32 exec_lo, exec_lo, s12
	v_mov_b32_e32 v7, s13
	s_and_saveexec_b32 s12, s11
.LBB151_2952:
	v_lshrrev_b32_e32 v2, 24, v2
	s_delay_alu instid0(VALU_DEP_1)
	v_and_or_b32 v7, 0x80, v2, v3
.LBB151_2953:
	s_or_b32 exec_lo, exec_lo, s12
.LBB151_2954:
	s_delay_alu instid0(SALU_CYCLE_1)
	s_or_b32 exec_lo, exec_lo, s7
	global_store_b8 v[5:6], v7, off
.LBB151_2955:
	s_mov_b32 s7, -1
.LBB151_2956:
	s_mov_b32 s11, 0
.LBB151_2957:
	s_delay_alu instid0(SALU_CYCLE_1)
	s_and_b32 vcc_lo, exec_lo, s11
	s_cbranch_vccz .LBB151_2997
; %bb.2958:
	v_cmp_gt_i16_e64 s1, s6, 22
	s_delay_alu instid0(VALU_DEP_1)
	s_and_b32 vcc_lo, exec_lo, s1
	s_mov_b32 s1, -1
	s_cbranch_vccz .LBB151_2990
; %bb.2959:
	v_cmp_lt_i16_e64 s1, s6, 24
	s_delay_alu instid0(VALU_DEP_1)
	s_and_b32 vcc_lo, exec_lo, s1
	s_mov_b32 s1, -1
	s_cbranch_vccnz .LBB151_2979
; %bb.2960:
	v_cmp_gt_i16_e64 s1, s6, 24
	s_delay_alu instid0(VALU_DEP_1)
	s_and_b32 vcc_lo, exec_lo, s1
	s_mov_b32 s1, -1
	s_cbranch_vccz .LBB151_2968
; %bb.2961:
	v_cvt_f32_f64_e32 v2, v[0:1]
	v_mov_b32_e32 v7, 0x80
	s_mov_b32 s1, exec_lo
	s_delay_alu instid0(VALU_DEP_2) | instskip(NEXT) | instid1(VALU_DEP_1)
	v_and_b32_e32 v3, 0x7fffffff, v2
	v_cmpx_gt_u32_e32 0x47800000, v3
	s_cbranch_execz .LBB151_2967
; %bb.2962:
	v_cmp_lt_u32_e32 vcc_lo, 0x37ffffff, v3
	s_mov_b32 s7, 0
                                        ; implicit-def: $vgpr3
	s_and_saveexec_b32 s11, vcc_lo
	s_delay_alu instid0(SALU_CYCLE_1)
	s_xor_b32 s11, exec_lo, s11
	s_cbranch_execz .LBB151_3102
; %bb.2963:
	v_bfe_u32 v3, v2, 21, 1
	s_mov_b32 s7, exec_lo
	s_delay_alu instid0(VALU_DEP_1) | instskip(NEXT) | instid1(VALU_DEP_1)
	v_add3_u32 v3, v2, v3, 0x88fffff
	v_lshrrev_b32_e32 v3, 21, v3
	s_or_saveexec_b32 s11, s11
                                        ; implicit-def: $sgpr12
	s_delay_alu instid0(SALU_CYCLE_1)
	s_xor_b32 exec_lo, exec_lo, s11
	s_cbranch_execnz .LBB151_3103
.LBB151_2964:
	s_or_b32 exec_lo, exec_lo, s11
	v_mov_b32_e32 v7, s12
	s_and_saveexec_b32 s11, s7
.LBB151_2965:
	v_lshrrev_b32_e32 v2, 24, v2
	s_delay_alu instid0(VALU_DEP_1)
	v_and_or_b32 v7, 0x80, v2, v3
.LBB151_2966:
	s_or_b32 exec_lo, exec_lo, s11
.LBB151_2967:
	s_delay_alu instid0(SALU_CYCLE_1)
	s_or_b32 exec_lo, exec_lo, s1
	s_mov_b32 s1, 0
	global_store_b8 v[5:6], v7, off
.LBB151_2968:
	s_and_b32 vcc_lo, exec_lo, s1
	s_cbranch_vccz .LBB151_2978
; %bb.2969:
	v_cvt_f32_f64_e32 v2, v[0:1]
	s_mov_b32 s1, exec_lo
                                        ; implicit-def: $vgpr3
	s_delay_alu instid0(VALU_DEP_1) | instskip(NEXT) | instid1(VALU_DEP_1)
	v_and_b32_e32 v7, 0x7fffffff, v2
	v_cmpx_gt_u32_e32 0x43f00000, v7
	s_xor_b32 s1, exec_lo, s1
	s_cbranch_execz .LBB151_2975
; %bb.2970:
	s_mov_b32 s7, exec_lo
                                        ; implicit-def: $vgpr3
	v_cmpx_lt_u32_e32 0x3c7fffff, v7
	s_xor_b32 s7, exec_lo, s7
; %bb.2971:
	v_bfe_u32 v3, v2, 20, 1
	s_delay_alu instid0(VALU_DEP_1) | instskip(NEXT) | instid1(VALU_DEP_1)
	v_add3_u32 v3, v2, v3, 0x407ffff
	v_and_b32_e32 v7, 0xff00000, v3
	v_lshrrev_b32_e32 v3, 20, v3
	s_delay_alu instid0(VALU_DEP_2) | instskip(NEXT) | instid1(VALU_DEP_2)
	v_cmp_ne_u32_e32 vcc_lo, 0x7f00000, v7
	v_cndmask_b32_e32 v3, 0x7e, v3, vcc_lo
; %bb.2972:
	s_and_not1_saveexec_b32 s7, s7
; %bb.2973:
	v_add_f32_e64 v3, 0x46800000, |v2|
; %bb.2974:
	s_or_b32 exec_lo, exec_lo, s7
                                        ; implicit-def: $vgpr7
.LBB151_2975:
	s_and_not1_saveexec_b32 s1, s1
; %bb.2976:
	v_mov_b32_e32 v3, 0x7f
	v_cmp_lt_u32_e32 vcc_lo, 0x7f800000, v7
	s_delay_alu instid0(VALU_DEP_2)
	v_cndmask_b32_e32 v3, 0x7e, v3, vcc_lo
; %bb.2977:
	s_or_b32 exec_lo, exec_lo, s1
	v_lshrrev_b32_e32 v2, 24, v2
	s_delay_alu instid0(VALU_DEP_1)
	v_and_or_b32 v2, 0x80, v2, v3
	global_store_b8 v[5:6], v2, off
.LBB151_2978:
	s_mov_b32 s1, 0
.LBB151_2979:
	s_delay_alu instid0(SALU_CYCLE_1)
	s_and_not1_b32 vcc_lo, exec_lo, s1
	s_cbranch_vccnz .LBB151_2989
; %bb.2980:
	s_delay_alu instid0(VALU_DEP_4) | instskip(SKIP_1) | instid1(VALU_DEP_1)
	v_cvt_f32_f64_e32 v2, v[0:1]
	s_mov_b32 s1, exec_lo
                                        ; implicit-def: $vgpr3
	v_and_b32_e32 v7, 0x7fffffff, v2
	s_delay_alu instid0(VALU_DEP_1)
	v_cmpx_gt_u32_e32 0x47800000, v7
	s_xor_b32 s1, exec_lo, s1
	s_cbranch_execz .LBB151_2986
; %bb.2981:
	s_mov_b32 s7, exec_lo
                                        ; implicit-def: $vgpr3
	v_cmpx_lt_u32_e32 0x387fffff, v7
	s_xor_b32 s7, exec_lo, s7
; %bb.2982:
	v_bfe_u32 v3, v2, 21, 1
	s_delay_alu instid0(VALU_DEP_1) | instskip(NEXT) | instid1(VALU_DEP_1)
	v_add3_u32 v3, v2, v3, 0x80fffff
	v_lshrrev_b32_e32 v3, 21, v3
; %bb.2983:
	s_and_not1_saveexec_b32 s7, s7
; %bb.2984:
	v_add_f32_e64 v3, 0x43000000, |v2|
; %bb.2985:
	s_or_b32 exec_lo, exec_lo, s7
                                        ; implicit-def: $vgpr7
.LBB151_2986:
	s_and_not1_saveexec_b32 s1, s1
; %bb.2987:
	v_mov_b32_e32 v3, 0x7f
	v_cmp_lt_u32_e32 vcc_lo, 0x7f800000, v7
	s_delay_alu instid0(VALU_DEP_2)
	v_cndmask_b32_e32 v3, 0x7c, v3, vcc_lo
; %bb.2988:
	s_or_b32 exec_lo, exec_lo, s1
	v_lshrrev_b32_e32 v2, 24, v2
	s_delay_alu instid0(VALU_DEP_1)
	v_and_or_b32 v2, 0x80, v2, v3
	global_store_b8 v[5:6], v2, off
.LBB151_2989:
	s_mov_b32 s1, 0
	s_mov_b32 s7, -1
.LBB151_2990:
	s_and_not1_b32 vcc_lo, exec_lo, s1
	s_mov_b32 s1, 0
	s_cbranch_vccnz .LBB151_2997
; %bb.2991:
	v_cmp_gt_i16_e64 s1, s6, 14
	s_delay_alu instid0(VALU_DEP_1)
	s_and_b32 vcc_lo, exec_lo, s1
	s_mov_b32 s1, -1
	s_cbranch_vccz .LBB151_2995
; %bb.2992:
	v_cmp_eq_u16_e64 s0, s6, 15
	s_delay_alu instid0(VALU_DEP_1)
	s_and_b32 vcc_lo, exec_lo, s0
	s_mov_b32 s0, -1
	s_cbranch_vccz .LBB151_2994
; %bb.2993:
	v_cvt_f32_f64_e32 v2, v[0:1]
	s_mov_b32 s0, 0
	s_mov_b32 s7, -1
	s_delay_alu instid0(VALU_DEP_1) | instskip(SKIP_1) | instid1(VALU_DEP_2)
	v_bfe_u32 v3, v2, 16, 1
	v_cmp_o_f32_e32 vcc_lo, v2, v2
	v_add3_u32 v3, v2, v3, 0x7fff
	s_delay_alu instid0(VALU_DEP_1) | instskip(NEXT) | instid1(VALU_DEP_1)
	v_lshrrev_b32_e32 v3, 16, v3
	v_cndmask_b32_e32 v2, 0x7fc0, v3, vcc_lo
	global_store_b16 v[5:6], v2, off
.LBB151_2994:
	s_mov_b32 s1, 0
.LBB151_2995:
	s_delay_alu instid0(SALU_CYCLE_1)
	s_and_b32 vcc_lo, exec_lo, s1
	s_mov_b32 s1, 0
	s_cbranch_vccz .LBB151_2997
; %bb.2996:
	v_cmp_ne_u16_e64 s0, s6, 11
	s_mov_b32 s1, -1
.LBB151_2997:
	s_delay_alu instid0(VALU_DEP_1)
	s_and_b32 vcc_lo, exec_lo, s0
	s_cbranch_vccnz .LBB151_3100
; %bb.2998:
	s_and_not1_b32 vcc_lo, exec_lo, s1
	s_cbranch_vccnz .LBB151_3000
.LBB151_2999:
	s_delay_alu instid0(VALU_DEP_2)
	v_cmp_neq_f64_e32 vcc_lo, 0, v[0:1]
	s_mov_b32 s7, -1
	v_cndmask_b32_e64 v2, 0, 1, vcc_lo
	global_store_b8 v[5:6], v2, off
.LBB151_3000:
	s_mov_b32 s0, 0
.LBB151_3001:
	s_delay_alu instid0(SALU_CYCLE_1)
	s_and_b32 vcc_lo, exec_lo, s0
	s_cbranch_vccz .LBB151_3040
; %bb.3002:
	v_cmp_lt_i16_e64 s0, s6, 5
	s_delay_alu instid0(VALU_DEP_1)
	s_and_b32 vcc_lo, exec_lo, s0
	s_mov_b32 s0, -1
	s_cbranch_vccnz .LBB151_3023
; %bb.3003:
	v_cmp_lt_i16_e64 s0, s6, 8
	s_delay_alu instid0(VALU_DEP_1)
	s_and_b32 vcc_lo, exec_lo, s0
	s_mov_b32 s0, -1
	s_cbranch_vccnz .LBB151_3013
	;; [unrolled: 6-line block ×3, first 2 shown]
; %bb.3005:
	v_cmp_gt_i16_e64 s0, s6, 9
	s_delay_alu instid0(VALU_DEP_1)
	s_and_b32 vcc_lo, exec_lo, s0
	s_mov_b32 s0, -1
	s_cbranch_vccz .LBB151_3007
; %bb.3006:
	v_mov_b32_e32 v2, 0
	s_mov_b32 s0, 0
	s_delay_alu instid0(VALU_DEP_1)
	v_mov_b32_e32 v3, v2
	global_store_b128 v[5:6], v[0:3], off
.LBB151_3007:
	s_and_not1_b32 vcc_lo, exec_lo, s0
	s_cbranch_vccnz .LBB151_3009
; %bb.3008:
	v_cvt_f32_f64_e32 v2, v[0:1]
	v_mov_b32_e32 v3, 0
	global_store_b64 v[5:6], v[2:3], off
.LBB151_3009:
	s_mov_b32 s0, 0
.LBB151_3010:
	s_delay_alu instid0(SALU_CYCLE_1)
	s_and_not1_b32 vcc_lo, exec_lo, s0
	s_cbranch_vccnz .LBB151_3012
; %bb.3011:
	s_delay_alu instid0(VALU_DEP_4) | instskip(NEXT) | instid1(VALU_DEP_1)
	v_cvt_f32_f64_e32 v2, v[0:1]
	v_cvt_f16_f32_e32 v2, v2
	s_delay_alu instid0(VALU_DEP_1)
	v_and_b32_e32 v2, 0xffff, v2
	global_store_b32 v[5:6], v2, off
.LBB151_3012:
	s_mov_b32 s0, 0
.LBB151_3013:
	s_delay_alu instid0(SALU_CYCLE_1)
	s_and_not1_b32 vcc_lo, exec_lo, s0
	s_cbranch_vccnz .LBB151_3022
; %bb.3014:
	v_cmp_lt_i16_e64 s0, s6, 6
	s_delay_alu instid0(VALU_DEP_1)
	s_and_b32 vcc_lo, exec_lo, s0
	s_mov_b32 s0, -1
	s_cbranch_vccnz .LBB151_3020
; %bb.3015:
	v_cmp_gt_i16_e64 s0, s6, 6
	s_delay_alu instid0(VALU_DEP_1)
	s_and_b32 vcc_lo, exec_lo, s0
	s_mov_b32 s0, -1
	s_cbranch_vccz .LBB151_3017
; %bb.3016:
	s_mov_b32 s0, 0
	global_store_b64 v[5:6], v[0:1], off
.LBB151_3017:
	s_and_not1_b32 vcc_lo, exec_lo, s0
	s_cbranch_vccnz .LBB151_3019
; %bb.3018:
	v_cvt_f32_f64_e32 v2, v[0:1]
	global_store_b32 v[5:6], v2, off
.LBB151_3019:
	s_mov_b32 s0, 0
.LBB151_3020:
	s_delay_alu instid0(SALU_CYCLE_1)
	s_and_not1_b32 vcc_lo, exec_lo, s0
	s_cbranch_vccnz .LBB151_3022
; %bb.3021:
	s_delay_alu instid0(VALU_DEP_4) | instskip(NEXT) | instid1(VALU_DEP_1)
	v_cvt_f32_f64_e32 v2, v[0:1]
	v_cvt_f16_f32_e32 v2, v2
	global_store_b16 v[5:6], v2, off
.LBB151_3022:
	s_mov_b32 s0, 0
.LBB151_3023:
	s_delay_alu instid0(SALU_CYCLE_1)
	s_and_not1_b32 vcc_lo, exec_lo, s0
	s_cbranch_vccnz .LBB151_3039
; %bb.3024:
	v_cmp_lt_i16_e64 s0, s6, 2
	s_delay_alu instid0(VALU_DEP_1)
	s_and_b32 vcc_lo, exec_lo, s0
	s_mov_b32 s0, -1
	s_cbranch_vccnz .LBB151_3034
; %bb.3025:
	v_cmp_lt_i16_e64 s0, s6, 3
	s_delay_alu instid0(VALU_DEP_1)
	s_and_b32 vcc_lo, exec_lo, s0
	s_mov_b32 s0, -1
	s_cbranch_vccnz .LBB151_3031
; %bb.3026:
	v_cmp_gt_i16_e64 s0, s6, 3
	s_delay_alu instid0(VALU_DEP_1)
	s_and_b32 vcc_lo, exec_lo, s0
	s_mov_b32 s0, -1
	s_cbranch_vccz .LBB151_3028
; %bb.3027:
	v_trunc_f64_e32 v[2:3], v[0:1]
	s_mov_b32 s0, 0
	s_delay_alu instid0(VALU_DEP_1) | instskip(NEXT) | instid1(VALU_DEP_1)
	v_ldexp_f64 v[7:8], v[2:3], 0xffffffe0
	v_floor_f64_e32 v[7:8], v[7:8]
	s_delay_alu instid0(VALU_DEP_1) | instskip(SKIP_1) | instid1(VALU_DEP_2)
	v_fma_f64 v[2:3], 0xc1f00000, v[7:8], v[2:3]
	v_cvt_i32_f64_e32 v8, v[7:8]
	v_cvt_u32_f64_e32 v7, v[2:3]
	global_store_b64 v[5:6], v[7:8], off
.LBB151_3028:
	s_and_not1_b32 vcc_lo, exec_lo, s0
	s_cbranch_vccnz .LBB151_3030
; %bb.3029:
	v_cvt_i32_f64_e32 v2, v[0:1]
	global_store_b32 v[5:6], v2, off
.LBB151_3030:
	s_mov_b32 s0, 0
.LBB151_3031:
	s_delay_alu instid0(SALU_CYCLE_1)
	s_and_not1_b32 vcc_lo, exec_lo, s0
	s_cbranch_vccnz .LBB151_3033
; %bb.3032:
	s_delay_alu instid0(VALU_DEP_4)
	v_cvt_i32_f64_e32 v2, v[0:1]
	global_store_b16 v[5:6], v2, off
.LBB151_3033:
	s_mov_b32 s0, 0
.LBB151_3034:
	s_delay_alu instid0(SALU_CYCLE_1)
	s_and_not1_b32 vcc_lo, exec_lo, s0
	s_cbranch_vccnz .LBB151_3039
; %bb.3035:
	v_cmp_gt_i16_e64 s0, s6, 0
	s_delay_alu instid0(VALU_DEP_1)
	s_and_b32 vcc_lo, exec_lo, s0
	s_mov_b32 s0, -1
	s_cbranch_vccz .LBB151_3037
; %bb.3036:
	s_delay_alu instid0(VALU_DEP_4)
	v_cvt_i32_f64_e32 v2, v[0:1]
	s_mov_b32 s0, 0
	global_store_b8 v[5:6], v2, off
.LBB151_3037:
	s_and_not1_b32 vcc_lo, exec_lo, s0
	s_cbranch_vccnz .LBB151_3039
; %bb.3038:
	s_delay_alu instid0(VALU_DEP_4) | instskip(NEXT) | instid1(VALU_DEP_1)
	v_trunc_f64_e32 v[0:1], v[0:1]
	v_ldexp_f64 v[2:3], v[0:1], 0xffffffe0
	s_delay_alu instid0(VALU_DEP_1) | instskip(NEXT) | instid1(VALU_DEP_1)
	v_floor_f64_e32 v[2:3], v[2:3]
	v_fma_f64 v[0:1], 0xc1f00000, v[2:3], v[0:1]
	s_delay_alu instid0(VALU_DEP_1)
	v_cvt_u32_f64_e32 v0, v[0:1]
	global_store_b8 v[5:6], v0, off
.LBB151_3039:
	s_mov_b32 s7, -1
.LBB151_3040:
	s_delay_alu instid0(SALU_CYCLE_1)
	s_and_not1_b32 vcc_lo, exec_lo, s7
	s_cbranch_vccnz .LBB151_3049
; %bb.3041:
	v_and_b32_e32 v0, 0xff, v17
	v_cmp_lt_i16_e64 s0, s6, 11
	s_mov_b32 s1, 0
	s_delay_alu instid0(VALU_DEP_2) | instskip(NEXT) | instid1(VALU_DEP_2)
	v_and_b32_e32 v0, 0xffff, v0
	s_and_b32 vcc_lo, exec_lo, s0
	s_mov_b32 s0, -1
	s_delay_alu instid0(VALU_DEP_1) | instskip(NEXT) | instid1(VALU_DEP_1)
	v_cvt_f64_u32_e32 v[0:1], v0
	v_mul_f64 v[0:1], v[15:16], v[0:1]
	s_delay_alu instid0(VALU_DEP_1) | instskip(SKIP_1) | instid1(VALU_DEP_1)
	v_mul_f64 v[0:1], s[2:3], v[0:1]
	v_add_co_u32 v4, s2, s4, v4
	v_add_co_ci_u32_e64 v5, null, s5, 0, s2
	s_cbranch_vccnz .LBB151_3050
; %bb.3042:
	v_cmp_gt_i16_e64 s0, s6, 25
	s_mov_b32 s2, -1
	s_delay_alu instid0(VALU_DEP_1)
	s_and_b32 vcc_lo, exec_lo, s0
	s_mov_b32 s0, 0
	s_cbranch_vccz .LBB151_3131
; %bb.3043:
	v_cmp_gt_i16_e64 s0, s6, 28
	s_delay_alu instid0(VALU_DEP_1)
	s_and_b32 vcc_lo, exec_lo, s0
	s_cbranch_vccz .LBB151_3094
; %bb.3044:
	v_cmp_gt_i16_e64 s0, s6, 43
	s_delay_alu instid0(VALU_DEP_1)
	s_and_b32 vcc_lo, exec_lo, s0
	;; [unrolled: 5-line block ×3, first 2 shown]
	s_cbranch_vccz .LBB151_3104
; %bb.3046:
	v_cmp_eq_u16_e64 s0, s6, 46
	s_delay_alu instid0(VALU_DEP_1)
	s_and_b32 vcc_lo, exec_lo, s0
	s_mov_b32 s0, -1
	s_cbranch_vccz .LBB151_3048
; %bb.3047:
	v_cvt_f32_f64_e32 v2, v[0:1]
	s_mov_b32 s0, 0
	s_delay_alu instid0(VALU_DEP_1) | instskip(SKIP_1) | instid1(VALU_DEP_2)
	v_bfe_u32 v3, v2, 16, 1
	v_cmp_o_f32_e32 vcc_lo, v2, v2
	v_add3_u32 v3, v2, v3, 0x7fff
	s_delay_alu instid0(VALU_DEP_1) | instskip(NEXT) | instid1(VALU_DEP_1)
	v_lshrrev_b32_e32 v3, 16, v3
	v_cndmask_b32_e32 v2, 0x7fc0, v3, vcc_lo
	global_store_b32 v[4:5], v2, off
.LBB151_3048:
	s_mov_b32 s2, 0
	s_branch .LBB151_3105
.LBB151_3049:
	s_mov_b32 s0, 0
	s_mov_b32 s1, 0
                                        ; implicit-def: $vgpr4_vgpr5
                                        ; implicit-def: $sgpr6
                                        ; implicit-def: $vgpr0_vgpr1
.LBB151_3050:
	s_and_b32 s2, s0, exec_lo
	s_and_not1_b32 s0, s8, exec_lo
	s_and_b32 s3, s10, exec_lo
	s_and_b32 s28, s1, exec_lo
	s_or_b32 s8, s0, s3
.LBB151_3051:
	s_or_b32 exec_lo, exec_lo, s9
	s_and_saveexec_b32 s0, s8
	s_cbranch_execz .LBB151_3054
; %bb.3052:
	; divergent unreachable
	s_or_b32 exec_lo, exec_lo, s0
	s_and_saveexec_b32 s0, s28
	s_delay_alu instid0(SALU_CYCLE_1)
	s_xor_b32 s0, exec_lo, s0
	s_cbranch_execnz .LBB151_3055
.LBB151_3053:
	s_or_b32 exec_lo, exec_lo, s0
	s_and_saveexec_b32 s0, s2
	s_cbranch_execnz .LBB151_3056
	s_branch .LBB151_3093
.LBB151_3054:
	s_or_b32 exec_lo, exec_lo, s0
	s_and_saveexec_b32 s0, s28
	s_delay_alu instid0(SALU_CYCLE_1)
	s_xor_b32 s0, exec_lo, s0
	s_cbranch_execz .LBB151_3053
.LBB151_3055:
	s_waitcnt vmcnt(0)
	s_delay_alu instid0(VALU_DEP_1)
	v_cmp_neq_f64_e32 vcc_lo, 0, v[0:1]
	v_cndmask_b32_e64 v2, 0, 1, vcc_lo
	global_store_b8 v[4:5], v2, off
	s_or_b32 exec_lo, exec_lo, s0
	s_and_saveexec_b32 s0, s2
	s_cbranch_execz .LBB151_3093
.LBB151_3056:
	v_cmp_lt_i16_e64 s0, s6, 5
	s_delay_alu instid0(VALU_DEP_1)
	s_and_b32 vcc_lo, exec_lo, s0
	s_mov_b32 s0, -1
	s_cbranch_vccnz .LBB151_3077
; %bb.3057:
	v_cmp_lt_i16_e64 s0, s6, 8
	s_delay_alu instid0(VALU_DEP_1)
	s_and_b32 vcc_lo, exec_lo, s0
	s_mov_b32 s0, -1
	s_cbranch_vccnz .LBB151_3067
; %bb.3058:
	v_cmp_lt_i16_e64 s0, s6, 9
	s_delay_alu instid0(VALU_DEP_1)
	s_and_b32 vcc_lo, exec_lo, s0
	s_mov_b32 s0, -1
	s_cbranch_vccnz .LBB151_3064
; %bb.3059:
	v_cmp_gt_i16_e64 s0, s6, 9
	s_delay_alu instid0(VALU_DEP_1)
	s_and_b32 vcc_lo, exec_lo, s0
	s_mov_b32 s0, -1
	s_cbranch_vccz .LBB151_3061
; %bb.3060:
	v_mov_b32_e32 v2, 0
	s_mov_b32 s0, 0
	s_waitcnt vmcnt(0)
	s_delay_alu instid0(VALU_DEP_1)
	v_mov_b32_e32 v3, v2
	global_store_b128 v[4:5], v[0:3], off
.LBB151_3061:
	s_and_not1_b32 vcc_lo, exec_lo, s0
	s_cbranch_vccnz .LBB151_3063
; %bb.3062:
	s_waitcnt vmcnt(0)
	v_cvt_f32_f64_e32 v2, v[0:1]
	v_mov_b32_e32 v3, 0
	global_store_b64 v[4:5], v[2:3], off
.LBB151_3063:
	s_mov_b32 s0, 0
.LBB151_3064:
	s_delay_alu instid0(SALU_CYCLE_1)
	s_and_not1_b32 vcc_lo, exec_lo, s0
	s_cbranch_vccnz .LBB151_3066
; %bb.3065:
	s_waitcnt vmcnt(0)
	s_delay_alu instid0(VALU_DEP_4) | instskip(NEXT) | instid1(VALU_DEP_1)
	v_cvt_f32_f64_e32 v2, v[0:1]
	v_cvt_f16_f32_e32 v2, v2
	s_delay_alu instid0(VALU_DEP_1)
	v_and_b32_e32 v2, 0xffff, v2
	global_store_b32 v[4:5], v2, off
.LBB151_3066:
	s_mov_b32 s0, 0
.LBB151_3067:
	s_delay_alu instid0(SALU_CYCLE_1)
	s_and_not1_b32 vcc_lo, exec_lo, s0
	s_cbranch_vccnz .LBB151_3076
; %bb.3068:
	v_cmp_lt_i16_e64 s0, s6, 6
	s_delay_alu instid0(VALU_DEP_1)
	s_and_b32 vcc_lo, exec_lo, s0
	s_mov_b32 s0, -1
	s_cbranch_vccnz .LBB151_3074
; %bb.3069:
	v_cmp_gt_i16_e64 s0, s6, 6
	s_delay_alu instid0(VALU_DEP_1)
	s_and_b32 vcc_lo, exec_lo, s0
	s_mov_b32 s0, -1
	s_cbranch_vccz .LBB151_3071
; %bb.3070:
	s_mov_b32 s0, 0
	s_waitcnt vmcnt(0)
	global_store_b64 v[4:5], v[0:1], off
.LBB151_3071:
	s_and_not1_b32 vcc_lo, exec_lo, s0
	s_cbranch_vccnz .LBB151_3073
; %bb.3072:
	s_waitcnt vmcnt(0)
	v_cvt_f32_f64_e32 v2, v[0:1]
	global_store_b32 v[4:5], v2, off
.LBB151_3073:
	s_mov_b32 s0, 0
.LBB151_3074:
	s_delay_alu instid0(SALU_CYCLE_1)
	s_and_not1_b32 vcc_lo, exec_lo, s0
	s_cbranch_vccnz .LBB151_3076
; %bb.3075:
	s_waitcnt vmcnt(0)
	s_delay_alu instid0(VALU_DEP_4) | instskip(NEXT) | instid1(VALU_DEP_1)
	v_cvt_f32_f64_e32 v2, v[0:1]
	v_cvt_f16_f32_e32 v2, v2
	global_store_b16 v[4:5], v2, off
.LBB151_3076:
	s_mov_b32 s0, 0
.LBB151_3077:
	s_delay_alu instid0(SALU_CYCLE_1)
	s_and_not1_b32 vcc_lo, exec_lo, s0
	s_cbranch_vccnz .LBB151_3093
; %bb.3078:
	v_cmp_lt_i16_e64 s0, s6, 2
	s_delay_alu instid0(VALU_DEP_1)
	s_and_b32 vcc_lo, exec_lo, s0
	s_mov_b32 s0, -1
	s_cbranch_vccnz .LBB151_3088
; %bb.3079:
	v_cmp_lt_i16_e64 s0, s6, 3
	s_delay_alu instid0(VALU_DEP_1)
	s_and_b32 vcc_lo, exec_lo, s0
	s_mov_b32 s0, -1
	s_cbranch_vccnz .LBB151_3085
; %bb.3080:
	v_cmp_gt_i16_e64 s0, s6, 3
	s_delay_alu instid0(VALU_DEP_1)
	s_and_b32 vcc_lo, exec_lo, s0
	s_mov_b32 s0, -1
	s_cbranch_vccz .LBB151_3082
; %bb.3081:
	s_waitcnt vmcnt(0)
	v_trunc_f64_e32 v[2:3], v[0:1]
	s_mov_b32 s0, 0
	s_delay_alu instid0(VALU_DEP_1) | instskip(NEXT) | instid1(VALU_DEP_1)
	v_ldexp_f64 v[6:7], v[2:3], 0xffffffe0
	v_floor_f64_e32 v[6:7], v[6:7]
	s_delay_alu instid0(VALU_DEP_1) | instskip(SKIP_1) | instid1(VALU_DEP_2)
	v_fma_f64 v[2:3], 0xc1f00000, v[6:7], v[2:3]
	v_cvt_i32_f64_e32 v7, v[6:7]
	v_cvt_u32_f64_e32 v6, v[2:3]
	global_store_b64 v[4:5], v[6:7], off
.LBB151_3082:
	s_and_not1_b32 vcc_lo, exec_lo, s0
	s_cbranch_vccnz .LBB151_3084
; %bb.3083:
	s_waitcnt vmcnt(0)
	v_cvt_i32_f64_e32 v2, v[0:1]
	global_store_b32 v[4:5], v2, off
.LBB151_3084:
	s_mov_b32 s0, 0
.LBB151_3085:
	s_delay_alu instid0(SALU_CYCLE_1)
	s_and_not1_b32 vcc_lo, exec_lo, s0
	s_cbranch_vccnz .LBB151_3087
; %bb.3086:
	s_waitcnt vmcnt(0)
	s_delay_alu instid0(VALU_DEP_4)
	v_cvt_i32_f64_e32 v2, v[0:1]
	global_store_b16 v[4:5], v2, off
.LBB151_3087:
	s_mov_b32 s0, 0
.LBB151_3088:
	s_delay_alu instid0(SALU_CYCLE_1)
	s_and_not1_b32 vcc_lo, exec_lo, s0
	s_cbranch_vccnz .LBB151_3093
; %bb.3089:
	v_cmp_gt_i16_e64 s0, s6, 0
	s_delay_alu instid0(VALU_DEP_1)
	s_and_b32 vcc_lo, exec_lo, s0
	s_mov_b32 s0, -1
	s_cbranch_vccz .LBB151_3091
; %bb.3090:
	s_waitcnt vmcnt(0)
	s_delay_alu instid0(VALU_DEP_4)
	v_cvt_i32_f64_e32 v2, v[0:1]
	s_mov_b32 s0, 0
	global_store_b8 v[4:5], v2, off
.LBB151_3091:
	s_and_not1_b32 vcc_lo, exec_lo, s0
	s_cbranch_vccnz .LBB151_3093
; %bb.3092:
	s_waitcnt vmcnt(0)
	v_trunc_f64_e32 v[0:1], v[0:1]
	s_delay_alu instid0(VALU_DEP_1) | instskip(NEXT) | instid1(VALU_DEP_1)
	v_ldexp_f64 v[2:3], v[0:1], 0xffffffe0
	v_floor_f64_e32 v[2:3], v[2:3]
	s_delay_alu instid0(VALU_DEP_1) | instskip(NEXT) | instid1(VALU_DEP_1)
	v_fma_f64 v[0:1], 0xc1f00000, v[2:3], v[0:1]
	v_cvt_u32_f64_e32 v0, v[0:1]
	global_store_b8 v[4:5], v0, off
	s_nop 0
	s_sendmsg sendmsg(MSG_DEALLOC_VGPRS)
	s_endpgm
.LBB151_3093:
	s_nop 0
	s_sendmsg sendmsg(MSG_DEALLOC_VGPRS)
	s_endpgm
.LBB151_3094:
	s_mov_b32 s0, 0
	s_branch .LBB151_3115
.LBB151_3095:
	s_or_saveexec_b32 s12, s12
                                        ; implicit-def: $sgpr13
	s_delay_alu instid0(SALU_CYCLE_1)
	s_xor_b32 exec_lo, exec_lo, s12
	s_cbranch_execz .LBB151_2951
.LBB151_3096:
	v_add_f32_e64 v3, 0x46000000, |v2|
	s_and_not1_b32 s11, s11, exec_lo
	s_mov_b32 s13, 0
	s_delay_alu instid0(VALU_DEP_1) | instskip(NEXT) | instid1(VALU_DEP_1)
	v_and_b32_e32 v3, 0xff, v3
	v_cmp_ne_u32_e32 vcc_lo, 0, v3
	s_and_b32 s14, vcc_lo, exec_lo
	s_delay_alu instid0(SALU_CYCLE_1)
	s_or_b32 s11, s11, s14
	s_or_b32 exec_lo, exec_lo, s12
	v_mov_b32_e32 v7, s13
	s_and_saveexec_b32 s12, s11
	s_cbranch_execnz .LBB151_2952
	s_branch .LBB151_2953
.LBB151_3097:
	s_mov_b32 s0, 0
	s_branch .LBB151_3111
.LBB151_3098:
	s_trap 2
	s_sendmsg_rtn_b32 s0, sendmsg(MSG_RTN_GET_DOORBELL)
	s_mov_b32 ttmp2, m0
	s_waitcnt lgkmcnt(0)
	s_and_b32 s0, s0, 0x3ff
	s_delay_alu instid0(SALU_CYCLE_1) | instskip(NEXT) | instid1(SALU_CYCLE_1)
	s_bitset1_b32 s0, 10
	s_mov_b32 m0, s0
	s_sendmsg sendmsg(MSG_INTERRUPT)
	s_mov_b32 m0, ttmp2
.LBB151_3099:                           ; =>This Inner Loop Header: Depth=1
	s_sethalt 5
	s_branch .LBB151_3099
.LBB151_3100:
	s_cbranch_execnz .LBB151_3175
; %bb.3101:
	s_or_b32 s10, s10, exec_lo
	s_cbranch_execz .LBB151_2999
	s_branch .LBB151_3000
.LBB151_3102:
	s_or_saveexec_b32 s11, s11
                                        ; implicit-def: $sgpr12
	s_delay_alu instid0(SALU_CYCLE_1)
	s_xor_b32 exec_lo, exec_lo, s11
	s_cbranch_execz .LBB151_2964
.LBB151_3103:
	v_add_f32_e64 v3, 0x42800000, |v2|
	s_and_not1_b32 s7, s7, exec_lo
	s_mov_b32 s12, 0
	s_delay_alu instid0(VALU_DEP_1) | instskip(NEXT) | instid1(VALU_DEP_1)
	v_and_b32_e32 v3, 0xff, v3
	v_cmp_ne_u32_e32 vcc_lo, 0, v3
	s_and_b32 s13, vcc_lo, exec_lo
	s_delay_alu instid0(SALU_CYCLE_1)
	s_or_b32 s7, s7, s13
	s_or_b32 exec_lo, exec_lo, s11
	v_mov_b32_e32 v7, s12
	s_and_saveexec_b32 s11, s7
	s_cbranch_execnz .LBB151_2965
	s_branch .LBB151_2966
.LBB151_3104:
	s_mov_b32 s0, 0
.LBB151_3105:
	s_and_b32 vcc_lo, exec_lo, s2
	s_cbranch_vccz .LBB151_3110
; %bb.3106:
	v_cmp_eq_u16_e64 s0, s6, 44
	s_delay_alu instid0(VALU_DEP_1)
	s_and_b32 vcc_lo, exec_lo, s0
	s_mov_b32 s0, -1
	s_cbranch_vccz .LBB151_3110
; %bb.3107:
	v_cvt_f32_f64_e32 v2, v[0:1]
	v_mov_b32_e32 v3, 0xff
	s_mov_b32 s2, exec_lo
	s_delay_alu instid0(VALU_DEP_2) | instskip(NEXT) | instid1(VALU_DEP_1)
	v_bfe_u32 v6, v2, 23, 8
	v_cmpx_ne_u32_e32 0xff, v6
; %bb.3108:
	v_and_b32_e32 v3, 0x400000, v2
	v_and_or_b32 v6, 0x3fffff, v2, v6
	v_lshrrev_b32_e32 v2, 23, v2
	s_delay_alu instid0(VALU_DEP_3) | instskip(NEXT) | instid1(VALU_DEP_3)
	v_cmp_ne_u32_e32 vcc_lo, 0, v3
	v_cmp_ne_u32_e64 s0, 0, v6
	s_delay_alu instid0(VALU_DEP_1) | instskip(NEXT) | instid1(SALU_CYCLE_1)
	s_and_b32 s0, vcc_lo, s0
	v_cndmask_b32_e64 v3, 0, 1, s0
	s_delay_alu instid0(VALU_DEP_1)
	v_add_nc_u32_e32 v3, v2, v3
; %bb.3109:
	s_or_b32 exec_lo, exec_lo, s2
	s_mov_b32 s0, 0
	global_store_b8 v[4:5], v3, off
.LBB151_3110:
	s_mov_b32 s2, 0
.LBB151_3111:
	s_delay_alu instid0(SALU_CYCLE_1)
	s_and_b32 vcc_lo, exec_lo, s2
	s_cbranch_vccz .LBB151_3114
; %bb.3112:
	v_cmp_eq_u16_e64 s0, s6, 29
	s_delay_alu instid0(VALU_DEP_1)
	s_and_b32 vcc_lo, exec_lo, s0
	s_mov_b32 s0, -1
	s_cbranch_vccz .LBB151_3114
; %bb.3113:
	v_trunc_f64_e32 v[2:3], v[0:1]
	s_mov_b32 s0, 0
	s_delay_alu instid0(VALU_DEP_1) | instskip(NEXT) | instid1(VALU_DEP_1)
	v_ldexp_f64 v[6:7], v[2:3], 0xffffffe0
	v_floor_f64_e32 v[6:7], v[6:7]
	s_delay_alu instid0(VALU_DEP_1) | instskip(SKIP_1) | instid1(VALU_DEP_2)
	v_fma_f64 v[2:3], 0xc1f00000, v[6:7], v[2:3]
	v_cvt_u32_f64_e32 v7, v[6:7]
	v_cvt_u32_f64_e32 v6, v[2:3]
	global_store_b64 v[4:5], v[6:7], off
.LBB151_3114:
	s_mov_b32 s2, 0
.LBB151_3115:
	s_delay_alu instid0(SALU_CYCLE_1)
	s_and_b32 vcc_lo, exec_lo, s2
	s_cbranch_vccz .LBB151_3130
; %bb.3116:
	v_cmp_lt_i16_e64 s2, s6, 27
	s_delay_alu instid0(VALU_DEP_1)
	s_and_b32 vcc_lo, exec_lo, s2
	s_mov_b32 s2, -1
	s_cbranch_vccnz .LBB151_3122
; %bb.3117:
	v_cmp_gt_i16_e64 s2, s6, 27
	s_delay_alu instid0(VALU_DEP_1)
	s_and_b32 vcc_lo, exec_lo, s2
	s_mov_b32 s2, -1
	s_cbranch_vccz .LBB151_3119
; %bb.3118:
	v_cvt_u32_f64_e32 v2, v[0:1]
	s_mov_b32 s2, 0
	global_store_b32 v[4:5], v2, off
.LBB151_3119:
	s_and_not1_b32 vcc_lo, exec_lo, s2
	s_cbranch_vccnz .LBB151_3121
; %bb.3120:
	v_cvt_u32_f64_e32 v2, v[0:1]
	global_store_b16 v[4:5], v2, off
.LBB151_3121:
	s_mov_b32 s2, 0
.LBB151_3122:
	s_delay_alu instid0(SALU_CYCLE_1)
	s_and_not1_b32 vcc_lo, exec_lo, s2
	s_cbranch_vccnz .LBB151_3130
; %bb.3123:
	v_cvt_f32_f64_e32 v2, v[0:1]
	v_mov_b32_e32 v6, 0x80
	s_mov_b32 s2, exec_lo
	s_delay_alu instid0(VALU_DEP_2) | instskip(NEXT) | instid1(VALU_DEP_1)
	v_and_b32_e32 v3, 0x7fffffff, v2
	v_cmpx_gt_u32_e32 0x43800000, v3
	s_cbranch_execz .LBB151_3129
; %bb.3124:
	v_cmp_lt_u32_e32 vcc_lo, 0x3bffffff, v3
	s_mov_b32 s3, 0
                                        ; implicit-def: $vgpr3
	s_and_saveexec_b32 s4, vcc_lo
	s_delay_alu instid0(SALU_CYCLE_1)
	s_xor_b32 s4, exec_lo, s4
	s_cbranch_execz .LBB151_3173
; %bb.3125:
	v_bfe_u32 v3, v2, 20, 1
	s_mov_b32 s3, exec_lo
	s_delay_alu instid0(VALU_DEP_1) | instskip(NEXT) | instid1(VALU_DEP_1)
	v_add3_u32 v3, v2, v3, 0x487ffff
	v_lshrrev_b32_e32 v3, 20, v3
	s_or_saveexec_b32 s4, s4
                                        ; implicit-def: $sgpr5
	s_delay_alu instid0(SALU_CYCLE_1)
	s_xor_b32 exec_lo, exec_lo, s4
	s_cbranch_execnz .LBB151_3174
.LBB151_3126:
	s_or_b32 exec_lo, exec_lo, s4
	v_mov_b32_e32 v6, s5
	s_and_saveexec_b32 s4, s3
.LBB151_3127:
	v_lshrrev_b32_e32 v2, 24, v2
	s_delay_alu instid0(VALU_DEP_1)
	v_and_or_b32 v6, 0x80, v2, v3
.LBB151_3128:
	s_or_b32 exec_lo, exec_lo, s4
.LBB151_3129:
	s_delay_alu instid0(SALU_CYCLE_1)
	s_or_b32 exec_lo, exec_lo, s2
	global_store_b8 v[4:5], v6, off
.LBB151_3130:
	s_mov_b32 s2, 0
.LBB151_3131:
	s_delay_alu instid0(SALU_CYCLE_1)
	s_and_b32 vcc_lo, exec_lo, s2
	s_cbranch_vccz .LBB151_3171
; %bb.3132:
	v_cmp_gt_i16_e64 s1, s6, 22
	s_delay_alu instid0(VALU_DEP_1)
	s_and_b32 vcc_lo, exec_lo, s1
	s_mov_b32 s1, -1
	s_cbranch_vccz .LBB151_3164
; %bb.3133:
	v_cmp_lt_i16_e64 s1, s6, 24
	s_delay_alu instid0(VALU_DEP_1)
	s_and_b32 vcc_lo, exec_lo, s1
	s_mov_b32 s1, -1
	s_cbranch_vccnz .LBB151_3153
; %bb.3134:
	v_cmp_gt_i16_e64 s1, s6, 24
	s_delay_alu instid0(VALU_DEP_1)
	s_and_b32 vcc_lo, exec_lo, s1
	s_mov_b32 s1, -1
	s_cbranch_vccz .LBB151_3142
; %bb.3135:
	v_cvt_f32_f64_e32 v2, v[0:1]
	v_mov_b32_e32 v6, 0x80
	s_mov_b32 s1, exec_lo
	s_delay_alu instid0(VALU_DEP_2) | instskip(NEXT) | instid1(VALU_DEP_1)
	v_and_b32_e32 v3, 0x7fffffff, v2
	v_cmpx_gt_u32_e32 0x47800000, v3
	s_cbranch_execz .LBB151_3141
; %bb.3136:
	v_cmp_lt_u32_e32 vcc_lo, 0x37ffffff, v3
	s_mov_b32 s2, 0
                                        ; implicit-def: $vgpr3
	s_and_saveexec_b32 s3, vcc_lo
	s_delay_alu instid0(SALU_CYCLE_1)
	s_xor_b32 s3, exec_lo, s3
	s_cbranch_execz .LBB151_3179
; %bb.3137:
	v_bfe_u32 v3, v2, 21, 1
	s_mov_b32 s2, exec_lo
	s_delay_alu instid0(VALU_DEP_1) | instskip(NEXT) | instid1(VALU_DEP_1)
	v_add3_u32 v3, v2, v3, 0x88fffff
	v_lshrrev_b32_e32 v3, 21, v3
	s_or_saveexec_b32 s3, s3
                                        ; implicit-def: $sgpr4
	s_delay_alu instid0(SALU_CYCLE_1)
	s_xor_b32 exec_lo, exec_lo, s3
	s_cbranch_execnz .LBB151_3180
.LBB151_3138:
	s_or_b32 exec_lo, exec_lo, s3
	v_mov_b32_e32 v6, s4
	s_and_saveexec_b32 s3, s2
.LBB151_3139:
	v_lshrrev_b32_e32 v2, 24, v2
	s_delay_alu instid0(VALU_DEP_1)
	v_and_or_b32 v6, 0x80, v2, v3
.LBB151_3140:
	s_or_b32 exec_lo, exec_lo, s3
.LBB151_3141:
	s_delay_alu instid0(SALU_CYCLE_1)
	s_or_b32 exec_lo, exec_lo, s1
	s_mov_b32 s1, 0
	global_store_b8 v[4:5], v6, off
.LBB151_3142:
	s_and_b32 vcc_lo, exec_lo, s1
	s_cbranch_vccz .LBB151_3152
; %bb.3143:
	v_cvt_f32_f64_e32 v2, v[0:1]
	s_mov_b32 s1, exec_lo
                                        ; implicit-def: $vgpr3
	s_delay_alu instid0(VALU_DEP_1) | instskip(NEXT) | instid1(VALU_DEP_1)
	v_and_b32_e32 v6, 0x7fffffff, v2
	v_cmpx_gt_u32_e32 0x43f00000, v6
	s_xor_b32 s1, exec_lo, s1
	s_cbranch_execz .LBB151_3149
; %bb.3144:
	s_mov_b32 s2, exec_lo
                                        ; implicit-def: $vgpr3
	v_cmpx_lt_u32_e32 0x3c7fffff, v6
	s_xor_b32 s2, exec_lo, s2
; %bb.3145:
	v_bfe_u32 v3, v2, 20, 1
	s_delay_alu instid0(VALU_DEP_1) | instskip(NEXT) | instid1(VALU_DEP_1)
	v_add3_u32 v3, v2, v3, 0x407ffff
	v_and_b32_e32 v6, 0xff00000, v3
	v_lshrrev_b32_e32 v3, 20, v3
	s_delay_alu instid0(VALU_DEP_2) | instskip(NEXT) | instid1(VALU_DEP_2)
	v_cmp_ne_u32_e32 vcc_lo, 0x7f00000, v6
	v_cndmask_b32_e32 v3, 0x7e, v3, vcc_lo
; %bb.3146:
	s_and_not1_saveexec_b32 s2, s2
; %bb.3147:
	v_add_f32_e64 v3, 0x46800000, |v2|
; %bb.3148:
	s_or_b32 exec_lo, exec_lo, s2
                                        ; implicit-def: $vgpr6
.LBB151_3149:
	s_and_not1_saveexec_b32 s1, s1
; %bb.3150:
	v_mov_b32_e32 v3, 0x7f
	v_cmp_lt_u32_e32 vcc_lo, 0x7f800000, v6
	s_delay_alu instid0(VALU_DEP_2)
	v_cndmask_b32_e32 v3, 0x7e, v3, vcc_lo
; %bb.3151:
	s_or_b32 exec_lo, exec_lo, s1
	v_lshrrev_b32_e32 v2, 24, v2
	s_delay_alu instid0(VALU_DEP_1)
	v_and_or_b32 v2, 0x80, v2, v3
	global_store_b8 v[4:5], v2, off
.LBB151_3152:
	s_mov_b32 s1, 0
.LBB151_3153:
	s_delay_alu instid0(SALU_CYCLE_1)
	s_and_not1_b32 vcc_lo, exec_lo, s1
	s_cbranch_vccnz .LBB151_3163
; %bb.3154:
	v_cvt_f32_f64_e32 v2, v[0:1]
	s_mov_b32 s1, exec_lo
                                        ; implicit-def: $vgpr3
	s_delay_alu instid0(VALU_DEP_1) | instskip(NEXT) | instid1(VALU_DEP_1)
	v_and_b32_e32 v6, 0x7fffffff, v2
	v_cmpx_gt_u32_e32 0x47800000, v6
	s_xor_b32 s1, exec_lo, s1
	s_cbranch_execz .LBB151_3160
; %bb.3155:
	s_mov_b32 s2, exec_lo
                                        ; implicit-def: $vgpr3
	v_cmpx_lt_u32_e32 0x387fffff, v6
	s_xor_b32 s2, exec_lo, s2
; %bb.3156:
	v_bfe_u32 v3, v2, 21, 1
	s_delay_alu instid0(VALU_DEP_1) | instskip(NEXT) | instid1(VALU_DEP_1)
	v_add3_u32 v3, v2, v3, 0x80fffff
	v_lshrrev_b32_e32 v3, 21, v3
; %bb.3157:
	s_and_not1_saveexec_b32 s2, s2
; %bb.3158:
	v_add_f32_e64 v3, 0x43000000, |v2|
; %bb.3159:
	s_or_b32 exec_lo, exec_lo, s2
                                        ; implicit-def: $vgpr6
.LBB151_3160:
	s_and_not1_saveexec_b32 s1, s1
; %bb.3161:
	v_mov_b32_e32 v3, 0x7f
	v_cmp_lt_u32_e32 vcc_lo, 0x7f800000, v6
	s_delay_alu instid0(VALU_DEP_2)
	v_cndmask_b32_e32 v3, 0x7c, v3, vcc_lo
; %bb.3162:
	s_or_b32 exec_lo, exec_lo, s1
	v_lshrrev_b32_e32 v2, 24, v2
	s_delay_alu instid0(VALU_DEP_1)
	v_and_or_b32 v2, 0x80, v2, v3
	global_store_b8 v[4:5], v2, off
.LBB151_3163:
	s_mov_b32 s1, 0
.LBB151_3164:
	s_delay_alu instid0(SALU_CYCLE_1)
	s_and_not1_b32 vcc_lo, exec_lo, s1
	s_mov_b32 s1, 0
	s_cbranch_vccnz .LBB151_3171
; %bb.3165:
	v_cmp_gt_i16_e64 s1, s6, 14
	s_delay_alu instid0(VALU_DEP_1)
	s_and_b32 vcc_lo, exec_lo, s1
	s_mov_b32 s1, -1
	s_cbranch_vccz .LBB151_3169
; %bb.3166:
	v_cmp_eq_u16_e64 s0, s6, 15
	s_delay_alu instid0(VALU_DEP_1)
	s_and_b32 vcc_lo, exec_lo, s0
	s_mov_b32 s0, -1
	s_cbranch_vccz .LBB151_3168
; %bb.3167:
	v_cvt_f32_f64_e32 v2, v[0:1]
	s_mov_b32 s0, 0
	s_delay_alu instid0(VALU_DEP_1) | instskip(SKIP_1) | instid1(VALU_DEP_2)
	v_bfe_u32 v3, v2, 16, 1
	v_cmp_o_f32_e32 vcc_lo, v2, v2
	v_add3_u32 v3, v2, v3, 0x7fff
	s_delay_alu instid0(VALU_DEP_1) | instskip(NEXT) | instid1(VALU_DEP_1)
	v_lshrrev_b32_e32 v3, 16, v3
	v_cndmask_b32_e32 v2, 0x7fc0, v3, vcc_lo
	global_store_b16 v[4:5], v2, off
.LBB151_3168:
	s_mov_b32 s1, 0
.LBB151_3169:
	s_delay_alu instid0(SALU_CYCLE_1)
	s_and_b32 vcc_lo, exec_lo, s1
	s_mov_b32 s1, 0
	s_cbranch_vccz .LBB151_3171
; %bb.3170:
	v_cmp_ne_u16_e64 s0, s6, 11
	s_mov_b32 s1, -1
.LBB151_3171:
	s_delay_alu instid0(VALU_DEP_1)
	s_and_b32 vcc_lo, exec_lo, s0
	s_cbranch_vccnz .LBB151_3177
.LBB151_3172:
	s_mov_b32 s0, 0
	s_branch .LBB151_3050
.LBB151_3173:
	s_or_saveexec_b32 s4, s4
                                        ; implicit-def: $sgpr5
	s_delay_alu instid0(SALU_CYCLE_1)
	s_xor_b32 exec_lo, exec_lo, s4
	s_cbranch_execz .LBB151_3126
.LBB151_3174:
	v_add_f32_e64 v3, 0x46000000, |v2|
	s_and_not1_b32 s3, s3, exec_lo
	s_mov_b32 s5, 0
	s_delay_alu instid0(VALU_DEP_1) | instskip(NEXT) | instid1(VALU_DEP_1)
	v_and_b32_e32 v3, 0xff, v3
	v_cmp_ne_u32_e32 vcc_lo, 0, v3
	s_and_b32 s7, vcc_lo, exec_lo
	s_delay_alu instid0(SALU_CYCLE_1)
	s_or_b32 s3, s3, s7
	s_or_b32 exec_lo, exec_lo, s4
	v_mov_b32_e32 v6, s5
	s_and_saveexec_b32 s4, s3
	s_cbranch_execnz .LBB151_3127
	s_branch .LBB151_3128
.LBB151_3175:
	s_trap 2
	s_sendmsg_rtn_b32 s0, sendmsg(MSG_RTN_GET_DOORBELL)
	s_mov_b32 ttmp2, m0
	s_waitcnt lgkmcnt(0)
	s_and_b32 s0, s0, 0x3ff
	s_delay_alu instid0(SALU_CYCLE_1) | instskip(NEXT) | instid1(SALU_CYCLE_1)
	s_bitset1_b32 s0, 10
	s_mov_b32 m0, s0
	s_sendmsg sendmsg(MSG_INTERRUPT)
	s_mov_b32 m0, ttmp2
.LBB151_3176:                           ; =>This Inner Loop Header: Depth=1
	s_sethalt 5
	s_branch .LBB151_3176
.LBB151_3177:
	s_cbranch_execnz .LBB151_3181
; %bb.3178:
	s_mov_b32 s1, 0
	s_or_b32 s10, s10, exec_lo
	s_branch .LBB151_3172
.LBB151_3179:
	s_or_saveexec_b32 s3, s3
                                        ; implicit-def: $sgpr4
	s_delay_alu instid0(SALU_CYCLE_1)
	s_xor_b32 exec_lo, exec_lo, s3
	s_cbranch_execz .LBB151_3138
.LBB151_3180:
	v_add_f32_e64 v3, 0x42800000, |v2|
	s_and_not1_b32 s2, s2, exec_lo
	s_mov_b32 s4, 0
	s_delay_alu instid0(VALU_DEP_1) | instskip(NEXT) | instid1(VALU_DEP_1)
	v_and_b32_e32 v3, 0xff, v3
	v_cmp_ne_u32_e32 vcc_lo, 0, v3
	s_and_b32 s5, vcc_lo, exec_lo
	s_delay_alu instid0(SALU_CYCLE_1)
	s_or_b32 s2, s2, s5
	s_or_b32 exec_lo, exec_lo, s3
	v_mov_b32_e32 v6, s4
	s_and_saveexec_b32 s3, s2
	s_cbranch_execnz .LBB151_3139
	s_branch .LBB151_3140
.LBB151_3181:
	s_trap 2
	s_sendmsg_rtn_b32 s0, sendmsg(MSG_RTN_GET_DOORBELL)
	s_mov_b32 ttmp2, m0
	s_waitcnt lgkmcnt(0)
	s_and_b32 s0, s0, 0x3ff
	s_delay_alu instid0(SALU_CYCLE_1) | instskip(NEXT) | instid1(SALU_CYCLE_1)
	s_bitset1_b32 s0, 10
	s_mov_b32 m0, s0
	s_sendmsg sendmsg(MSG_INTERRUPT)
	s_mov_b32 m0, ttmp2
.LBB151_3182:                           ; =>This Inner Loop Header: Depth=1
	s_sethalt 5
	s_branch .LBB151_3182
	.section	.rodata,"a",@progbits
	.p2align	6, 0x0
	.amdhsa_kernel _ZN2at6native32elementwise_kernel_manual_unrollILi128ELi4EZNS0_15gpu_kernel_implIZNS0_12_GLOBAL__N_119masked_scale_kernelIhddEEvRNS_6TensorERKS5_S8_T1_EUldhE_EEvRNS_18TensorIteratorBaseERKT_EUlibE0_EEviS9_
		.amdhsa_group_segment_fixed_size 0
		.amdhsa_private_segment_fixed_size 0
		.amdhsa_kernarg_size 440
		.amdhsa_user_sgpr_count 15
		.amdhsa_user_sgpr_dispatch_ptr 0
		.amdhsa_user_sgpr_queue_ptr 0
		.amdhsa_user_sgpr_kernarg_segment_ptr 1
		.amdhsa_user_sgpr_dispatch_id 0
		.amdhsa_user_sgpr_private_segment_size 0
		.amdhsa_wavefront_size32 1
		.amdhsa_uses_dynamic_stack 0
		.amdhsa_enable_private_segment 0
		.amdhsa_system_sgpr_workgroup_id_x 1
		.amdhsa_system_sgpr_workgroup_id_y 0
		.amdhsa_system_sgpr_workgroup_id_z 0
		.amdhsa_system_sgpr_workgroup_info 0
		.amdhsa_system_vgpr_workitem_id 0
		.amdhsa_next_free_vgpr 24
		.amdhsa_next_free_sgpr 62
		.amdhsa_reserve_vcc 1
		.amdhsa_float_round_mode_32 0
		.amdhsa_float_round_mode_16_64 0
		.amdhsa_float_denorm_mode_32 3
		.amdhsa_float_denorm_mode_16_64 3
		.amdhsa_dx10_clamp 1
		.amdhsa_ieee_mode 1
		.amdhsa_fp16_overflow 0
		.amdhsa_workgroup_processor_mode 1
		.amdhsa_memory_ordered 1
		.amdhsa_forward_progress 0
		.amdhsa_shared_vgpr_count 0
		.amdhsa_exception_fp_ieee_invalid_op 0
		.amdhsa_exception_fp_denorm_src 0
		.amdhsa_exception_fp_ieee_div_zero 0
		.amdhsa_exception_fp_ieee_overflow 0
		.amdhsa_exception_fp_ieee_underflow 0
		.amdhsa_exception_fp_ieee_inexact 0
		.amdhsa_exception_int_div_zero 0
	.end_amdhsa_kernel
	.section	.text._ZN2at6native32elementwise_kernel_manual_unrollILi128ELi4EZNS0_15gpu_kernel_implIZNS0_12_GLOBAL__N_119masked_scale_kernelIhddEEvRNS_6TensorERKS5_S8_T1_EUldhE_EEvRNS_18TensorIteratorBaseERKT_EUlibE0_EEviS9_,"axG",@progbits,_ZN2at6native32elementwise_kernel_manual_unrollILi128ELi4EZNS0_15gpu_kernel_implIZNS0_12_GLOBAL__N_119masked_scale_kernelIhddEEvRNS_6TensorERKS5_S8_T1_EUldhE_EEvRNS_18TensorIteratorBaseERKT_EUlibE0_EEviS9_,comdat
.Lfunc_end151:
	.size	_ZN2at6native32elementwise_kernel_manual_unrollILi128ELi4EZNS0_15gpu_kernel_implIZNS0_12_GLOBAL__N_119masked_scale_kernelIhddEEvRNS_6TensorERKS5_S8_T1_EUldhE_EEvRNS_18TensorIteratorBaseERKT_EUlibE0_EEviS9_, .Lfunc_end151-_ZN2at6native32elementwise_kernel_manual_unrollILi128ELi4EZNS0_15gpu_kernel_implIZNS0_12_GLOBAL__N_119masked_scale_kernelIhddEEvRNS_6TensorERKS5_S8_T1_EUldhE_EEvRNS_18TensorIteratorBaseERKT_EUlibE0_EEviS9_
                                        ; -- End function
	.section	.AMDGPU.csdata,"",@progbits
; Kernel info:
; codeLenInByte = 62716
; NumSgprs: 64
; NumVgprs: 24
; ScratchSize: 0
; MemoryBound: 1
; FloatMode: 240
; IeeeMode: 1
; LDSByteSize: 0 bytes/workgroup (compile time only)
; SGPRBlocks: 7
; VGPRBlocks: 2
; NumSGPRsForWavesPerEU: 64
; NumVGPRsForWavesPerEU: 24
; Occupancy: 16
; WaveLimiterHint : 1
; COMPUTE_PGM_RSRC2:SCRATCH_EN: 0
; COMPUTE_PGM_RSRC2:USER_SGPR: 15
; COMPUTE_PGM_RSRC2:TRAP_HANDLER: 0
; COMPUTE_PGM_RSRC2:TGID_X_EN: 1
; COMPUTE_PGM_RSRC2:TGID_Y_EN: 0
; COMPUTE_PGM_RSRC2:TGID_Z_EN: 0
; COMPUTE_PGM_RSRC2:TIDIG_COMP_CNT: 0
	.section	.text._ZN2at6native29vectorized_elementwise_kernelILi16EZNS0_12_GLOBAL__N_119masked_scale_kernelIhffEEvRNS_6TensorERKS4_S7_T1_EUlfhE_St5arrayIPcLm3EEEEviT0_S8_,"axG",@progbits,_ZN2at6native29vectorized_elementwise_kernelILi16EZNS0_12_GLOBAL__N_119masked_scale_kernelIhffEEvRNS_6TensorERKS4_S7_T1_EUlfhE_St5arrayIPcLm3EEEEviT0_S8_,comdat
	.globl	_ZN2at6native29vectorized_elementwise_kernelILi16EZNS0_12_GLOBAL__N_119masked_scale_kernelIhffEEvRNS_6TensorERKS4_S7_T1_EUlfhE_St5arrayIPcLm3EEEEviT0_S8_ ; -- Begin function _ZN2at6native29vectorized_elementwise_kernelILi16EZNS0_12_GLOBAL__N_119masked_scale_kernelIhffEEvRNS_6TensorERKS4_S7_T1_EUlfhE_St5arrayIPcLm3EEEEviT0_S8_
	.p2align	8
	.type	_ZN2at6native29vectorized_elementwise_kernelILi16EZNS0_12_GLOBAL__N_119masked_scale_kernelIhffEEvRNS_6TensorERKS4_S7_T1_EUlfhE_St5arrayIPcLm3EEEEviT0_S8_,@function
_ZN2at6native29vectorized_elementwise_kernelILi16EZNS0_12_GLOBAL__N_119masked_scale_kernelIhffEEvRNS_6TensorERKS4_S7_T1_EUlfhE_St5arrayIPcLm3EEEEviT0_S8_: ; @_ZN2at6native29vectorized_elementwise_kernelILi16EZNS0_12_GLOBAL__N_119masked_scale_kernelIhffEEvRNS_6TensorERKS4_S7_T1_EUlfhE_St5arrayIPcLm3EEEEviT0_S8_
; %bb.0:
	s_clause 0x2
	s_load_b64 s[8:9], s[0:1], 0x0
	s_load_b128 s[4:7], s[0:1], 0x8
	s_load_b64 s[10:11], s[0:1], 0x18
	s_lshl_b32 s2, s15, 10
	s_mov_b32 s0, -1
	s_waitcnt lgkmcnt(0)
	s_sub_i32 s1, s8, s2
	s_delay_alu instid0(SALU_CYCLE_1)
	s_cmpk_gt_i32 s1, 0x3ff
	s_cbranch_scc0 .LBB152_2
; %bb.1:
	s_ashr_i32 s3, s2, 31
	v_lshlrev_b32_e32 v1, 2, v0
	s_lshl_b64 s[12:13], s[2:3], 2
	v_lshlrev_b32_e32 v5, 4, v0
	s_add_u32 s14, s6, s12
	s_addc_u32 s15, s7, s13
	s_add_u32 s16, s10, s2
	s_addc_u32 s17, s11, s3
	s_add_u32 s12, s4, s12
	global_load_b32 v6, v1, s[16:17]
	global_load_b128 v[1:4], v5, s[14:15]
	s_addc_u32 s13, s5, s13
	s_mov_b32 s0, 0
	s_waitcnt vmcnt(1)
	v_cvt_f32_ubyte0_e32 v7, v6
	v_cvt_f32_ubyte1_e32 v8, v6
	v_cvt_f32_ubyte2_e32 v9, v6
	v_cvt_f32_ubyte3_e32 v6, v6
	s_waitcnt vmcnt(0)
	s_delay_alu instid0(VALU_DEP_3) | instskip(NEXT) | instid1(VALU_DEP_2)
	v_dual_mul_f32 v1, v1, v7 :: v_dual_mul_f32 v2, v2, v8
	v_dual_mul_f32 v4, v4, v6 :: v_dual_mul_f32 v3, v3, v9
	s_delay_alu instid0(VALU_DEP_2) | instskip(NEXT) | instid1(VALU_DEP_2)
	v_dual_mul_f32 v1, s9, v1 :: v_dual_mul_f32 v2, s9, v2
	v_dual_mul_f32 v4, s9, v4 :: v_dual_mul_f32 v3, s9, v3
	global_store_b128 v5, v[1:4], s[12:13]
.LBB152_2:
	s_and_not1_b32 vcc_lo, exec_lo, s0
	s_cbranch_vccnz .LBB152_16
; %bb.3:
	v_cmp_gt_i32_e32 vcc_lo, s1, v0
	v_dual_mov_b32 v4, 0 :: v_dual_mov_b32 v5, 0
	v_or_b32_e32 v1, s2, v0
	v_or_b32_e32 v3, 0x100, v0
	v_mov_b32_e32 v2, 0
	v_mov_b32_e32 v6, v0
	s_and_saveexec_b32 s3, vcc_lo
	s_cbranch_execz .LBB152_5
; %bb.4:
	v_mov_b32_e32 v2, 0
	s_delay_alu instid0(VALU_DEP_1) | instskip(NEXT) | instid1(VALU_DEP_1)
	v_lshlrev_b64 v[5:6], 2, v[1:2]
	v_add_co_u32 v5, s0, s6, v5
	s_delay_alu instid0(VALU_DEP_1)
	v_add_co_ci_u32_e64 v6, s0, s7, v6, s0
	global_load_u8 v7, v1, s[10:11]
	global_load_b32 v2, v[5:6], off
	v_or_b32_e32 v6, 0x100, v0
	s_waitcnt vmcnt(1)
	v_cvt_f32_ubyte0_e32 v5, v7
.LBB152_5:
	s_or_b32 exec_lo, exec_lo, s3
	v_mov_b32_e32 v7, 0
	s_mov_b32 s3, exec_lo
	v_cmpx_gt_i32_e64 s1, v6
	s_cbranch_execz .LBB152_7
; %bb.6:
	v_dual_mov_b32 v8, 0 :: v_dual_add_nc_u32 v7, s2, v6
	v_add_nc_u32_e32 v6, 0x100, v6
	global_load_u8 v10, v7, s[10:11]
	v_lshlrev_b64 v[8:9], 2, v[7:8]
	s_delay_alu instid0(VALU_DEP_1) | instskip(NEXT) | instid1(VALU_DEP_1)
	v_add_co_u32 v7, s0, s6, v8
	v_add_co_ci_u32_e64 v8, s0, s7, v9, s0
	global_load_b32 v4, v[7:8], off
	s_waitcnt vmcnt(1)
	v_cvt_f32_ubyte0_e32 v7, v10
.LBB152_7:
	s_or_b32 exec_lo, exec_lo, s3
	v_dual_mov_b32 v8, 0 :: v_dual_mov_b32 v9, 0
	v_mov_b32_e32 v10, 0
	s_mov_b32 s3, exec_lo
	v_cmpx_gt_i32_e64 s1, v6
	s_cbranch_execz .LBB152_9
; %bb.8:
	v_dual_mov_b32 v10, 0 :: v_dual_add_nc_u32 v9, s2, v6
	v_add_nc_u32_e32 v6, 0x100, v6
	global_load_u8 v12, v9, s[10:11]
	v_lshlrev_b64 v[10:11], 2, v[9:10]
	s_delay_alu instid0(VALU_DEP_1) | instskip(NEXT) | instid1(VALU_DEP_1)
	v_add_co_u32 v9, s0, s6, v10
	v_add_co_ci_u32_e64 v10, s0, s7, v11, s0
	global_load_b32 v9, v[9:10], off
	s_waitcnt vmcnt(1)
	v_cvt_f32_ubyte0_e32 v10, v12
.LBB152_9:
	s_or_b32 exec_lo, exec_lo, s3
	s_delay_alu instid0(SALU_CYCLE_1)
	s_mov_b32 s3, exec_lo
	v_cmpx_gt_i32_e64 s1, v6
	s_cbranch_execz .LBB152_11
; %bb.10:
	v_dual_mov_b32 v12, 0 :: v_dual_add_nc_u32 v11, s2, v6
	s_delay_alu instid0(VALU_DEP_1) | instskip(NEXT) | instid1(VALU_DEP_1)
	v_lshlrev_b64 v[12:13], 2, v[11:12]
	v_add_co_u32 v12, s0, s6, v12
	s_delay_alu instid0(VALU_DEP_1)
	v_add_co_ci_u32_e64 v13, s0, s7, v13, s0
	global_load_u8 v6, v11, s[10:11]
	global_load_b32 v8, v[12:13], off
	s_waitcnt vmcnt(1)
	v_cvt_f32_ubyte0_e32 v6, v6
	s_waitcnt vmcnt(0)
	s_delay_alu instid0(VALU_DEP_1)
	v_mul_f32_e32 v8, v8, v6
.LBB152_11:
	s_or_b32 exec_lo, exec_lo, s3
	s_waitcnt vmcnt(0)
	v_dual_mul_f32 v2, v2, v5 :: v_dual_mul_f32 v5, v9, v10
	s_delay_alu instid0(VALU_DEP_1) | instskip(NEXT) | instid1(VALU_DEP_1)
	v_dual_mul_f32 v4, v4, v7 :: v_dual_mul_f32 v7, s9, v2
	v_dual_mul_f32 v5, s9, v5 :: v_dual_mul_f32 v6, s9, v4
	v_mul_f32_e32 v4, s9, v8
	s_and_saveexec_b32 s0, vcc_lo
	s_cbranch_execnz .LBB152_17
; %bb.12:
	s_or_b32 exec_lo, exec_lo, s0
	s_delay_alu instid0(SALU_CYCLE_1)
	s_mov_b32 s0, exec_lo
	v_cmpx_gt_i32_e64 s1, v0
	s_cbranch_execnz .LBB152_18
.LBB152_13:
	s_or_b32 exec_lo, exec_lo, s0
	s_delay_alu instid0(SALU_CYCLE_1)
	s_mov_b32 s0, exec_lo
	v_cmpx_gt_i32_e64 s1, v0
	s_cbranch_execnz .LBB152_19
.LBB152_14:
	s_or_b32 exec_lo, exec_lo, s0
	s_delay_alu instid0(SALU_CYCLE_1)
	s_mov_b32 s0, exec_lo
	v_cmpx_gt_i32_e64 s1, v0
	s_cbranch_execz .LBB152_16
.LBB152_15:
	v_dual_mov_b32 v1, 0 :: v_dual_add_nc_u32 v0, s2, v0
	s_delay_alu instid0(VALU_DEP_1) | instskip(NEXT) | instid1(VALU_DEP_1)
	v_lshlrev_b64 v[0:1], 2, v[0:1]
	v_add_co_u32 v0, vcc_lo, s4, v0
	s_delay_alu instid0(VALU_DEP_2)
	v_add_co_ci_u32_e32 v1, vcc_lo, s5, v1, vcc_lo
	global_store_b32 v[0:1], v4, off
.LBB152_16:
	s_nop 0
	s_sendmsg sendmsg(MSG_DEALLOC_VGPRS)
	s_endpgm
.LBB152_17:
	v_mov_b32_e32 v2, 0
	s_delay_alu instid0(VALU_DEP_1) | instskip(NEXT) | instid1(VALU_DEP_1)
	v_lshlrev_b64 v[0:1], 2, v[1:2]
	v_add_co_u32 v8, vcc_lo, s4, v0
	s_delay_alu instid0(VALU_DEP_2) | instskip(SKIP_3) | instid1(SALU_CYCLE_1)
	v_add_co_ci_u32_e32 v9, vcc_lo, s5, v1, vcc_lo
	v_mov_b32_e32 v0, v3
	global_store_b32 v[8:9], v7, off
	s_or_b32 exec_lo, exec_lo, s0
	s_mov_b32 s0, exec_lo
	v_cmpx_gt_i32_e64 s1, v0
	s_cbranch_execz .LBB152_13
.LBB152_18:
	v_dual_mov_b32 v2, 0 :: v_dual_add_nc_u32 v1, s2, v0
	v_add_nc_u32_e32 v0, 0x100, v0
	s_delay_alu instid0(VALU_DEP_2) | instskip(NEXT) | instid1(VALU_DEP_1)
	v_lshlrev_b64 v[1:2], 2, v[1:2]
	v_add_co_u32 v1, vcc_lo, s4, v1
	s_delay_alu instid0(VALU_DEP_2) | instskip(SKIP_2) | instid1(SALU_CYCLE_1)
	v_add_co_ci_u32_e32 v2, vcc_lo, s5, v2, vcc_lo
	global_store_b32 v[1:2], v6, off
	s_or_b32 exec_lo, exec_lo, s0
	s_mov_b32 s0, exec_lo
	v_cmpx_gt_i32_e64 s1, v0
	s_cbranch_execz .LBB152_14
.LBB152_19:
	v_dual_mov_b32 v2, 0 :: v_dual_add_nc_u32 v1, s2, v0
	v_add_nc_u32_e32 v0, 0x100, v0
	s_delay_alu instid0(VALU_DEP_2) | instskip(NEXT) | instid1(VALU_DEP_1)
	v_lshlrev_b64 v[1:2], 2, v[1:2]
	v_add_co_u32 v1, vcc_lo, s4, v1
	s_delay_alu instid0(VALU_DEP_2) | instskip(SKIP_2) | instid1(SALU_CYCLE_1)
	v_add_co_ci_u32_e32 v2, vcc_lo, s5, v2, vcc_lo
	global_store_b32 v[1:2], v5, off
	s_or_b32 exec_lo, exec_lo, s0
	s_mov_b32 s0, exec_lo
	v_cmpx_gt_i32_e64 s1, v0
	s_cbranch_execnz .LBB152_15
	s_branch .LBB152_16
	.section	.rodata,"a",@progbits
	.p2align	6, 0x0
	.amdhsa_kernel _ZN2at6native29vectorized_elementwise_kernelILi16EZNS0_12_GLOBAL__N_119masked_scale_kernelIhffEEvRNS_6TensorERKS4_S7_T1_EUlfhE_St5arrayIPcLm3EEEEviT0_S8_
		.amdhsa_group_segment_fixed_size 0
		.amdhsa_private_segment_fixed_size 0
		.amdhsa_kernarg_size 32
		.amdhsa_user_sgpr_count 15
		.amdhsa_user_sgpr_dispatch_ptr 0
		.amdhsa_user_sgpr_queue_ptr 0
		.amdhsa_user_sgpr_kernarg_segment_ptr 1
		.amdhsa_user_sgpr_dispatch_id 0
		.amdhsa_user_sgpr_private_segment_size 0
		.amdhsa_wavefront_size32 1
		.amdhsa_uses_dynamic_stack 0
		.amdhsa_enable_private_segment 0
		.amdhsa_system_sgpr_workgroup_id_x 1
		.amdhsa_system_sgpr_workgroup_id_y 0
		.amdhsa_system_sgpr_workgroup_id_z 0
		.amdhsa_system_sgpr_workgroup_info 0
		.amdhsa_system_vgpr_workitem_id 0
		.amdhsa_next_free_vgpr 14
		.amdhsa_next_free_sgpr 18
		.amdhsa_reserve_vcc 1
		.amdhsa_float_round_mode_32 0
		.amdhsa_float_round_mode_16_64 0
		.amdhsa_float_denorm_mode_32 3
		.amdhsa_float_denorm_mode_16_64 3
		.amdhsa_dx10_clamp 1
		.amdhsa_ieee_mode 1
		.amdhsa_fp16_overflow 0
		.amdhsa_workgroup_processor_mode 1
		.amdhsa_memory_ordered 1
		.amdhsa_forward_progress 0
		.amdhsa_shared_vgpr_count 0
		.amdhsa_exception_fp_ieee_invalid_op 0
		.amdhsa_exception_fp_denorm_src 0
		.amdhsa_exception_fp_ieee_div_zero 0
		.amdhsa_exception_fp_ieee_overflow 0
		.amdhsa_exception_fp_ieee_underflow 0
		.amdhsa_exception_fp_ieee_inexact 0
		.amdhsa_exception_int_div_zero 0
	.end_amdhsa_kernel
	.section	.text._ZN2at6native29vectorized_elementwise_kernelILi16EZNS0_12_GLOBAL__N_119masked_scale_kernelIhffEEvRNS_6TensorERKS4_S7_T1_EUlfhE_St5arrayIPcLm3EEEEviT0_S8_,"axG",@progbits,_ZN2at6native29vectorized_elementwise_kernelILi16EZNS0_12_GLOBAL__N_119masked_scale_kernelIhffEEvRNS_6TensorERKS4_S7_T1_EUlfhE_St5arrayIPcLm3EEEEviT0_S8_,comdat
.Lfunc_end152:
	.size	_ZN2at6native29vectorized_elementwise_kernelILi16EZNS0_12_GLOBAL__N_119masked_scale_kernelIhffEEvRNS_6TensorERKS4_S7_T1_EUlfhE_St5arrayIPcLm3EEEEviT0_S8_, .Lfunc_end152-_ZN2at6native29vectorized_elementwise_kernelILi16EZNS0_12_GLOBAL__N_119masked_scale_kernelIhffEEvRNS_6TensorERKS4_S7_T1_EUlfhE_St5arrayIPcLm3EEEEviT0_S8_
                                        ; -- End function
	.section	.AMDGPU.csdata,"",@progbits
; Kernel info:
; codeLenInByte = 984
; NumSgprs: 20
; NumVgprs: 14
; ScratchSize: 0
; MemoryBound: 0
; FloatMode: 240
; IeeeMode: 1
; LDSByteSize: 0 bytes/workgroup (compile time only)
; SGPRBlocks: 2
; VGPRBlocks: 1
; NumSGPRsForWavesPerEU: 20
; NumVGPRsForWavesPerEU: 14
; Occupancy: 16
; WaveLimiterHint : 0
; COMPUTE_PGM_RSRC2:SCRATCH_EN: 0
; COMPUTE_PGM_RSRC2:USER_SGPR: 15
; COMPUTE_PGM_RSRC2:TRAP_HANDLER: 0
; COMPUTE_PGM_RSRC2:TGID_X_EN: 1
; COMPUTE_PGM_RSRC2:TGID_Y_EN: 0
; COMPUTE_PGM_RSRC2:TGID_Z_EN: 0
; COMPUTE_PGM_RSRC2:TIDIG_COMP_CNT: 0
	.section	.text._ZN2at6native29vectorized_elementwise_kernelILi8EZNS0_12_GLOBAL__N_119masked_scale_kernelIhffEEvRNS_6TensorERKS4_S7_T1_EUlfhE_St5arrayIPcLm3EEEEviT0_S8_,"axG",@progbits,_ZN2at6native29vectorized_elementwise_kernelILi8EZNS0_12_GLOBAL__N_119masked_scale_kernelIhffEEvRNS_6TensorERKS4_S7_T1_EUlfhE_St5arrayIPcLm3EEEEviT0_S8_,comdat
	.globl	_ZN2at6native29vectorized_elementwise_kernelILi8EZNS0_12_GLOBAL__N_119masked_scale_kernelIhffEEvRNS_6TensorERKS4_S7_T1_EUlfhE_St5arrayIPcLm3EEEEviT0_S8_ ; -- Begin function _ZN2at6native29vectorized_elementwise_kernelILi8EZNS0_12_GLOBAL__N_119masked_scale_kernelIhffEEvRNS_6TensorERKS4_S7_T1_EUlfhE_St5arrayIPcLm3EEEEviT0_S8_
	.p2align	8
	.type	_ZN2at6native29vectorized_elementwise_kernelILi8EZNS0_12_GLOBAL__N_119masked_scale_kernelIhffEEvRNS_6TensorERKS4_S7_T1_EUlfhE_St5arrayIPcLm3EEEEviT0_S8_,@function
_ZN2at6native29vectorized_elementwise_kernelILi8EZNS0_12_GLOBAL__N_119masked_scale_kernelIhffEEvRNS_6TensorERKS4_S7_T1_EUlfhE_St5arrayIPcLm3EEEEviT0_S8_: ; @_ZN2at6native29vectorized_elementwise_kernelILi8EZNS0_12_GLOBAL__N_119masked_scale_kernelIhffEEvRNS_6TensorERKS4_S7_T1_EUlfhE_St5arrayIPcLm3EEEEviT0_S8_
; %bb.0:
	s_clause 0x2
	s_load_b64 s[8:9], s[0:1], 0x0
	s_load_b128 s[4:7], s[0:1], 0x8
	s_load_b64 s[10:11], s[0:1], 0x18
	s_lshl_b32 s2, s15, 10
	s_mov_b32 s0, -1
	s_waitcnt lgkmcnt(0)
	s_sub_i32 s1, s8, s2
	s_delay_alu instid0(SALU_CYCLE_1)
	s_cmpk_gt_i32 s1, 0x3ff
	s_cbranch_scc0 .LBB153_2
; %bb.1:
	s_ashr_i32 s3, s2, 31
	v_lshlrev_b32_e32 v1, 2, v0
	s_lshl_b64 s[12:13], s[2:3], 2
	v_lshlrev_b32_e32 v5, 4, v0
	s_add_u32 s14, s6, s12
	s_addc_u32 s15, s7, s13
	s_add_u32 s16, s10, s2
	s_addc_u32 s17, s11, s3
	s_add_u32 s12, s4, s12
	global_load_b32 v6, v1, s[16:17]
	global_load_b128 v[1:4], v5, s[14:15]
	s_addc_u32 s13, s5, s13
	s_mov_b32 s0, 0
	s_waitcnt vmcnt(1)
	v_cvt_f32_ubyte0_e32 v7, v6
	v_cvt_f32_ubyte1_e32 v8, v6
	v_cvt_f32_ubyte2_e32 v9, v6
	v_cvt_f32_ubyte3_e32 v6, v6
	s_waitcnt vmcnt(0)
	s_delay_alu instid0(VALU_DEP_3) | instskip(NEXT) | instid1(VALU_DEP_2)
	v_dual_mul_f32 v1, v1, v7 :: v_dual_mul_f32 v2, v2, v8
	v_dual_mul_f32 v4, v4, v6 :: v_dual_mul_f32 v3, v3, v9
	s_delay_alu instid0(VALU_DEP_2) | instskip(NEXT) | instid1(VALU_DEP_2)
	v_dual_mul_f32 v1, s9, v1 :: v_dual_mul_f32 v2, s9, v2
	v_dual_mul_f32 v4, s9, v4 :: v_dual_mul_f32 v3, s9, v3
	global_store_b128 v5, v[1:4], s[12:13]
.LBB153_2:
	s_and_not1_b32 vcc_lo, exec_lo, s0
	s_cbranch_vccnz .LBB153_16
; %bb.3:
	v_cmp_gt_i32_e32 vcc_lo, s1, v0
	v_dual_mov_b32 v4, 0 :: v_dual_mov_b32 v5, 0
	v_or_b32_e32 v1, s2, v0
	v_or_b32_e32 v3, 0x100, v0
	v_mov_b32_e32 v2, 0
	v_mov_b32_e32 v6, v0
	s_and_saveexec_b32 s3, vcc_lo
	s_cbranch_execz .LBB153_5
; %bb.4:
	v_mov_b32_e32 v2, 0
	s_delay_alu instid0(VALU_DEP_1) | instskip(NEXT) | instid1(VALU_DEP_1)
	v_lshlrev_b64 v[5:6], 2, v[1:2]
	v_add_co_u32 v5, s0, s6, v5
	s_delay_alu instid0(VALU_DEP_1)
	v_add_co_ci_u32_e64 v6, s0, s7, v6, s0
	global_load_u8 v7, v1, s[10:11]
	global_load_b32 v2, v[5:6], off
	v_or_b32_e32 v6, 0x100, v0
	s_waitcnt vmcnt(1)
	v_cvt_f32_ubyte0_e32 v5, v7
.LBB153_5:
	s_or_b32 exec_lo, exec_lo, s3
	v_mov_b32_e32 v7, 0
	s_mov_b32 s3, exec_lo
	v_cmpx_gt_i32_e64 s1, v6
	s_cbranch_execz .LBB153_7
; %bb.6:
	v_dual_mov_b32 v8, 0 :: v_dual_add_nc_u32 v7, s2, v6
	v_add_nc_u32_e32 v6, 0x100, v6
	global_load_u8 v10, v7, s[10:11]
	v_lshlrev_b64 v[8:9], 2, v[7:8]
	s_delay_alu instid0(VALU_DEP_1) | instskip(NEXT) | instid1(VALU_DEP_1)
	v_add_co_u32 v7, s0, s6, v8
	v_add_co_ci_u32_e64 v8, s0, s7, v9, s0
	global_load_b32 v4, v[7:8], off
	s_waitcnt vmcnt(1)
	v_cvt_f32_ubyte0_e32 v7, v10
.LBB153_7:
	s_or_b32 exec_lo, exec_lo, s3
	v_dual_mov_b32 v8, 0 :: v_dual_mov_b32 v9, 0
	v_mov_b32_e32 v10, 0
	s_mov_b32 s3, exec_lo
	v_cmpx_gt_i32_e64 s1, v6
	s_cbranch_execz .LBB153_9
; %bb.8:
	v_dual_mov_b32 v10, 0 :: v_dual_add_nc_u32 v9, s2, v6
	v_add_nc_u32_e32 v6, 0x100, v6
	global_load_u8 v12, v9, s[10:11]
	v_lshlrev_b64 v[10:11], 2, v[9:10]
	s_delay_alu instid0(VALU_DEP_1) | instskip(NEXT) | instid1(VALU_DEP_1)
	v_add_co_u32 v9, s0, s6, v10
	v_add_co_ci_u32_e64 v10, s0, s7, v11, s0
	global_load_b32 v9, v[9:10], off
	s_waitcnt vmcnt(1)
	v_cvt_f32_ubyte0_e32 v10, v12
.LBB153_9:
	s_or_b32 exec_lo, exec_lo, s3
	s_delay_alu instid0(SALU_CYCLE_1)
	s_mov_b32 s3, exec_lo
	v_cmpx_gt_i32_e64 s1, v6
	s_cbranch_execz .LBB153_11
; %bb.10:
	v_dual_mov_b32 v12, 0 :: v_dual_add_nc_u32 v11, s2, v6
	s_delay_alu instid0(VALU_DEP_1) | instskip(NEXT) | instid1(VALU_DEP_1)
	v_lshlrev_b64 v[12:13], 2, v[11:12]
	v_add_co_u32 v12, s0, s6, v12
	s_delay_alu instid0(VALU_DEP_1)
	v_add_co_ci_u32_e64 v13, s0, s7, v13, s0
	global_load_u8 v6, v11, s[10:11]
	global_load_b32 v8, v[12:13], off
	s_waitcnt vmcnt(1)
	v_cvt_f32_ubyte0_e32 v6, v6
	s_waitcnt vmcnt(0)
	s_delay_alu instid0(VALU_DEP_1)
	v_mul_f32_e32 v8, v8, v6
.LBB153_11:
	s_or_b32 exec_lo, exec_lo, s3
	s_waitcnt vmcnt(0)
	v_dual_mul_f32 v2, v2, v5 :: v_dual_mul_f32 v5, v9, v10
	s_delay_alu instid0(VALU_DEP_1) | instskip(NEXT) | instid1(VALU_DEP_1)
	v_dual_mul_f32 v4, v4, v7 :: v_dual_mul_f32 v7, s9, v2
	v_dual_mul_f32 v5, s9, v5 :: v_dual_mul_f32 v6, s9, v4
	v_mul_f32_e32 v4, s9, v8
	s_and_saveexec_b32 s0, vcc_lo
	s_cbranch_execnz .LBB153_17
; %bb.12:
	s_or_b32 exec_lo, exec_lo, s0
	s_delay_alu instid0(SALU_CYCLE_1)
	s_mov_b32 s0, exec_lo
	v_cmpx_gt_i32_e64 s1, v0
	s_cbranch_execnz .LBB153_18
.LBB153_13:
	s_or_b32 exec_lo, exec_lo, s0
	s_delay_alu instid0(SALU_CYCLE_1)
	s_mov_b32 s0, exec_lo
	v_cmpx_gt_i32_e64 s1, v0
	s_cbranch_execnz .LBB153_19
.LBB153_14:
	s_or_b32 exec_lo, exec_lo, s0
	s_delay_alu instid0(SALU_CYCLE_1)
	s_mov_b32 s0, exec_lo
	v_cmpx_gt_i32_e64 s1, v0
	s_cbranch_execz .LBB153_16
.LBB153_15:
	v_dual_mov_b32 v1, 0 :: v_dual_add_nc_u32 v0, s2, v0
	s_delay_alu instid0(VALU_DEP_1) | instskip(NEXT) | instid1(VALU_DEP_1)
	v_lshlrev_b64 v[0:1], 2, v[0:1]
	v_add_co_u32 v0, vcc_lo, s4, v0
	s_delay_alu instid0(VALU_DEP_2)
	v_add_co_ci_u32_e32 v1, vcc_lo, s5, v1, vcc_lo
	global_store_b32 v[0:1], v4, off
.LBB153_16:
	s_nop 0
	s_sendmsg sendmsg(MSG_DEALLOC_VGPRS)
	s_endpgm
.LBB153_17:
	v_mov_b32_e32 v2, 0
	s_delay_alu instid0(VALU_DEP_1) | instskip(NEXT) | instid1(VALU_DEP_1)
	v_lshlrev_b64 v[0:1], 2, v[1:2]
	v_add_co_u32 v8, vcc_lo, s4, v0
	s_delay_alu instid0(VALU_DEP_2) | instskip(SKIP_3) | instid1(SALU_CYCLE_1)
	v_add_co_ci_u32_e32 v9, vcc_lo, s5, v1, vcc_lo
	v_mov_b32_e32 v0, v3
	global_store_b32 v[8:9], v7, off
	s_or_b32 exec_lo, exec_lo, s0
	s_mov_b32 s0, exec_lo
	v_cmpx_gt_i32_e64 s1, v0
	s_cbranch_execz .LBB153_13
.LBB153_18:
	v_dual_mov_b32 v2, 0 :: v_dual_add_nc_u32 v1, s2, v0
	v_add_nc_u32_e32 v0, 0x100, v0
	s_delay_alu instid0(VALU_DEP_2) | instskip(NEXT) | instid1(VALU_DEP_1)
	v_lshlrev_b64 v[1:2], 2, v[1:2]
	v_add_co_u32 v1, vcc_lo, s4, v1
	s_delay_alu instid0(VALU_DEP_2) | instskip(SKIP_2) | instid1(SALU_CYCLE_1)
	v_add_co_ci_u32_e32 v2, vcc_lo, s5, v2, vcc_lo
	global_store_b32 v[1:2], v6, off
	s_or_b32 exec_lo, exec_lo, s0
	s_mov_b32 s0, exec_lo
	v_cmpx_gt_i32_e64 s1, v0
	s_cbranch_execz .LBB153_14
.LBB153_19:
	v_dual_mov_b32 v2, 0 :: v_dual_add_nc_u32 v1, s2, v0
	v_add_nc_u32_e32 v0, 0x100, v0
	s_delay_alu instid0(VALU_DEP_2) | instskip(NEXT) | instid1(VALU_DEP_1)
	v_lshlrev_b64 v[1:2], 2, v[1:2]
	v_add_co_u32 v1, vcc_lo, s4, v1
	s_delay_alu instid0(VALU_DEP_2) | instskip(SKIP_2) | instid1(SALU_CYCLE_1)
	v_add_co_ci_u32_e32 v2, vcc_lo, s5, v2, vcc_lo
	global_store_b32 v[1:2], v5, off
	s_or_b32 exec_lo, exec_lo, s0
	s_mov_b32 s0, exec_lo
	v_cmpx_gt_i32_e64 s1, v0
	s_cbranch_execnz .LBB153_15
	s_branch .LBB153_16
	.section	.rodata,"a",@progbits
	.p2align	6, 0x0
	.amdhsa_kernel _ZN2at6native29vectorized_elementwise_kernelILi8EZNS0_12_GLOBAL__N_119masked_scale_kernelIhffEEvRNS_6TensorERKS4_S7_T1_EUlfhE_St5arrayIPcLm3EEEEviT0_S8_
		.amdhsa_group_segment_fixed_size 0
		.amdhsa_private_segment_fixed_size 0
		.amdhsa_kernarg_size 32
		.amdhsa_user_sgpr_count 15
		.amdhsa_user_sgpr_dispatch_ptr 0
		.amdhsa_user_sgpr_queue_ptr 0
		.amdhsa_user_sgpr_kernarg_segment_ptr 1
		.amdhsa_user_sgpr_dispatch_id 0
		.amdhsa_user_sgpr_private_segment_size 0
		.amdhsa_wavefront_size32 1
		.amdhsa_uses_dynamic_stack 0
		.amdhsa_enable_private_segment 0
		.amdhsa_system_sgpr_workgroup_id_x 1
		.amdhsa_system_sgpr_workgroup_id_y 0
		.amdhsa_system_sgpr_workgroup_id_z 0
		.amdhsa_system_sgpr_workgroup_info 0
		.amdhsa_system_vgpr_workitem_id 0
		.amdhsa_next_free_vgpr 14
		.amdhsa_next_free_sgpr 18
		.amdhsa_reserve_vcc 1
		.amdhsa_float_round_mode_32 0
		.amdhsa_float_round_mode_16_64 0
		.amdhsa_float_denorm_mode_32 3
		.amdhsa_float_denorm_mode_16_64 3
		.amdhsa_dx10_clamp 1
		.amdhsa_ieee_mode 1
		.amdhsa_fp16_overflow 0
		.amdhsa_workgroup_processor_mode 1
		.amdhsa_memory_ordered 1
		.amdhsa_forward_progress 0
		.amdhsa_shared_vgpr_count 0
		.amdhsa_exception_fp_ieee_invalid_op 0
		.amdhsa_exception_fp_denorm_src 0
		.amdhsa_exception_fp_ieee_div_zero 0
		.amdhsa_exception_fp_ieee_overflow 0
		.amdhsa_exception_fp_ieee_underflow 0
		.amdhsa_exception_fp_ieee_inexact 0
		.amdhsa_exception_int_div_zero 0
	.end_amdhsa_kernel
	.section	.text._ZN2at6native29vectorized_elementwise_kernelILi8EZNS0_12_GLOBAL__N_119masked_scale_kernelIhffEEvRNS_6TensorERKS4_S7_T1_EUlfhE_St5arrayIPcLm3EEEEviT0_S8_,"axG",@progbits,_ZN2at6native29vectorized_elementwise_kernelILi8EZNS0_12_GLOBAL__N_119masked_scale_kernelIhffEEvRNS_6TensorERKS4_S7_T1_EUlfhE_St5arrayIPcLm3EEEEviT0_S8_,comdat
.Lfunc_end153:
	.size	_ZN2at6native29vectorized_elementwise_kernelILi8EZNS0_12_GLOBAL__N_119masked_scale_kernelIhffEEvRNS_6TensorERKS4_S7_T1_EUlfhE_St5arrayIPcLm3EEEEviT0_S8_, .Lfunc_end153-_ZN2at6native29vectorized_elementwise_kernelILi8EZNS0_12_GLOBAL__N_119masked_scale_kernelIhffEEvRNS_6TensorERKS4_S7_T1_EUlfhE_St5arrayIPcLm3EEEEviT0_S8_
                                        ; -- End function
	.section	.AMDGPU.csdata,"",@progbits
; Kernel info:
; codeLenInByte = 984
; NumSgprs: 20
; NumVgprs: 14
; ScratchSize: 0
; MemoryBound: 0
; FloatMode: 240
; IeeeMode: 1
; LDSByteSize: 0 bytes/workgroup (compile time only)
; SGPRBlocks: 2
; VGPRBlocks: 1
; NumSGPRsForWavesPerEU: 20
; NumVGPRsForWavesPerEU: 14
; Occupancy: 16
; WaveLimiterHint : 0
; COMPUTE_PGM_RSRC2:SCRATCH_EN: 0
; COMPUTE_PGM_RSRC2:USER_SGPR: 15
; COMPUTE_PGM_RSRC2:TRAP_HANDLER: 0
; COMPUTE_PGM_RSRC2:TGID_X_EN: 1
; COMPUTE_PGM_RSRC2:TGID_Y_EN: 0
; COMPUTE_PGM_RSRC2:TGID_Z_EN: 0
; COMPUTE_PGM_RSRC2:TIDIG_COMP_CNT: 0
	.section	.text._ZN2at6native29vectorized_elementwise_kernelILi4EZNS0_12_GLOBAL__N_119masked_scale_kernelIhffEEvRNS_6TensorERKS4_S7_T1_EUlfhE_St5arrayIPcLm3EEEEviT0_S8_,"axG",@progbits,_ZN2at6native29vectorized_elementwise_kernelILi4EZNS0_12_GLOBAL__N_119masked_scale_kernelIhffEEvRNS_6TensorERKS4_S7_T1_EUlfhE_St5arrayIPcLm3EEEEviT0_S8_,comdat
	.globl	_ZN2at6native29vectorized_elementwise_kernelILi4EZNS0_12_GLOBAL__N_119masked_scale_kernelIhffEEvRNS_6TensorERKS4_S7_T1_EUlfhE_St5arrayIPcLm3EEEEviT0_S8_ ; -- Begin function _ZN2at6native29vectorized_elementwise_kernelILi4EZNS0_12_GLOBAL__N_119masked_scale_kernelIhffEEvRNS_6TensorERKS4_S7_T1_EUlfhE_St5arrayIPcLm3EEEEviT0_S8_
	.p2align	8
	.type	_ZN2at6native29vectorized_elementwise_kernelILi4EZNS0_12_GLOBAL__N_119masked_scale_kernelIhffEEvRNS_6TensorERKS4_S7_T1_EUlfhE_St5arrayIPcLm3EEEEviT0_S8_,@function
_ZN2at6native29vectorized_elementwise_kernelILi4EZNS0_12_GLOBAL__N_119masked_scale_kernelIhffEEvRNS_6TensorERKS4_S7_T1_EUlfhE_St5arrayIPcLm3EEEEviT0_S8_: ; @_ZN2at6native29vectorized_elementwise_kernelILi4EZNS0_12_GLOBAL__N_119masked_scale_kernelIhffEEvRNS_6TensorERKS4_S7_T1_EUlfhE_St5arrayIPcLm3EEEEviT0_S8_
; %bb.0:
	s_clause 0x2
	s_load_b64 s[8:9], s[0:1], 0x0
	s_load_b128 s[4:7], s[0:1], 0x8
	s_load_b64 s[10:11], s[0:1], 0x18
	s_lshl_b32 s2, s15, 10
	s_mov_b32 s0, -1
	s_waitcnt lgkmcnt(0)
	s_sub_i32 s1, s8, s2
	s_delay_alu instid0(SALU_CYCLE_1)
	s_cmpk_gt_i32 s1, 0x3ff
	s_cbranch_scc0 .LBB154_2
; %bb.1:
	s_ashr_i32 s3, s2, 31
	v_lshlrev_b32_e32 v1, 2, v0
	s_lshl_b64 s[12:13], s[2:3], 2
	v_lshlrev_b32_e32 v5, 4, v0
	s_add_u32 s14, s6, s12
	s_addc_u32 s15, s7, s13
	s_add_u32 s16, s10, s2
	s_addc_u32 s17, s11, s3
	s_add_u32 s12, s4, s12
	global_load_b32 v6, v1, s[16:17]
	global_load_b128 v[1:4], v5, s[14:15]
	s_addc_u32 s13, s5, s13
	s_mov_b32 s0, 0
	s_waitcnt vmcnt(1)
	v_cvt_f32_ubyte0_e32 v7, v6
	v_cvt_f32_ubyte1_e32 v8, v6
	v_cvt_f32_ubyte2_e32 v9, v6
	v_cvt_f32_ubyte3_e32 v6, v6
	s_waitcnt vmcnt(0)
	s_delay_alu instid0(VALU_DEP_3) | instskip(NEXT) | instid1(VALU_DEP_2)
	v_dual_mul_f32 v1, v1, v7 :: v_dual_mul_f32 v2, v2, v8
	v_dual_mul_f32 v4, v4, v6 :: v_dual_mul_f32 v3, v3, v9
	s_delay_alu instid0(VALU_DEP_2) | instskip(NEXT) | instid1(VALU_DEP_2)
	v_dual_mul_f32 v1, s9, v1 :: v_dual_mul_f32 v2, s9, v2
	v_dual_mul_f32 v4, s9, v4 :: v_dual_mul_f32 v3, s9, v3
	global_store_b128 v5, v[1:4], s[12:13]
.LBB154_2:
	s_and_not1_b32 vcc_lo, exec_lo, s0
	s_cbranch_vccnz .LBB154_16
; %bb.3:
	v_cmp_gt_i32_e32 vcc_lo, s1, v0
	v_dual_mov_b32 v4, 0 :: v_dual_mov_b32 v5, 0
	v_or_b32_e32 v1, s2, v0
	v_or_b32_e32 v3, 0x100, v0
	v_mov_b32_e32 v2, 0
	v_mov_b32_e32 v6, v0
	s_and_saveexec_b32 s3, vcc_lo
	s_cbranch_execz .LBB154_5
; %bb.4:
	v_mov_b32_e32 v2, 0
	s_delay_alu instid0(VALU_DEP_1) | instskip(NEXT) | instid1(VALU_DEP_1)
	v_lshlrev_b64 v[5:6], 2, v[1:2]
	v_add_co_u32 v5, s0, s6, v5
	s_delay_alu instid0(VALU_DEP_1)
	v_add_co_ci_u32_e64 v6, s0, s7, v6, s0
	global_load_u8 v7, v1, s[10:11]
	global_load_b32 v2, v[5:6], off
	v_or_b32_e32 v6, 0x100, v0
	s_waitcnt vmcnt(1)
	v_cvt_f32_ubyte0_e32 v5, v7
.LBB154_5:
	s_or_b32 exec_lo, exec_lo, s3
	v_mov_b32_e32 v7, 0
	s_mov_b32 s3, exec_lo
	v_cmpx_gt_i32_e64 s1, v6
	s_cbranch_execz .LBB154_7
; %bb.6:
	v_dual_mov_b32 v8, 0 :: v_dual_add_nc_u32 v7, s2, v6
	v_add_nc_u32_e32 v6, 0x100, v6
	global_load_u8 v10, v7, s[10:11]
	v_lshlrev_b64 v[8:9], 2, v[7:8]
	s_delay_alu instid0(VALU_DEP_1) | instskip(NEXT) | instid1(VALU_DEP_1)
	v_add_co_u32 v7, s0, s6, v8
	v_add_co_ci_u32_e64 v8, s0, s7, v9, s0
	global_load_b32 v4, v[7:8], off
	s_waitcnt vmcnt(1)
	v_cvt_f32_ubyte0_e32 v7, v10
.LBB154_7:
	s_or_b32 exec_lo, exec_lo, s3
	v_dual_mov_b32 v8, 0 :: v_dual_mov_b32 v9, 0
	v_mov_b32_e32 v10, 0
	s_mov_b32 s3, exec_lo
	v_cmpx_gt_i32_e64 s1, v6
	s_cbranch_execz .LBB154_9
; %bb.8:
	v_dual_mov_b32 v10, 0 :: v_dual_add_nc_u32 v9, s2, v6
	v_add_nc_u32_e32 v6, 0x100, v6
	global_load_u8 v12, v9, s[10:11]
	v_lshlrev_b64 v[10:11], 2, v[9:10]
	s_delay_alu instid0(VALU_DEP_1) | instskip(NEXT) | instid1(VALU_DEP_1)
	v_add_co_u32 v9, s0, s6, v10
	v_add_co_ci_u32_e64 v10, s0, s7, v11, s0
	global_load_b32 v9, v[9:10], off
	s_waitcnt vmcnt(1)
	v_cvt_f32_ubyte0_e32 v10, v12
.LBB154_9:
	s_or_b32 exec_lo, exec_lo, s3
	s_delay_alu instid0(SALU_CYCLE_1)
	s_mov_b32 s3, exec_lo
	v_cmpx_gt_i32_e64 s1, v6
	s_cbranch_execz .LBB154_11
; %bb.10:
	v_dual_mov_b32 v12, 0 :: v_dual_add_nc_u32 v11, s2, v6
	s_delay_alu instid0(VALU_DEP_1) | instskip(NEXT) | instid1(VALU_DEP_1)
	v_lshlrev_b64 v[12:13], 2, v[11:12]
	v_add_co_u32 v12, s0, s6, v12
	s_delay_alu instid0(VALU_DEP_1)
	v_add_co_ci_u32_e64 v13, s0, s7, v13, s0
	global_load_u8 v6, v11, s[10:11]
	global_load_b32 v8, v[12:13], off
	s_waitcnt vmcnt(1)
	v_cvt_f32_ubyte0_e32 v6, v6
	s_waitcnt vmcnt(0)
	s_delay_alu instid0(VALU_DEP_1)
	v_mul_f32_e32 v8, v8, v6
.LBB154_11:
	s_or_b32 exec_lo, exec_lo, s3
	s_waitcnt vmcnt(0)
	v_dual_mul_f32 v2, v2, v5 :: v_dual_mul_f32 v5, v9, v10
	s_delay_alu instid0(VALU_DEP_1) | instskip(NEXT) | instid1(VALU_DEP_1)
	v_dual_mul_f32 v4, v4, v7 :: v_dual_mul_f32 v7, s9, v2
	v_dual_mul_f32 v5, s9, v5 :: v_dual_mul_f32 v6, s9, v4
	v_mul_f32_e32 v4, s9, v8
	s_and_saveexec_b32 s0, vcc_lo
	s_cbranch_execnz .LBB154_17
; %bb.12:
	s_or_b32 exec_lo, exec_lo, s0
	s_delay_alu instid0(SALU_CYCLE_1)
	s_mov_b32 s0, exec_lo
	v_cmpx_gt_i32_e64 s1, v0
	s_cbranch_execnz .LBB154_18
.LBB154_13:
	s_or_b32 exec_lo, exec_lo, s0
	s_delay_alu instid0(SALU_CYCLE_1)
	s_mov_b32 s0, exec_lo
	v_cmpx_gt_i32_e64 s1, v0
	s_cbranch_execnz .LBB154_19
.LBB154_14:
	s_or_b32 exec_lo, exec_lo, s0
	s_delay_alu instid0(SALU_CYCLE_1)
	s_mov_b32 s0, exec_lo
	v_cmpx_gt_i32_e64 s1, v0
	s_cbranch_execz .LBB154_16
.LBB154_15:
	v_dual_mov_b32 v1, 0 :: v_dual_add_nc_u32 v0, s2, v0
	s_delay_alu instid0(VALU_DEP_1) | instskip(NEXT) | instid1(VALU_DEP_1)
	v_lshlrev_b64 v[0:1], 2, v[0:1]
	v_add_co_u32 v0, vcc_lo, s4, v0
	s_delay_alu instid0(VALU_DEP_2)
	v_add_co_ci_u32_e32 v1, vcc_lo, s5, v1, vcc_lo
	global_store_b32 v[0:1], v4, off
.LBB154_16:
	s_nop 0
	s_sendmsg sendmsg(MSG_DEALLOC_VGPRS)
	s_endpgm
.LBB154_17:
	v_mov_b32_e32 v2, 0
	s_delay_alu instid0(VALU_DEP_1) | instskip(NEXT) | instid1(VALU_DEP_1)
	v_lshlrev_b64 v[0:1], 2, v[1:2]
	v_add_co_u32 v8, vcc_lo, s4, v0
	s_delay_alu instid0(VALU_DEP_2) | instskip(SKIP_3) | instid1(SALU_CYCLE_1)
	v_add_co_ci_u32_e32 v9, vcc_lo, s5, v1, vcc_lo
	v_mov_b32_e32 v0, v3
	global_store_b32 v[8:9], v7, off
	s_or_b32 exec_lo, exec_lo, s0
	s_mov_b32 s0, exec_lo
	v_cmpx_gt_i32_e64 s1, v0
	s_cbranch_execz .LBB154_13
.LBB154_18:
	v_dual_mov_b32 v2, 0 :: v_dual_add_nc_u32 v1, s2, v0
	v_add_nc_u32_e32 v0, 0x100, v0
	s_delay_alu instid0(VALU_DEP_2) | instskip(NEXT) | instid1(VALU_DEP_1)
	v_lshlrev_b64 v[1:2], 2, v[1:2]
	v_add_co_u32 v1, vcc_lo, s4, v1
	s_delay_alu instid0(VALU_DEP_2) | instskip(SKIP_2) | instid1(SALU_CYCLE_1)
	v_add_co_ci_u32_e32 v2, vcc_lo, s5, v2, vcc_lo
	global_store_b32 v[1:2], v6, off
	s_or_b32 exec_lo, exec_lo, s0
	s_mov_b32 s0, exec_lo
	v_cmpx_gt_i32_e64 s1, v0
	s_cbranch_execz .LBB154_14
.LBB154_19:
	v_dual_mov_b32 v2, 0 :: v_dual_add_nc_u32 v1, s2, v0
	v_add_nc_u32_e32 v0, 0x100, v0
	s_delay_alu instid0(VALU_DEP_2) | instskip(NEXT) | instid1(VALU_DEP_1)
	v_lshlrev_b64 v[1:2], 2, v[1:2]
	v_add_co_u32 v1, vcc_lo, s4, v1
	s_delay_alu instid0(VALU_DEP_2) | instskip(SKIP_2) | instid1(SALU_CYCLE_1)
	v_add_co_ci_u32_e32 v2, vcc_lo, s5, v2, vcc_lo
	global_store_b32 v[1:2], v5, off
	s_or_b32 exec_lo, exec_lo, s0
	s_mov_b32 s0, exec_lo
	v_cmpx_gt_i32_e64 s1, v0
	s_cbranch_execnz .LBB154_15
	s_branch .LBB154_16
	.section	.rodata,"a",@progbits
	.p2align	6, 0x0
	.amdhsa_kernel _ZN2at6native29vectorized_elementwise_kernelILi4EZNS0_12_GLOBAL__N_119masked_scale_kernelIhffEEvRNS_6TensorERKS4_S7_T1_EUlfhE_St5arrayIPcLm3EEEEviT0_S8_
		.amdhsa_group_segment_fixed_size 0
		.amdhsa_private_segment_fixed_size 0
		.amdhsa_kernarg_size 32
		.amdhsa_user_sgpr_count 15
		.amdhsa_user_sgpr_dispatch_ptr 0
		.amdhsa_user_sgpr_queue_ptr 0
		.amdhsa_user_sgpr_kernarg_segment_ptr 1
		.amdhsa_user_sgpr_dispatch_id 0
		.amdhsa_user_sgpr_private_segment_size 0
		.amdhsa_wavefront_size32 1
		.amdhsa_uses_dynamic_stack 0
		.amdhsa_enable_private_segment 0
		.amdhsa_system_sgpr_workgroup_id_x 1
		.amdhsa_system_sgpr_workgroup_id_y 0
		.amdhsa_system_sgpr_workgroup_id_z 0
		.amdhsa_system_sgpr_workgroup_info 0
		.amdhsa_system_vgpr_workitem_id 0
		.amdhsa_next_free_vgpr 14
		.amdhsa_next_free_sgpr 18
		.amdhsa_reserve_vcc 1
		.amdhsa_float_round_mode_32 0
		.amdhsa_float_round_mode_16_64 0
		.amdhsa_float_denorm_mode_32 3
		.amdhsa_float_denorm_mode_16_64 3
		.amdhsa_dx10_clamp 1
		.amdhsa_ieee_mode 1
		.amdhsa_fp16_overflow 0
		.amdhsa_workgroup_processor_mode 1
		.amdhsa_memory_ordered 1
		.amdhsa_forward_progress 0
		.amdhsa_shared_vgpr_count 0
		.amdhsa_exception_fp_ieee_invalid_op 0
		.amdhsa_exception_fp_denorm_src 0
		.amdhsa_exception_fp_ieee_div_zero 0
		.amdhsa_exception_fp_ieee_overflow 0
		.amdhsa_exception_fp_ieee_underflow 0
		.amdhsa_exception_fp_ieee_inexact 0
		.amdhsa_exception_int_div_zero 0
	.end_amdhsa_kernel
	.section	.text._ZN2at6native29vectorized_elementwise_kernelILi4EZNS0_12_GLOBAL__N_119masked_scale_kernelIhffEEvRNS_6TensorERKS4_S7_T1_EUlfhE_St5arrayIPcLm3EEEEviT0_S8_,"axG",@progbits,_ZN2at6native29vectorized_elementwise_kernelILi4EZNS0_12_GLOBAL__N_119masked_scale_kernelIhffEEvRNS_6TensorERKS4_S7_T1_EUlfhE_St5arrayIPcLm3EEEEviT0_S8_,comdat
.Lfunc_end154:
	.size	_ZN2at6native29vectorized_elementwise_kernelILi4EZNS0_12_GLOBAL__N_119masked_scale_kernelIhffEEvRNS_6TensorERKS4_S7_T1_EUlfhE_St5arrayIPcLm3EEEEviT0_S8_, .Lfunc_end154-_ZN2at6native29vectorized_elementwise_kernelILi4EZNS0_12_GLOBAL__N_119masked_scale_kernelIhffEEvRNS_6TensorERKS4_S7_T1_EUlfhE_St5arrayIPcLm3EEEEviT0_S8_
                                        ; -- End function
	.section	.AMDGPU.csdata,"",@progbits
; Kernel info:
; codeLenInByte = 984
; NumSgprs: 20
; NumVgprs: 14
; ScratchSize: 0
; MemoryBound: 0
; FloatMode: 240
; IeeeMode: 1
; LDSByteSize: 0 bytes/workgroup (compile time only)
; SGPRBlocks: 2
; VGPRBlocks: 1
; NumSGPRsForWavesPerEU: 20
; NumVGPRsForWavesPerEU: 14
; Occupancy: 16
; WaveLimiterHint : 0
; COMPUTE_PGM_RSRC2:SCRATCH_EN: 0
; COMPUTE_PGM_RSRC2:USER_SGPR: 15
; COMPUTE_PGM_RSRC2:TRAP_HANDLER: 0
; COMPUTE_PGM_RSRC2:TGID_X_EN: 1
; COMPUTE_PGM_RSRC2:TGID_Y_EN: 0
; COMPUTE_PGM_RSRC2:TGID_Z_EN: 0
; COMPUTE_PGM_RSRC2:TIDIG_COMP_CNT: 0
	.section	.text._ZN2at6native29vectorized_elementwise_kernelILi2EZNS0_12_GLOBAL__N_119masked_scale_kernelIhffEEvRNS_6TensorERKS4_S7_T1_EUlfhE_St5arrayIPcLm3EEEEviT0_S8_,"axG",@progbits,_ZN2at6native29vectorized_elementwise_kernelILi2EZNS0_12_GLOBAL__N_119masked_scale_kernelIhffEEvRNS_6TensorERKS4_S7_T1_EUlfhE_St5arrayIPcLm3EEEEviT0_S8_,comdat
	.globl	_ZN2at6native29vectorized_elementwise_kernelILi2EZNS0_12_GLOBAL__N_119masked_scale_kernelIhffEEvRNS_6TensorERKS4_S7_T1_EUlfhE_St5arrayIPcLm3EEEEviT0_S8_ ; -- Begin function _ZN2at6native29vectorized_elementwise_kernelILi2EZNS0_12_GLOBAL__N_119masked_scale_kernelIhffEEvRNS_6TensorERKS4_S7_T1_EUlfhE_St5arrayIPcLm3EEEEviT0_S8_
	.p2align	8
	.type	_ZN2at6native29vectorized_elementwise_kernelILi2EZNS0_12_GLOBAL__N_119masked_scale_kernelIhffEEvRNS_6TensorERKS4_S7_T1_EUlfhE_St5arrayIPcLm3EEEEviT0_S8_,@function
_ZN2at6native29vectorized_elementwise_kernelILi2EZNS0_12_GLOBAL__N_119masked_scale_kernelIhffEEvRNS_6TensorERKS4_S7_T1_EUlfhE_St5arrayIPcLm3EEEEviT0_S8_: ; @_ZN2at6native29vectorized_elementwise_kernelILi2EZNS0_12_GLOBAL__N_119masked_scale_kernelIhffEEvRNS_6TensorERKS4_S7_T1_EUlfhE_St5arrayIPcLm3EEEEviT0_S8_
; %bb.0:
	s_clause 0x2
	s_load_b64 s[8:9], s[0:1], 0x0
	s_load_b128 s[4:7], s[0:1], 0x8
	s_load_b64 s[10:11], s[0:1], 0x18
	s_lshl_b32 s2, s15, 10
	s_mov_b32 s0, -1
	s_waitcnt lgkmcnt(0)
	s_sub_i32 s1, s8, s2
	s_delay_alu instid0(SALU_CYCLE_1)
	s_cmpk_gt_i32 s1, 0x3ff
	s_cbranch_scc0 .LBB155_2
; %bb.1:
	s_ashr_i32 s3, s2, 31
	v_lshlrev_b32_e32 v1, 1, v0
	s_lshl_b64 s[12:13], s[2:3], 2
	v_lshlrev_b32_e32 v5, 3, v0
	s_add_u32 s14, s6, s12
	s_addc_u32 s15, s7, s13
	s_add_u32 s16, s10, s2
	s_addc_u32 s17, s11, s3
	s_add_u32 s12, s4, s12
	s_clause 0x1
	global_load_u16 v6, v1, s[16:17]
	global_load_u16 v7, v1, s[16:17] offset:512
	s_clause 0x1
	global_load_b64 v[1:2], v5, s[14:15]
	global_load_b64 v[3:4], v5, s[14:15] offset:2048
	s_addc_u32 s13, s5, s13
	s_mov_b32 s0, 0
	s_waitcnt vmcnt(3)
	v_cvt_f32_ubyte0_e32 v8, v6
	v_cvt_f32_ubyte1_e32 v6, v6
	s_waitcnt vmcnt(2)
	v_cvt_f32_ubyte0_e32 v9, v7
	v_cvt_f32_ubyte1_e32 v7, v7
	s_waitcnt vmcnt(1)
	v_dual_mul_f32 v2, v2, v6 :: v_dual_mul_f32 v1, v1, v8
	s_waitcnt vmcnt(0)
	s_delay_alu instid0(VALU_DEP_2) | instskip(NEXT) | instid1(VALU_DEP_2)
	v_dual_mul_f32 v4, v4, v7 :: v_dual_mul_f32 v3, v3, v9
	v_dual_mul_f32 v2, s9, v2 :: v_dual_mul_f32 v1, s9, v1
	s_delay_alu instid0(VALU_DEP_2)
	v_dual_mul_f32 v4, s9, v4 :: v_dual_mul_f32 v3, s9, v3
	s_clause 0x1
	global_store_b64 v5, v[1:2], s[12:13]
	global_store_b64 v5, v[3:4], s[12:13] offset:2048
.LBB155_2:
	s_and_not1_b32 vcc_lo, exec_lo, s0
	s_cbranch_vccnz .LBB155_16
; %bb.3:
	v_cmp_gt_i32_e32 vcc_lo, s1, v0
	v_dual_mov_b32 v4, 0 :: v_dual_mov_b32 v5, 0
	v_or_b32_e32 v1, s2, v0
	v_or_b32_e32 v3, 0x100, v0
	v_mov_b32_e32 v2, 0
	v_mov_b32_e32 v6, v0
	s_and_saveexec_b32 s3, vcc_lo
	s_cbranch_execz .LBB155_5
; %bb.4:
	v_mov_b32_e32 v2, 0
	s_delay_alu instid0(VALU_DEP_1) | instskip(NEXT) | instid1(VALU_DEP_1)
	v_lshlrev_b64 v[5:6], 2, v[1:2]
	v_add_co_u32 v5, s0, s6, v5
	s_delay_alu instid0(VALU_DEP_1)
	v_add_co_ci_u32_e64 v6, s0, s7, v6, s0
	global_load_u8 v7, v1, s[10:11]
	global_load_b32 v2, v[5:6], off
	v_or_b32_e32 v6, 0x100, v0
	s_waitcnt vmcnt(1)
	v_cvt_f32_ubyte0_e32 v5, v7
.LBB155_5:
	s_or_b32 exec_lo, exec_lo, s3
	v_mov_b32_e32 v7, 0
	s_mov_b32 s3, exec_lo
	v_cmpx_gt_i32_e64 s1, v6
	s_cbranch_execz .LBB155_7
; %bb.6:
	v_dual_mov_b32 v8, 0 :: v_dual_add_nc_u32 v7, s2, v6
	v_add_nc_u32_e32 v6, 0x100, v6
	global_load_u8 v10, v7, s[10:11]
	v_lshlrev_b64 v[8:9], 2, v[7:8]
	s_delay_alu instid0(VALU_DEP_1) | instskip(NEXT) | instid1(VALU_DEP_1)
	v_add_co_u32 v7, s0, s6, v8
	v_add_co_ci_u32_e64 v8, s0, s7, v9, s0
	global_load_b32 v4, v[7:8], off
	s_waitcnt vmcnt(1)
	v_cvt_f32_ubyte0_e32 v7, v10
.LBB155_7:
	s_or_b32 exec_lo, exec_lo, s3
	v_dual_mov_b32 v8, 0 :: v_dual_mov_b32 v9, 0
	v_mov_b32_e32 v10, 0
	s_mov_b32 s3, exec_lo
	v_cmpx_gt_i32_e64 s1, v6
	s_cbranch_execz .LBB155_9
; %bb.8:
	v_dual_mov_b32 v10, 0 :: v_dual_add_nc_u32 v9, s2, v6
	v_add_nc_u32_e32 v6, 0x100, v6
	global_load_u8 v12, v9, s[10:11]
	v_lshlrev_b64 v[10:11], 2, v[9:10]
	s_delay_alu instid0(VALU_DEP_1) | instskip(NEXT) | instid1(VALU_DEP_1)
	v_add_co_u32 v9, s0, s6, v10
	v_add_co_ci_u32_e64 v10, s0, s7, v11, s0
	global_load_b32 v9, v[9:10], off
	s_waitcnt vmcnt(1)
	v_cvt_f32_ubyte0_e32 v10, v12
.LBB155_9:
	s_or_b32 exec_lo, exec_lo, s3
	s_delay_alu instid0(SALU_CYCLE_1)
	s_mov_b32 s3, exec_lo
	v_cmpx_gt_i32_e64 s1, v6
	s_cbranch_execz .LBB155_11
; %bb.10:
	v_dual_mov_b32 v12, 0 :: v_dual_add_nc_u32 v11, s2, v6
	s_delay_alu instid0(VALU_DEP_1) | instskip(NEXT) | instid1(VALU_DEP_1)
	v_lshlrev_b64 v[12:13], 2, v[11:12]
	v_add_co_u32 v12, s0, s6, v12
	s_delay_alu instid0(VALU_DEP_1)
	v_add_co_ci_u32_e64 v13, s0, s7, v13, s0
	global_load_u8 v6, v11, s[10:11]
	global_load_b32 v8, v[12:13], off
	s_waitcnt vmcnt(1)
	v_cvt_f32_ubyte0_e32 v6, v6
	s_waitcnt vmcnt(0)
	s_delay_alu instid0(VALU_DEP_1)
	v_mul_f32_e32 v8, v8, v6
.LBB155_11:
	s_or_b32 exec_lo, exec_lo, s3
	s_waitcnt vmcnt(0)
	v_dual_mul_f32 v2, v2, v5 :: v_dual_mul_f32 v5, v9, v10
	s_delay_alu instid0(VALU_DEP_1) | instskip(NEXT) | instid1(VALU_DEP_1)
	v_dual_mul_f32 v4, v4, v7 :: v_dual_mul_f32 v7, s9, v2
	v_dual_mul_f32 v5, s9, v5 :: v_dual_mul_f32 v6, s9, v4
	v_mul_f32_e32 v4, s9, v8
	s_and_saveexec_b32 s0, vcc_lo
	s_cbranch_execnz .LBB155_17
; %bb.12:
	s_or_b32 exec_lo, exec_lo, s0
	s_delay_alu instid0(SALU_CYCLE_1)
	s_mov_b32 s0, exec_lo
	v_cmpx_gt_i32_e64 s1, v0
	s_cbranch_execnz .LBB155_18
.LBB155_13:
	s_or_b32 exec_lo, exec_lo, s0
	s_delay_alu instid0(SALU_CYCLE_1)
	s_mov_b32 s0, exec_lo
	v_cmpx_gt_i32_e64 s1, v0
	s_cbranch_execnz .LBB155_19
.LBB155_14:
	s_or_b32 exec_lo, exec_lo, s0
	s_delay_alu instid0(SALU_CYCLE_1)
	s_mov_b32 s0, exec_lo
	v_cmpx_gt_i32_e64 s1, v0
	s_cbranch_execz .LBB155_16
.LBB155_15:
	v_dual_mov_b32 v1, 0 :: v_dual_add_nc_u32 v0, s2, v0
	s_delay_alu instid0(VALU_DEP_1) | instskip(NEXT) | instid1(VALU_DEP_1)
	v_lshlrev_b64 v[0:1], 2, v[0:1]
	v_add_co_u32 v0, vcc_lo, s4, v0
	s_delay_alu instid0(VALU_DEP_2)
	v_add_co_ci_u32_e32 v1, vcc_lo, s5, v1, vcc_lo
	global_store_b32 v[0:1], v4, off
.LBB155_16:
	s_nop 0
	s_sendmsg sendmsg(MSG_DEALLOC_VGPRS)
	s_endpgm
.LBB155_17:
	v_mov_b32_e32 v2, 0
	s_delay_alu instid0(VALU_DEP_1) | instskip(NEXT) | instid1(VALU_DEP_1)
	v_lshlrev_b64 v[0:1], 2, v[1:2]
	v_add_co_u32 v8, vcc_lo, s4, v0
	s_delay_alu instid0(VALU_DEP_2) | instskip(SKIP_3) | instid1(SALU_CYCLE_1)
	v_add_co_ci_u32_e32 v9, vcc_lo, s5, v1, vcc_lo
	v_mov_b32_e32 v0, v3
	global_store_b32 v[8:9], v7, off
	s_or_b32 exec_lo, exec_lo, s0
	s_mov_b32 s0, exec_lo
	v_cmpx_gt_i32_e64 s1, v0
	s_cbranch_execz .LBB155_13
.LBB155_18:
	v_dual_mov_b32 v2, 0 :: v_dual_add_nc_u32 v1, s2, v0
	v_add_nc_u32_e32 v0, 0x100, v0
	s_delay_alu instid0(VALU_DEP_2) | instskip(NEXT) | instid1(VALU_DEP_1)
	v_lshlrev_b64 v[1:2], 2, v[1:2]
	v_add_co_u32 v1, vcc_lo, s4, v1
	s_delay_alu instid0(VALU_DEP_2) | instskip(SKIP_2) | instid1(SALU_CYCLE_1)
	v_add_co_ci_u32_e32 v2, vcc_lo, s5, v2, vcc_lo
	global_store_b32 v[1:2], v6, off
	s_or_b32 exec_lo, exec_lo, s0
	s_mov_b32 s0, exec_lo
	v_cmpx_gt_i32_e64 s1, v0
	s_cbranch_execz .LBB155_14
.LBB155_19:
	v_dual_mov_b32 v2, 0 :: v_dual_add_nc_u32 v1, s2, v0
	v_add_nc_u32_e32 v0, 0x100, v0
	s_delay_alu instid0(VALU_DEP_2) | instskip(NEXT) | instid1(VALU_DEP_1)
	v_lshlrev_b64 v[1:2], 2, v[1:2]
	v_add_co_u32 v1, vcc_lo, s4, v1
	s_delay_alu instid0(VALU_DEP_2) | instskip(SKIP_2) | instid1(SALU_CYCLE_1)
	v_add_co_ci_u32_e32 v2, vcc_lo, s5, v2, vcc_lo
	global_store_b32 v[1:2], v5, off
	s_or_b32 exec_lo, exec_lo, s0
	s_mov_b32 s0, exec_lo
	v_cmpx_gt_i32_e64 s1, v0
	s_cbranch_execnz .LBB155_15
	s_branch .LBB155_16
	.section	.rodata,"a",@progbits
	.p2align	6, 0x0
	.amdhsa_kernel _ZN2at6native29vectorized_elementwise_kernelILi2EZNS0_12_GLOBAL__N_119masked_scale_kernelIhffEEvRNS_6TensorERKS4_S7_T1_EUlfhE_St5arrayIPcLm3EEEEviT0_S8_
		.amdhsa_group_segment_fixed_size 0
		.amdhsa_private_segment_fixed_size 0
		.amdhsa_kernarg_size 32
		.amdhsa_user_sgpr_count 15
		.amdhsa_user_sgpr_dispatch_ptr 0
		.amdhsa_user_sgpr_queue_ptr 0
		.amdhsa_user_sgpr_kernarg_segment_ptr 1
		.amdhsa_user_sgpr_dispatch_id 0
		.amdhsa_user_sgpr_private_segment_size 0
		.amdhsa_wavefront_size32 1
		.amdhsa_uses_dynamic_stack 0
		.amdhsa_enable_private_segment 0
		.amdhsa_system_sgpr_workgroup_id_x 1
		.amdhsa_system_sgpr_workgroup_id_y 0
		.amdhsa_system_sgpr_workgroup_id_z 0
		.amdhsa_system_sgpr_workgroup_info 0
		.amdhsa_system_vgpr_workitem_id 0
		.amdhsa_next_free_vgpr 14
		.amdhsa_next_free_sgpr 18
		.amdhsa_reserve_vcc 1
		.amdhsa_float_round_mode_32 0
		.amdhsa_float_round_mode_16_64 0
		.amdhsa_float_denorm_mode_32 3
		.amdhsa_float_denorm_mode_16_64 3
		.amdhsa_dx10_clamp 1
		.amdhsa_ieee_mode 1
		.amdhsa_fp16_overflow 0
		.amdhsa_workgroup_processor_mode 1
		.amdhsa_memory_ordered 1
		.amdhsa_forward_progress 0
		.amdhsa_shared_vgpr_count 0
		.amdhsa_exception_fp_ieee_invalid_op 0
		.amdhsa_exception_fp_denorm_src 0
		.amdhsa_exception_fp_ieee_div_zero 0
		.amdhsa_exception_fp_ieee_overflow 0
		.amdhsa_exception_fp_ieee_underflow 0
		.amdhsa_exception_fp_ieee_inexact 0
		.amdhsa_exception_int_div_zero 0
	.end_amdhsa_kernel
	.section	.text._ZN2at6native29vectorized_elementwise_kernelILi2EZNS0_12_GLOBAL__N_119masked_scale_kernelIhffEEvRNS_6TensorERKS4_S7_T1_EUlfhE_St5arrayIPcLm3EEEEviT0_S8_,"axG",@progbits,_ZN2at6native29vectorized_elementwise_kernelILi2EZNS0_12_GLOBAL__N_119masked_scale_kernelIhffEEvRNS_6TensorERKS4_S7_T1_EUlfhE_St5arrayIPcLm3EEEEviT0_S8_,comdat
.Lfunc_end155:
	.size	_ZN2at6native29vectorized_elementwise_kernelILi2EZNS0_12_GLOBAL__N_119masked_scale_kernelIhffEEvRNS_6TensorERKS4_S7_T1_EUlfhE_St5arrayIPcLm3EEEEviT0_S8_, .Lfunc_end155-_ZN2at6native29vectorized_elementwise_kernelILi2EZNS0_12_GLOBAL__N_119masked_scale_kernelIhffEEvRNS_6TensorERKS4_S7_T1_EUlfhE_St5arrayIPcLm3EEEEviT0_S8_
                                        ; -- End function
	.section	.AMDGPU.csdata,"",@progbits
; Kernel info:
; codeLenInByte = 1028
; NumSgprs: 20
; NumVgprs: 14
; ScratchSize: 0
; MemoryBound: 0
; FloatMode: 240
; IeeeMode: 1
; LDSByteSize: 0 bytes/workgroup (compile time only)
; SGPRBlocks: 2
; VGPRBlocks: 1
; NumSGPRsForWavesPerEU: 20
; NumVGPRsForWavesPerEU: 14
; Occupancy: 16
; WaveLimiterHint : 1
; COMPUTE_PGM_RSRC2:SCRATCH_EN: 0
; COMPUTE_PGM_RSRC2:USER_SGPR: 15
; COMPUTE_PGM_RSRC2:TRAP_HANDLER: 0
; COMPUTE_PGM_RSRC2:TGID_X_EN: 1
; COMPUTE_PGM_RSRC2:TGID_Y_EN: 0
; COMPUTE_PGM_RSRC2:TGID_Z_EN: 0
; COMPUTE_PGM_RSRC2:TIDIG_COMP_CNT: 0
	.section	.text._ZN2at6native27unrolled_elementwise_kernelIZNS0_12_GLOBAL__N_119masked_scale_kernelIhffEEvRNS_6TensorERKS4_S7_T1_EUlfhE_St5arrayIPcLm3EELi4E23TrivialOffsetCalculatorILi2EjESD_ILi1EjENS0_6memory15LoadWithoutCastENSG_16StoreWithoutCastEEEviT_T0_T2_T3_T4_T5_,"axG",@progbits,_ZN2at6native27unrolled_elementwise_kernelIZNS0_12_GLOBAL__N_119masked_scale_kernelIhffEEvRNS_6TensorERKS4_S7_T1_EUlfhE_St5arrayIPcLm3EELi4E23TrivialOffsetCalculatorILi2EjESD_ILi1EjENS0_6memory15LoadWithoutCastENSG_16StoreWithoutCastEEEviT_T0_T2_T3_T4_T5_,comdat
	.globl	_ZN2at6native27unrolled_elementwise_kernelIZNS0_12_GLOBAL__N_119masked_scale_kernelIhffEEvRNS_6TensorERKS4_S7_T1_EUlfhE_St5arrayIPcLm3EELi4E23TrivialOffsetCalculatorILi2EjESD_ILi1EjENS0_6memory15LoadWithoutCastENSG_16StoreWithoutCastEEEviT_T0_T2_T3_T4_T5_ ; -- Begin function _ZN2at6native27unrolled_elementwise_kernelIZNS0_12_GLOBAL__N_119masked_scale_kernelIhffEEvRNS_6TensorERKS4_S7_T1_EUlfhE_St5arrayIPcLm3EELi4E23TrivialOffsetCalculatorILi2EjESD_ILi1EjENS0_6memory15LoadWithoutCastENSG_16StoreWithoutCastEEEviT_T0_T2_T3_T4_T5_
	.p2align	8
	.type	_ZN2at6native27unrolled_elementwise_kernelIZNS0_12_GLOBAL__N_119masked_scale_kernelIhffEEvRNS_6TensorERKS4_S7_T1_EUlfhE_St5arrayIPcLm3EELi4E23TrivialOffsetCalculatorILi2EjESD_ILi1EjENS0_6memory15LoadWithoutCastENSG_16StoreWithoutCastEEEviT_T0_T2_T3_T4_T5_,@function
_ZN2at6native27unrolled_elementwise_kernelIZNS0_12_GLOBAL__N_119masked_scale_kernelIhffEEvRNS_6TensorERKS4_S7_T1_EUlfhE_St5arrayIPcLm3EELi4E23TrivialOffsetCalculatorILi2EjESD_ILi1EjENS0_6memory15LoadWithoutCastENSG_16StoreWithoutCastEEEviT_T0_T2_T3_T4_T5_: ; @_ZN2at6native27unrolled_elementwise_kernelIZNS0_12_GLOBAL__N_119masked_scale_kernelIhffEEvRNS_6TensorERKS4_S7_T1_EUlfhE_St5arrayIPcLm3EELi4E23TrivialOffsetCalculatorILi2EjESD_ILi1EjENS0_6memory15LoadWithoutCastENSG_16StoreWithoutCastEEEviT_T0_T2_T3_T4_T5_
; %bb.0:
	s_clause 0x2
	s_load_b64 s[2:3], s[0:1], 0x0
	s_load_b128 s[4:7], s[0:1], 0x8
	s_load_b64 s[8:9], s[0:1], 0x18
	s_lshl_b32 s1, s15, 10
	v_dual_mov_b32 v4, 0 :: v_dual_mov_b32 v5, 0
	v_mov_b32_e32 v2, 0
	v_or_b32_e32 v1, s1, v0
	v_or_b32_e32 v3, 0x100, v0
	v_mov_b32_e32 v6, v0
	s_waitcnt lgkmcnt(0)
	s_sub_i32 s2, s2, s1
	s_delay_alu instid0(SALU_CYCLE_1)
	v_cmp_gt_i32_e32 vcc_lo, s2, v0
	s_and_saveexec_b32 s10, vcc_lo
	s_cbranch_execz .LBB156_2
; %bb.1:
	v_mov_b32_e32 v2, 0
	s_delay_alu instid0(VALU_DEP_1) | instskip(NEXT) | instid1(VALU_DEP_1)
	v_lshlrev_b64 v[5:6], 2, v[1:2]
	v_add_co_u32 v5, s0, s6, v5
	s_delay_alu instid0(VALU_DEP_1)
	v_add_co_ci_u32_e64 v6, s0, s7, v6, s0
	global_load_u8 v7, v1, s[8:9]
	global_load_b32 v2, v[5:6], off
	v_or_b32_e32 v6, 0x100, v0
	s_waitcnt vmcnt(1)
	v_cvt_f32_ubyte0_e32 v5, v7
.LBB156_2:
	s_or_b32 exec_lo, exec_lo, s10
	v_mov_b32_e32 v7, 0
	s_mov_b32 s10, exec_lo
	v_cmpx_gt_i32_e64 s2, v6
	s_cbranch_execz .LBB156_4
; %bb.3:
	v_dual_mov_b32 v8, 0 :: v_dual_add_nc_u32 v7, s1, v6
	v_add_nc_u32_e32 v6, 0x100, v6
	s_delay_alu instid0(VALU_DEP_2) | instskip(NEXT) | instid1(VALU_DEP_1)
	v_lshlrev_b64 v[8:9], 2, v[7:8]
	v_add_co_u32 v8, s0, s6, v8
	s_delay_alu instid0(VALU_DEP_1)
	v_add_co_ci_u32_e64 v9, s0, s7, v9, s0
	global_load_u8 v7, v7, s[8:9]
	global_load_b32 v4, v[8:9], off
	s_waitcnt vmcnt(1)
	v_cvt_f32_ubyte0_e32 v7, v7
.LBB156_4:
	s_or_b32 exec_lo, exec_lo, s10
	v_dual_mov_b32 v8, 0 :: v_dual_mov_b32 v9, 0
	v_mov_b32_e32 v10, 0
	s_mov_b32 s10, exec_lo
	v_cmpx_gt_i32_e64 s2, v6
	s_cbranch_execz .LBB156_6
; %bb.5:
	v_dual_mov_b32 v10, 0 :: v_dual_add_nc_u32 v9, s1, v6
	v_add_nc_u32_e32 v6, 0x100, v6
	s_delay_alu instid0(VALU_DEP_2) | instskip(NEXT) | instid1(VALU_DEP_1)
	v_lshlrev_b64 v[10:11], 2, v[9:10]
	v_add_co_u32 v10, s0, s6, v10
	s_delay_alu instid0(VALU_DEP_1)
	v_add_co_ci_u32_e64 v11, s0, s7, v11, s0
	global_load_u8 v12, v9, s[8:9]
	global_load_b32 v9, v[10:11], off
	s_waitcnt vmcnt(1)
	v_cvt_f32_ubyte0_e32 v10, v12
.LBB156_6:
	s_or_b32 exec_lo, exec_lo, s10
	s_delay_alu instid0(SALU_CYCLE_1)
	s_mov_b32 s10, exec_lo
	v_cmpx_gt_i32_e64 s2, v6
	s_cbranch_execz .LBB156_8
; %bb.7:
	v_dual_mov_b32 v12, 0 :: v_dual_add_nc_u32 v11, s1, v6
	s_delay_alu instid0(VALU_DEP_1) | instskip(NEXT) | instid1(VALU_DEP_1)
	v_lshlrev_b64 v[12:13], 2, v[11:12]
	v_add_co_u32 v12, s0, s6, v12
	s_delay_alu instid0(VALU_DEP_1)
	v_add_co_ci_u32_e64 v13, s0, s7, v13, s0
	global_load_u8 v6, v11, s[8:9]
	global_load_b32 v8, v[12:13], off
	s_waitcnt vmcnt(1)
	v_cvt_f32_ubyte0_e32 v6, v6
	s_waitcnt vmcnt(0)
	s_delay_alu instid0(VALU_DEP_1)
	v_mul_f32_e32 v8, v8, v6
.LBB156_8:
	s_or_b32 exec_lo, exec_lo, s10
	s_waitcnt vmcnt(0)
	v_dual_mul_f32 v2, v2, v5 :: v_dual_mul_f32 v5, v9, v10
	s_delay_alu instid0(VALU_DEP_1) | instskip(NEXT) | instid1(VALU_DEP_1)
	v_dual_mul_f32 v4, v4, v7 :: v_dual_mul_f32 v7, s3, v2
	v_dual_mul_f32 v5, s3, v5 :: v_dual_mul_f32 v6, s3, v4
	v_mul_f32_e32 v4, s3, v8
	s_and_saveexec_b32 s0, vcc_lo
	s_cbranch_execnz .LBB156_13
; %bb.9:
	s_or_b32 exec_lo, exec_lo, s0
	s_delay_alu instid0(SALU_CYCLE_1)
	s_mov_b32 s0, exec_lo
	v_cmpx_gt_i32_e64 s2, v0
	s_cbranch_execnz .LBB156_14
.LBB156_10:
	s_or_b32 exec_lo, exec_lo, s0
	s_delay_alu instid0(SALU_CYCLE_1)
	s_mov_b32 s0, exec_lo
	v_cmpx_gt_i32_e64 s2, v0
	s_cbranch_execnz .LBB156_15
.LBB156_11:
	s_or_b32 exec_lo, exec_lo, s0
	s_delay_alu instid0(SALU_CYCLE_1)
	s_mov_b32 s0, exec_lo
	v_cmpx_gt_i32_e64 s2, v0
	s_cbranch_execnz .LBB156_16
.LBB156_12:
	s_nop 0
	s_sendmsg sendmsg(MSG_DEALLOC_VGPRS)
	s_endpgm
.LBB156_13:
	v_mov_b32_e32 v2, 0
	s_delay_alu instid0(VALU_DEP_1) | instskip(NEXT) | instid1(VALU_DEP_1)
	v_lshlrev_b64 v[0:1], 2, v[1:2]
	v_add_co_u32 v8, vcc_lo, s4, v0
	s_delay_alu instid0(VALU_DEP_2) | instskip(SKIP_3) | instid1(SALU_CYCLE_1)
	v_add_co_ci_u32_e32 v9, vcc_lo, s5, v1, vcc_lo
	v_mov_b32_e32 v0, v3
	global_store_b32 v[8:9], v7, off
	s_or_b32 exec_lo, exec_lo, s0
	s_mov_b32 s0, exec_lo
	v_cmpx_gt_i32_e64 s2, v0
	s_cbranch_execz .LBB156_10
.LBB156_14:
	v_dual_mov_b32 v2, 0 :: v_dual_add_nc_u32 v1, s1, v0
	v_add_nc_u32_e32 v0, 0x100, v0
	s_delay_alu instid0(VALU_DEP_2) | instskip(NEXT) | instid1(VALU_DEP_1)
	v_lshlrev_b64 v[1:2], 2, v[1:2]
	v_add_co_u32 v1, vcc_lo, s4, v1
	s_delay_alu instid0(VALU_DEP_2) | instskip(SKIP_2) | instid1(SALU_CYCLE_1)
	v_add_co_ci_u32_e32 v2, vcc_lo, s5, v2, vcc_lo
	global_store_b32 v[1:2], v6, off
	s_or_b32 exec_lo, exec_lo, s0
	s_mov_b32 s0, exec_lo
	v_cmpx_gt_i32_e64 s2, v0
	s_cbranch_execz .LBB156_11
.LBB156_15:
	v_dual_mov_b32 v2, 0 :: v_dual_add_nc_u32 v1, s1, v0
	v_add_nc_u32_e32 v0, 0x100, v0
	s_delay_alu instid0(VALU_DEP_2) | instskip(NEXT) | instid1(VALU_DEP_1)
	v_lshlrev_b64 v[1:2], 2, v[1:2]
	v_add_co_u32 v1, vcc_lo, s4, v1
	s_delay_alu instid0(VALU_DEP_2) | instskip(SKIP_2) | instid1(SALU_CYCLE_1)
	v_add_co_ci_u32_e32 v2, vcc_lo, s5, v2, vcc_lo
	global_store_b32 v[1:2], v5, off
	s_or_b32 exec_lo, exec_lo, s0
	s_mov_b32 s0, exec_lo
	v_cmpx_gt_i32_e64 s2, v0
	s_cbranch_execz .LBB156_12
.LBB156_16:
	v_dual_mov_b32 v1, 0 :: v_dual_add_nc_u32 v0, s1, v0
	s_delay_alu instid0(VALU_DEP_1) | instskip(NEXT) | instid1(VALU_DEP_1)
	v_lshlrev_b64 v[0:1], 2, v[0:1]
	v_add_co_u32 v0, vcc_lo, s4, v0
	s_delay_alu instid0(VALU_DEP_2)
	v_add_co_ci_u32_e32 v1, vcc_lo, s5, v1, vcc_lo
	global_store_b32 v[0:1], v4, off
	s_nop 0
	s_sendmsg sendmsg(MSG_DEALLOC_VGPRS)
	s_endpgm
	.section	.rodata,"a",@progbits
	.p2align	6, 0x0
	.amdhsa_kernel _ZN2at6native27unrolled_elementwise_kernelIZNS0_12_GLOBAL__N_119masked_scale_kernelIhffEEvRNS_6TensorERKS4_S7_T1_EUlfhE_St5arrayIPcLm3EELi4E23TrivialOffsetCalculatorILi2EjESD_ILi1EjENS0_6memory15LoadWithoutCastENSG_16StoreWithoutCastEEEviT_T0_T2_T3_T4_T5_
		.amdhsa_group_segment_fixed_size 0
		.amdhsa_private_segment_fixed_size 0
		.amdhsa_kernarg_size 36
		.amdhsa_user_sgpr_count 15
		.amdhsa_user_sgpr_dispatch_ptr 0
		.amdhsa_user_sgpr_queue_ptr 0
		.amdhsa_user_sgpr_kernarg_segment_ptr 1
		.amdhsa_user_sgpr_dispatch_id 0
		.amdhsa_user_sgpr_private_segment_size 0
		.amdhsa_wavefront_size32 1
		.amdhsa_uses_dynamic_stack 0
		.amdhsa_enable_private_segment 0
		.amdhsa_system_sgpr_workgroup_id_x 1
		.amdhsa_system_sgpr_workgroup_id_y 0
		.amdhsa_system_sgpr_workgroup_id_z 0
		.amdhsa_system_sgpr_workgroup_info 0
		.amdhsa_system_vgpr_workitem_id 0
		.amdhsa_next_free_vgpr 14
		.amdhsa_next_free_sgpr 16
		.amdhsa_reserve_vcc 1
		.amdhsa_float_round_mode_32 0
		.amdhsa_float_round_mode_16_64 0
		.amdhsa_float_denorm_mode_32 3
		.amdhsa_float_denorm_mode_16_64 3
		.amdhsa_dx10_clamp 1
		.amdhsa_ieee_mode 1
		.amdhsa_fp16_overflow 0
		.amdhsa_workgroup_processor_mode 1
		.amdhsa_memory_ordered 1
		.amdhsa_forward_progress 0
		.amdhsa_shared_vgpr_count 0
		.amdhsa_exception_fp_ieee_invalid_op 0
		.amdhsa_exception_fp_denorm_src 0
		.amdhsa_exception_fp_ieee_div_zero 0
		.amdhsa_exception_fp_ieee_overflow 0
		.amdhsa_exception_fp_ieee_underflow 0
		.amdhsa_exception_fp_ieee_inexact 0
		.amdhsa_exception_int_div_zero 0
	.end_amdhsa_kernel
	.section	.text._ZN2at6native27unrolled_elementwise_kernelIZNS0_12_GLOBAL__N_119masked_scale_kernelIhffEEvRNS_6TensorERKS4_S7_T1_EUlfhE_St5arrayIPcLm3EELi4E23TrivialOffsetCalculatorILi2EjESD_ILi1EjENS0_6memory15LoadWithoutCastENSG_16StoreWithoutCastEEEviT_T0_T2_T3_T4_T5_,"axG",@progbits,_ZN2at6native27unrolled_elementwise_kernelIZNS0_12_GLOBAL__N_119masked_scale_kernelIhffEEvRNS_6TensorERKS4_S7_T1_EUlfhE_St5arrayIPcLm3EELi4E23TrivialOffsetCalculatorILi2EjESD_ILi1EjENS0_6memory15LoadWithoutCastENSG_16StoreWithoutCastEEEviT_T0_T2_T3_T4_T5_,comdat
.Lfunc_end156:
	.size	_ZN2at6native27unrolled_elementwise_kernelIZNS0_12_GLOBAL__N_119masked_scale_kernelIhffEEvRNS_6TensorERKS4_S7_T1_EUlfhE_St5arrayIPcLm3EELi4E23TrivialOffsetCalculatorILi2EjESD_ILi1EjENS0_6memory15LoadWithoutCastENSG_16StoreWithoutCastEEEviT_T0_T2_T3_T4_T5_, .Lfunc_end156-_ZN2at6native27unrolled_elementwise_kernelIZNS0_12_GLOBAL__N_119masked_scale_kernelIhffEEvRNS_6TensorERKS4_S7_T1_EUlfhE_St5arrayIPcLm3EELi4E23TrivialOffsetCalculatorILi2EjESD_ILi1EjENS0_6memory15LoadWithoutCastENSG_16StoreWithoutCastEEEviT_T0_T2_T3_T4_T5_
                                        ; -- End function
	.section	.AMDGPU.csdata,"",@progbits
; Kernel info:
; codeLenInByte = 848
; NumSgprs: 18
; NumVgprs: 14
; ScratchSize: 0
; MemoryBound: 0
; FloatMode: 240
; IeeeMode: 1
; LDSByteSize: 0 bytes/workgroup (compile time only)
; SGPRBlocks: 2
; VGPRBlocks: 1
; NumSGPRsForWavesPerEU: 18
; NumVGPRsForWavesPerEU: 14
; Occupancy: 16
; WaveLimiterHint : 0
; COMPUTE_PGM_RSRC2:SCRATCH_EN: 0
; COMPUTE_PGM_RSRC2:USER_SGPR: 15
; COMPUTE_PGM_RSRC2:TRAP_HANDLER: 0
; COMPUTE_PGM_RSRC2:TGID_X_EN: 1
; COMPUTE_PGM_RSRC2:TGID_Y_EN: 0
; COMPUTE_PGM_RSRC2:TGID_Z_EN: 0
; COMPUTE_PGM_RSRC2:TIDIG_COMP_CNT: 0
	.section	.text._ZN2at6native32elementwise_kernel_manual_unrollILi128ELi4EZNS0_22gpu_kernel_impl_nocastIZNS0_12_GLOBAL__N_119masked_scale_kernelIhffEEvRNS_6TensorERKS5_S8_T1_EUlfhE_EEvRNS_18TensorIteratorBaseERKT_EUlibE_EEviS9_,"axG",@progbits,_ZN2at6native32elementwise_kernel_manual_unrollILi128ELi4EZNS0_22gpu_kernel_impl_nocastIZNS0_12_GLOBAL__N_119masked_scale_kernelIhffEEvRNS_6TensorERKS5_S8_T1_EUlfhE_EEvRNS_18TensorIteratorBaseERKT_EUlibE_EEviS9_,comdat
	.globl	_ZN2at6native32elementwise_kernel_manual_unrollILi128ELi4EZNS0_22gpu_kernel_impl_nocastIZNS0_12_GLOBAL__N_119masked_scale_kernelIhffEEvRNS_6TensorERKS5_S8_T1_EUlfhE_EEvRNS_18TensorIteratorBaseERKT_EUlibE_EEviS9_ ; -- Begin function _ZN2at6native32elementwise_kernel_manual_unrollILi128ELi4EZNS0_22gpu_kernel_impl_nocastIZNS0_12_GLOBAL__N_119masked_scale_kernelIhffEEvRNS_6TensorERKS5_S8_T1_EUlfhE_EEvRNS_18TensorIteratorBaseERKT_EUlibE_EEviS9_
	.p2align	8
	.type	_ZN2at6native32elementwise_kernel_manual_unrollILi128ELi4EZNS0_22gpu_kernel_impl_nocastIZNS0_12_GLOBAL__N_119masked_scale_kernelIhffEEvRNS_6TensorERKS5_S8_T1_EUlfhE_EEvRNS_18TensorIteratorBaseERKT_EUlibE_EEviS9_,@function
_ZN2at6native32elementwise_kernel_manual_unrollILi128ELi4EZNS0_22gpu_kernel_impl_nocastIZNS0_12_GLOBAL__N_119masked_scale_kernelIhffEEvRNS_6TensorERKS5_S8_T1_EUlfhE_EEvRNS_18TensorIteratorBaseERKT_EUlibE_EEviS9_: ; @_ZN2at6native32elementwise_kernel_manual_unrollILi128ELi4EZNS0_22gpu_kernel_impl_nocastIZNS0_12_GLOBAL__N_119masked_scale_kernelIhffEEvRNS_6TensorERKS5_S8_T1_EUlfhE_EEvRNS_18TensorIteratorBaseERKT_EUlibE_EEviS9_
; %bb.0:
	s_clause 0x1
	s_load_b32 s22, s[0:1], 0x8
	s_load_b32 s29, s[0:1], 0x0
	v_lshl_or_b32 v6, s15, 9, v0
	s_or_b32 s0, s0, 8
	s_mov_b32 s2, exec_lo
	s_delay_alu instid0(VALU_DEP_1) | instskip(SKIP_2) | instid1(SALU_CYCLE_1)
	v_or_b32_e32 v12, 0x180, v6
	s_waitcnt lgkmcnt(0)
	s_add_i32 s23, s22, -1
	s_cmp_gt_u32 s23, 1
	s_cselect_b32 s24, -1, 0
	v_cmpx_le_i32_e64 s29, v12
	s_xor_b32 s25, exec_lo, s2
	s_cbranch_execz .LBB157_8
; %bb.1:
	s_clause 0x6
	s_load_b128 s[12:15], s[0:1], 0x4
	s_load_b64 s[18:19], s[0:1], 0x14
	s_load_b128 s[8:11], s[0:1], 0xc4
	s_load_b64 s[16:17], s[0:1], 0xd4
	s_load_b64 s[2:3], s[0:1], 0x198
	s_load_b128 s[4:7], s[0:1], 0x188
	s_load_b32 s26, s[0:1], 0x1a0
	s_cmp_lg_u32 s22, 0
	s_mov_b32 s31, exec_lo
	s_cselect_b32 s30, -1, 0
	s_min_u32 s28, s23, 15
	s_cmp_gt_u32 s22, 1
	s_cselect_b32 s27, -1, 0
	v_cmpx_gt_i32_e64 s29, v6
	s_cbranch_execz .LBB157_15
; %bb.2:
	s_and_not1_b32 vcc_lo, exec_lo, s24
	s_cbranch_vccnz .LBB157_57
; %bb.3:
	v_dual_mov_b32 v0, 0 :: v_dual_mov_b32 v1, 0
	v_mov_b32_e32 v2, 0
	s_and_not1_b32 vcc_lo, exec_lo, s30
	s_mov_b32 s33, 0
	s_cbranch_vccnz .LBB157_58
; %bb.4:
	s_add_i32 s20, s28, 1
	v_dual_mov_b32 v1, 0 :: v_dual_mov_b32 v2, 0
	v_dual_mov_b32 v0, 0 :: v_dual_mov_b32 v3, v6
	s_and_b32 s34, s20, 30
	s_add_u32 s20, s0, 0xffffffec
	s_addc_u32 s21, s1, -1
	s_set_inst_prefetch_distance 0x1
	.p2align	6
.LBB157_5:                              ; =>This Inner Loop Header: Depth=1
	s_clause 0x2
	s_load_b128 s[36:39], s[20:21], 0x18
	s_load_b64 s[44:45], s[20:21], 0x28
	s_load_b128 s[40:43], s[20:21], 0xd8
	s_waitcnt lgkmcnt(0)
	v_mul_hi_u32 v4, s37, v3
	s_delay_alu instid0(VALU_DEP_1) | instskip(NEXT) | instid1(VALU_DEP_1)
	v_add_nc_u32_e32 v4, v3, v4
	v_lshrrev_b32_e32 v4, s38, v4
	s_delay_alu instid0(VALU_DEP_1)
	v_mul_hi_u32 v5, s44, v4
	v_mul_lo_u32 v7, v4, s36
	s_load_b64 s[36:37], s[20:21], 0xe8
	s_add_u32 s20, s20, 24
	s_addc_u32 s21, s21, 0
	s_add_i32 s34, s34, -2
	s_delay_alu instid0(SALU_CYCLE_1) | instskip(NEXT) | instid1(VALU_DEP_2)
	s_cmp_lg_u32 s34, 0
	v_add_nc_u32_e32 v5, v4, v5
	s_delay_alu instid0(VALU_DEP_2) | instskip(NEXT) | instid1(VALU_DEP_2)
	v_sub_nc_u32_e32 v7, v3, v7
	v_lshrrev_b32_e32 v3, s45, v5
	s_delay_alu instid0(VALU_DEP_2) | instskip(NEXT) | instid1(VALU_DEP_2)
	v_mul_lo_u32 v8, v7, s40
	v_mul_lo_u32 v5, v3, s39
	s_delay_alu instid0(VALU_DEP_1) | instskip(SKIP_2) | instid1(VALU_DEP_3)
	v_sub_nc_u32_e32 v4, v4, v5
	v_mul_lo_u32 v5, v7, s41
	v_mul_lo_u32 v7, v7, s42
	;; [unrolled: 1-line block ×3, first 2 shown]
	s_waitcnt lgkmcnt(0)
	v_mul_lo_u32 v10, v4, s36
	v_mul_lo_u32 v4, v4, s37
	s_delay_alu instid0(VALU_DEP_3) | instskip(NEXT) | instid1(VALU_DEP_3)
	v_add3_u32 v0, v8, v0, v9
	v_add3_u32 v2, v5, v2, v10
	s_delay_alu instid0(VALU_DEP_3)
	v_add3_u32 v1, v7, v1, v4
	s_cbranch_scc1 .LBB157_5
; %bb.6:
	s_set_inst_prefetch_distance 0x2
	s_bitcmp1_b32 s28, 0
	s_cselect_b32 s34, -1, 0
	s_delay_alu instid0(SALU_CYCLE_1)
	s_and_b32 vcc_lo, exec_lo, s34
	s_cbranch_vccnz .LBB157_58
; %bb.7:
	s_clause 0x3
	s_load_b64 s[34:35], s[20:21], 0x18
	s_load_b32 s38, s[20:21], 0x20
	s_load_b64 s[36:37], s[20:21], 0xd8
	s_load_b32 s20, s[20:21], 0xe0
	s_waitcnt lgkmcnt(0)
	v_mul_hi_u32 v4, s35, v3
	s_delay_alu instid0(VALU_DEP_1) | instskip(NEXT) | instid1(VALU_DEP_1)
	v_add_nc_u32_e32 v4, v3, v4
	v_lshrrev_b32_e32 v4, s38, v4
	s_delay_alu instid0(VALU_DEP_1) | instskip(NEXT) | instid1(VALU_DEP_1)
	v_mul_lo_u32 v4, v4, s34
	v_sub_nc_u32_e32 v9, v3, v4
	s_delay_alu instid0(VALU_DEP_1) | instskip(SKIP_1) | instid1(VALU_DEP_2)
	v_mad_u64_u32 v[3:4], null, v9, s36, v[0:1]
	v_mad_u64_u32 v[7:8], null, v9, s20, v[1:2]
	;; [unrolled: 1-line block ×3, first 2 shown]
	v_mov_b32_e32 v0, v3
	s_delay_alu instid0(VALU_DEP_2)
	v_dual_mov_b32 v1, v7 :: v_dual_mov_b32 v2, v4
	s_branch .LBB157_58
.LBB157_8:
	s_and_not1_saveexec_b32 s2, s25
	s_cbranch_execz .LBB157_76
.LBB157_9:
	v_cndmask_b32_e64 v9, 0, 1, s24
	s_and_not1_b32 vcc_lo, exec_lo, s24
	s_cbranch_vccnz .LBB157_22
; %bb.10:
	v_dual_mov_b32 v0, 0 :: v_dual_mov_b32 v1, 0
	v_mov_b32_e32 v2, 0
	s_cmp_lg_u32 s22, 0
	s_mov_b32 s4, 0
	s_cbranch_scc0 .LBB157_23
; %bb.11:
	s_min_u32 s5, s23, 15
	v_dual_mov_b32 v2, 0 :: v_dual_mov_b32 v1, 0
	s_add_i32 s2, s5, 1
	v_dual_mov_b32 v0, 0 :: v_dual_mov_b32 v3, v6
	s_and_b32 s6, s2, 30
	s_add_u32 s2, s0, 0xffffffec
	s_addc_u32 s3, s1, -1
	s_set_inst_prefetch_distance 0x1
	.p2align	6
.LBB157_12:                             ; =>This Inner Loop Header: Depth=1
	s_clause 0x2
	s_load_b128 s[8:11], s[2:3], 0x18
	s_load_b64 s[16:17], s[2:3], 0x28
	s_load_b128 s[12:15], s[2:3], 0xd8
	s_waitcnt lgkmcnt(0)
	v_mul_hi_u32 v4, s9, v3
	s_delay_alu instid0(VALU_DEP_1) | instskip(NEXT) | instid1(VALU_DEP_1)
	v_add_nc_u32_e32 v4, v3, v4
	v_lshrrev_b32_e32 v4, s10, v4
	s_delay_alu instid0(VALU_DEP_1)
	v_mul_hi_u32 v5, s16, v4
	v_mul_lo_u32 v7, v4, s8
	s_load_b64 s[8:9], s[2:3], 0xe8
	s_add_u32 s2, s2, 24
	s_addc_u32 s3, s3, 0
	s_add_i32 s6, s6, -2
	s_delay_alu instid0(SALU_CYCLE_1) | instskip(NEXT) | instid1(VALU_DEP_2)
	s_cmp_lg_u32 s6, 0
	v_add_nc_u32_e32 v5, v4, v5
	s_delay_alu instid0(VALU_DEP_2) | instskip(NEXT) | instid1(VALU_DEP_2)
	v_sub_nc_u32_e32 v7, v3, v7
	v_lshrrev_b32_e32 v3, s17, v5
	s_delay_alu instid0(VALU_DEP_2) | instskip(NEXT) | instid1(VALU_DEP_2)
	v_mul_lo_u32 v8, v7, s12
	v_mul_lo_u32 v5, v3, s11
	s_delay_alu instid0(VALU_DEP_1) | instskip(SKIP_2) | instid1(VALU_DEP_3)
	v_sub_nc_u32_e32 v4, v4, v5
	v_mul_lo_u32 v5, v7, s13
	v_mul_lo_u32 v7, v7, s14
	;; [unrolled: 1-line block ×3, first 2 shown]
	s_waitcnt lgkmcnt(0)
	v_mul_lo_u32 v11, v4, s8
	v_mul_lo_u32 v4, v4, s9
	s_delay_alu instid0(VALU_DEP_3) | instskip(NEXT) | instid1(VALU_DEP_3)
	v_add3_u32 v0, v8, v0, v10
	v_add3_u32 v1, v5, v1, v11
	s_delay_alu instid0(VALU_DEP_3)
	v_add3_u32 v2, v7, v2, v4
	s_cbranch_scc1 .LBB157_12
; %bb.13:
	s_set_inst_prefetch_distance 0x2
	s_bitcmp1_b32 s5, 0
	s_cselect_b32 s5, -1, 0
	s_delay_alu instid0(SALU_CYCLE_1)
	s_and_b32 vcc_lo, exec_lo, s5
	s_cbranch_vccnz .LBB157_23
; %bb.14:
	s_clause 0x3
	s_load_b64 s[6:7], s[2:3], 0x18
	s_load_b32 s5, s[2:3], 0x20
	s_load_b64 s[8:9], s[2:3], 0xd8
	s_load_b32 s2, s[2:3], 0xe0
	s_waitcnt lgkmcnt(0)
	v_mul_hi_u32 v4, s7, v3
	s_delay_alu instid0(VALU_DEP_1) | instskip(NEXT) | instid1(VALU_DEP_1)
	v_add_nc_u32_e32 v4, v3, v4
	v_lshrrev_b32_e32 v4, s5, v4
	s_delay_alu instid0(VALU_DEP_1) | instskip(NEXT) | instid1(VALU_DEP_1)
	v_mul_lo_u32 v4, v4, s6
	v_sub_nc_u32_e32 v10, v3, v4
	s_delay_alu instid0(VALU_DEP_1) | instskip(SKIP_1) | instid1(VALU_DEP_2)
	v_mad_u64_u32 v[3:4], null, v10, s8, v[0:1]
	v_mad_u64_u32 v[4:5], null, v10, s9, v[1:2]
	;; [unrolled: 1-line block ×3, first 2 shown]
	s_delay_alu instid0(VALU_DEP_2) | instskip(NEXT) | instid1(VALU_DEP_2)
	v_dual_mov_b32 v0, v3 :: v_dual_mov_b32 v1, v4
	v_mov_b32_e32 v2, v7
	s_branch .LBB157_23
.LBB157_15:
	s_or_b32 exec_lo, exec_lo, s31
	s_delay_alu instid0(SALU_CYCLE_1)
	s_mov_b32 s31, exec_lo
	v_cmpx_gt_i32_e64 s29, v6
	s_cbranch_execz .LBB157_62
.LBB157_16:
	s_and_not1_b32 vcc_lo, exec_lo, s24
	s_cbranch_vccnz .LBB157_69
; %bb.17:
	v_dual_mov_b32 v0, 0 :: v_dual_mov_b32 v1, 0
	v_mov_b32_e32 v2, 0
	s_and_not1_b32 vcc_lo, exec_lo, s30
	s_mov_b32 s33, 0
	s_cbranch_vccnz .LBB157_70
; %bb.18:
	s_add_i32 s20, s28, 1
	v_dual_mov_b32 v1, 0 :: v_dual_mov_b32 v2, 0
	v_dual_mov_b32 v0, 0 :: v_dual_mov_b32 v3, v6
	s_and_b32 s34, s20, 30
	s_add_u32 s20, s0, 0xffffffec
	s_addc_u32 s21, s1, -1
	s_set_inst_prefetch_distance 0x1
	.p2align	6
.LBB157_19:                             ; =>This Inner Loop Header: Depth=1
	s_clause 0x2
	s_load_b128 s[36:39], s[20:21], 0x18
	s_load_b64 s[44:45], s[20:21], 0x28
	s_load_b128 s[40:43], s[20:21], 0xd8
	s_waitcnt lgkmcnt(0)
	v_mul_hi_u32 v4, s37, v3
	s_delay_alu instid0(VALU_DEP_1) | instskip(NEXT) | instid1(VALU_DEP_1)
	v_add_nc_u32_e32 v4, v3, v4
	v_lshrrev_b32_e32 v4, s38, v4
	s_delay_alu instid0(VALU_DEP_1)
	v_mul_hi_u32 v5, s44, v4
	v_mul_lo_u32 v7, v4, s36
	s_load_b64 s[36:37], s[20:21], 0xe8
	s_add_u32 s20, s20, 24
	s_addc_u32 s21, s21, 0
	s_add_i32 s34, s34, -2
	s_delay_alu instid0(SALU_CYCLE_1) | instskip(NEXT) | instid1(VALU_DEP_2)
	s_cmp_eq_u32 s34, 0
	v_add_nc_u32_e32 v5, v4, v5
	s_delay_alu instid0(VALU_DEP_2) | instskip(NEXT) | instid1(VALU_DEP_2)
	v_sub_nc_u32_e32 v7, v3, v7
	v_lshrrev_b32_e32 v3, s45, v5
	s_delay_alu instid0(VALU_DEP_2) | instskip(NEXT) | instid1(VALU_DEP_2)
	v_mul_lo_u32 v8, v7, s40
	v_mul_lo_u32 v5, v3, s39
	s_delay_alu instid0(VALU_DEP_1) | instskip(SKIP_2) | instid1(VALU_DEP_3)
	v_sub_nc_u32_e32 v4, v4, v5
	v_mul_lo_u32 v5, v7, s41
	v_mul_lo_u32 v7, v7, s42
	;; [unrolled: 1-line block ×3, first 2 shown]
	s_waitcnt lgkmcnt(0)
	v_mul_lo_u32 v10, v4, s36
	v_mul_lo_u32 v4, v4, s37
	s_delay_alu instid0(VALU_DEP_3) | instskip(NEXT) | instid1(VALU_DEP_3)
	v_add3_u32 v0, v8, v0, v9
	v_add3_u32 v2, v5, v2, v10
	s_delay_alu instid0(VALU_DEP_3)
	v_add3_u32 v1, v7, v1, v4
	s_cbranch_scc0 .LBB157_19
; %bb.20:
	s_set_inst_prefetch_distance 0x2
	s_bitcmp1_b32 s28, 0
	s_cselect_b32 s34, -1, 0
	s_delay_alu instid0(SALU_CYCLE_1)
	s_and_b32 vcc_lo, exec_lo, s34
	s_cbranch_vccnz .LBB157_70
; %bb.21:
	s_clause 0x3
	s_load_b64 s[34:35], s[20:21], 0x18
	s_load_b32 s38, s[20:21], 0x20
	s_load_b64 s[36:37], s[20:21], 0xd8
	s_load_b32 s20, s[20:21], 0xe0
	s_waitcnt lgkmcnt(0)
	v_mul_hi_u32 v4, s35, v3
	s_delay_alu instid0(VALU_DEP_1) | instskip(NEXT) | instid1(VALU_DEP_1)
	v_add_nc_u32_e32 v4, v3, v4
	v_lshrrev_b32_e32 v4, s38, v4
	s_delay_alu instid0(VALU_DEP_1) | instskip(NEXT) | instid1(VALU_DEP_1)
	v_mul_lo_u32 v4, v4, s34
	v_sub_nc_u32_e32 v9, v3, v4
	s_delay_alu instid0(VALU_DEP_1) | instskip(SKIP_1) | instid1(VALU_DEP_2)
	v_mad_u64_u32 v[3:4], null, v9, s36, v[0:1]
	v_mad_u64_u32 v[7:8], null, v9, s20, v[1:2]
	;; [unrolled: 1-line block ×3, first 2 shown]
	v_mov_b32_e32 v0, v3
	s_delay_alu instid0(VALU_DEP_2)
	v_dual_mov_b32 v1, v7 :: v_dual_mov_b32 v2, v4
	s_branch .LBB157_70
.LBB157_22:
	s_mov_b32 s4, -1
                                        ; implicit-def: $vgpr0
                                        ; implicit-def: $vgpr1
                                        ; implicit-def: $vgpr2
.LBB157_23:
	s_delay_alu instid0(SALU_CYCLE_1)
	s_and_not1_b32 vcc_lo, exec_lo, s4
	s_cbranch_vccnz .LBB157_26
; %bb.24:
	s_clause 0x1
	s_load_b128 s[4:7], s[0:1], 0x4
	s_load_b128 s[8:11], s[0:1], 0xc4
	s_cmp_lt_u32 s22, 2
	s_waitcnt lgkmcnt(0)
	v_mul_hi_u32 v0, s5, v6
	s_delay_alu instid0(VALU_DEP_1) | instskip(NEXT) | instid1(VALU_DEP_1)
	v_add_nc_u32_e32 v0, v6, v0
	v_lshrrev_b32_e32 v3, s6, v0
	s_delay_alu instid0(VALU_DEP_1) | instskip(NEXT) | instid1(VALU_DEP_1)
	v_mul_lo_u32 v0, v3, s4
	v_sub_nc_u32_e32 v2, v6, v0
	s_delay_alu instid0(VALU_DEP_1)
	v_mul_lo_u32 v0, v2, s8
	v_mul_lo_u32 v1, v2, s9
	;; [unrolled: 1-line block ×3, first 2 shown]
	s_cbranch_scc1 .LBB157_26
; %bb.25:
	s_clause 0x1
	s_load_b128 s[4:7], s[0:1], 0x10
	s_load_b128 s[8:11], s[0:1], 0xd0
	s_waitcnt lgkmcnt(0)
	v_mul_hi_u32 v4, s5, v3
	s_delay_alu instid0(VALU_DEP_1) | instskip(NEXT) | instid1(VALU_DEP_1)
	v_add_nc_u32_e32 v4, v3, v4
	v_lshrrev_b32_e32 v4, s6, v4
	s_delay_alu instid0(VALU_DEP_1) | instskip(NEXT) | instid1(VALU_DEP_1)
	v_mul_lo_u32 v4, v4, s4
	v_sub_nc_u32_e32 v10, v3, v4
	s_delay_alu instid0(VALU_DEP_1) | instskip(SKIP_1) | instid1(VALU_DEP_2)
	v_mad_u64_u32 v[3:4], null, v10, s8, v[0:1]
	v_mad_u64_u32 v[4:5], null, v10, s9, v[1:2]
	;; [unrolled: 1-line block ×3, first 2 shown]
	s_delay_alu instid0(VALU_DEP_2) | instskip(NEXT) | instid1(VALU_DEP_2)
	v_dual_mov_b32 v0, v3 :: v_dual_mov_b32 v1, v4
	v_mov_b32_e32 v2, v7
.LBB157_26:
	v_cmp_ne_u32_e32 vcc_lo, 1, v9
	v_add_nc_u32_e32 v7, 0x80, v6
	s_cbranch_vccnz .LBB157_32
; %bb.27:
	v_dual_mov_b32 v3, 0 :: v_dual_mov_b32 v4, 0
	v_mov_b32_e32 v5, 0
	s_cmp_lg_u32 s22, 0
	s_mov_b32 s4, 0
	s_cbranch_scc0 .LBB157_33
; %bb.28:
	s_min_u32 s5, s23, 15
	v_dual_mov_b32 v5, 0 :: v_dual_mov_b32 v4, 0
	s_add_i32 s2, s5, 1
	v_dual_mov_b32 v3, 0 :: v_dual_mov_b32 v8, v7
	s_and_b32 s6, s2, 30
	s_add_u32 s2, s0, 0xffffffec
	s_addc_u32 s3, s1, -1
	s_set_inst_prefetch_distance 0x1
	.p2align	6
.LBB157_29:                             ; =>This Inner Loop Header: Depth=1
	s_clause 0x2
	s_load_b128 s[8:11], s[2:3], 0x18
	s_load_b64 s[16:17], s[2:3], 0x28
	s_load_b128 s[12:15], s[2:3], 0xd8
	s_waitcnt lgkmcnt(0)
	v_mul_hi_u32 v10, s9, v8
	s_delay_alu instid0(VALU_DEP_1) | instskip(NEXT) | instid1(VALU_DEP_1)
	v_add_nc_u32_e32 v10, v8, v10
	v_lshrrev_b32_e32 v10, s10, v10
	s_delay_alu instid0(VALU_DEP_1)
	v_mul_hi_u32 v11, s16, v10
	v_mul_lo_u32 v13, v10, s8
	s_load_b64 s[8:9], s[2:3], 0xe8
	s_add_u32 s2, s2, 24
	s_addc_u32 s3, s3, 0
	s_add_i32 s6, s6, -2
	s_delay_alu instid0(SALU_CYCLE_1) | instskip(NEXT) | instid1(VALU_DEP_2)
	s_cmp_lg_u32 s6, 0
	v_add_nc_u32_e32 v11, v10, v11
	s_delay_alu instid0(VALU_DEP_2) | instskip(NEXT) | instid1(VALU_DEP_2)
	v_sub_nc_u32_e32 v13, v8, v13
	v_lshrrev_b32_e32 v8, s17, v11
	s_delay_alu instid0(VALU_DEP_2) | instskip(NEXT) | instid1(VALU_DEP_2)
	v_mul_lo_u32 v14, v13, s12
	v_mul_lo_u32 v11, v8, s11
	s_delay_alu instid0(VALU_DEP_1) | instskip(SKIP_2) | instid1(VALU_DEP_3)
	v_sub_nc_u32_e32 v10, v10, v11
	v_mul_lo_u32 v11, v13, s13
	v_mul_lo_u32 v13, v13, s14
	;; [unrolled: 1-line block ×3, first 2 shown]
	s_waitcnt lgkmcnt(0)
	v_mul_lo_u32 v16, v10, s8
	v_mul_lo_u32 v10, v10, s9
	s_delay_alu instid0(VALU_DEP_3) | instskip(NEXT) | instid1(VALU_DEP_3)
	v_add3_u32 v3, v14, v3, v15
	v_add3_u32 v4, v11, v4, v16
	s_delay_alu instid0(VALU_DEP_3)
	v_add3_u32 v5, v13, v5, v10
	s_cbranch_scc1 .LBB157_29
; %bb.30:
	s_set_inst_prefetch_distance 0x2
	s_bitcmp1_b32 s5, 0
	s_cselect_b32 s5, -1, 0
	s_delay_alu instid0(SALU_CYCLE_1)
	s_and_b32 vcc_lo, exec_lo, s5
	s_cbranch_vccnz .LBB157_33
; %bb.31:
	s_clause 0x3
	s_load_b64 s[6:7], s[2:3], 0x18
	s_load_b32 s5, s[2:3], 0x20
	s_load_b64 s[8:9], s[2:3], 0xd8
	s_load_b32 s2, s[2:3], 0xe0
	s_waitcnt lgkmcnt(0)
	v_mul_hi_u32 v10, s7, v8
	s_delay_alu instid0(VALU_DEP_1) | instskip(NEXT) | instid1(VALU_DEP_1)
	v_add_nc_u32_e32 v10, v8, v10
	v_lshrrev_b32_e32 v10, s5, v10
	s_delay_alu instid0(VALU_DEP_1) | instskip(NEXT) | instid1(VALU_DEP_1)
	v_mul_lo_u32 v10, v10, s6
	v_sub_nc_u32_e32 v8, v8, v10
	s_delay_alu instid0(VALU_DEP_1) | instskip(SKIP_2) | instid1(VALU_DEP_2)
	v_mad_u64_u32 v[13:14], null, v8, s9, v[4:5]
	v_mad_u64_u32 v[10:11], null, v8, s8, v[3:4]
	;; [unrolled: 1-line block ×3, first 2 shown]
	v_dual_mov_b32 v4, v13 :: v_dual_mov_b32 v3, v10
	s_delay_alu instid0(VALU_DEP_2)
	v_mov_b32_e32 v5, v14
	s_branch .LBB157_33
.LBB157_32:
	s_mov_b32 s4, -1
                                        ; implicit-def: $vgpr3
                                        ; implicit-def: $vgpr4
                                        ; implicit-def: $vgpr5
.LBB157_33:
	s_delay_alu instid0(SALU_CYCLE_1)
	s_and_not1_b32 vcc_lo, exec_lo, s4
	s_cbranch_vccnz .LBB157_36
; %bb.34:
	s_clause 0x1
	s_load_b128 s[4:7], s[0:1], 0x4
	s_load_b128 s[8:11], s[0:1], 0xc4
	s_cmp_lt_u32 s22, 2
	s_waitcnt lgkmcnt(0)
	v_mul_hi_u32 v3, s5, v7
	s_delay_alu instid0(VALU_DEP_1) | instskip(NEXT) | instid1(VALU_DEP_1)
	v_add_nc_u32_e32 v3, v7, v3
	v_lshrrev_b32_e32 v8, s6, v3
	s_delay_alu instid0(VALU_DEP_1) | instskip(NEXT) | instid1(VALU_DEP_1)
	v_mul_lo_u32 v3, v8, s4
	v_sub_nc_u32_e32 v5, v7, v3
	s_delay_alu instid0(VALU_DEP_1)
	v_mul_lo_u32 v3, v5, s8
	v_mul_lo_u32 v4, v5, s9
	;; [unrolled: 1-line block ×3, first 2 shown]
	s_cbranch_scc1 .LBB157_36
; %bb.35:
	s_clause 0x1
	s_load_b128 s[4:7], s[0:1], 0x10
	s_load_b128 s[8:11], s[0:1], 0xd0
	s_waitcnt lgkmcnt(0)
	v_mul_hi_u32 v7, s5, v8
	s_delay_alu instid0(VALU_DEP_1) | instskip(NEXT) | instid1(VALU_DEP_1)
	v_add_nc_u32_e32 v7, v8, v7
	v_lshrrev_b32_e32 v7, s6, v7
	s_delay_alu instid0(VALU_DEP_1) | instskip(NEXT) | instid1(VALU_DEP_1)
	v_mul_lo_u32 v7, v7, s4
	v_sub_nc_u32_e32 v15, v8, v7
	s_delay_alu instid0(VALU_DEP_1) | instskip(SKIP_2) | instid1(VALU_DEP_2)
	v_mad_u64_u32 v[7:8], null, v15, s8, v[3:4]
	v_mad_u64_u32 v[10:11], null, v15, s9, v[4:5]
	;; [unrolled: 1-line block ×3, first 2 shown]
	v_dual_mov_b32 v3, v7 :: v_dual_mov_b32 v4, v10
	s_delay_alu instid0(VALU_DEP_2)
	v_mov_b32_e32 v5, v13
.LBB157_36:
	v_cmp_ne_u32_e32 vcc_lo, 1, v9
	v_add_nc_u32_e32 v10, 0x100, v6
	s_cbranch_vccnz .LBB157_42
; %bb.37:
	v_dual_mov_b32 v6, 0 :: v_dual_mov_b32 v7, 0
	v_mov_b32_e32 v8, 0
	s_cmp_lg_u32 s22, 0
	s_mov_b32 s4, 0
	s_cbranch_scc0 .LBB157_43
; %bb.38:
	s_min_u32 s5, s23, 15
	v_dual_mov_b32 v8, 0 :: v_dual_mov_b32 v7, 0
	s_add_i32 s2, s5, 1
	v_dual_mov_b32 v6, 0 :: v_dual_mov_b32 v11, v10
	s_and_b32 s6, s2, 30
	s_add_u32 s2, s0, 0xffffffec
	s_addc_u32 s3, s1, -1
	s_set_inst_prefetch_distance 0x1
	.p2align	6
.LBB157_39:                             ; =>This Inner Loop Header: Depth=1
	s_clause 0x2
	s_load_b128 s[8:11], s[2:3], 0x18
	s_load_b64 s[16:17], s[2:3], 0x28
	s_load_b128 s[12:15], s[2:3], 0xd8
	s_waitcnt lgkmcnt(0)
	v_mul_hi_u32 v13, s9, v11
	s_delay_alu instid0(VALU_DEP_1) | instskip(NEXT) | instid1(VALU_DEP_1)
	v_add_nc_u32_e32 v13, v11, v13
	v_lshrrev_b32_e32 v13, s10, v13
	s_delay_alu instid0(VALU_DEP_1)
	v_mul_hi_u32 v14, s16, v13
	v_mul_lo_u32 v15, v13, s8
	s_load_b64 s[8:9], s[2:3], 0xe8
	s_add_u32 s2, s2, 24
	s_addc_u32 s3, s3, 0
	s_add_i32 s6, s6, -2
	s_delay_alu instid0(SALU_CYCLE_1) | instskip(NEXT) | instid1(VALU_DEP_2)
	s_cmp_lg_u32 s6, 0
	v_add_nc_u32_e32 v14, v13, v14
	s_delay_alu instid0(VALU_DEP_2) | instskip(NEXT) | instid1(VALU_DEP_2)
	v_sub_nc_u32_e32 v15, v11, v15
	v_lshrrev_b32_e32 v11, s17, v14
	s_delay_alu instid0(VALU_DEP_2) | instskip(NEXT) | instid1(VALU_DEP_2)
	v_mul_lo_u32 v16, v15, s12
	v_mul_lo_u32 v14, v11, s11
	s_delay_alu instid0(VALU_DEP_1) | instskip(SKIP_2) | instid1(VALU_DEP_3)
	v_sub_nc_u32_e32 v13, v13, v14
	v_mul_lo_u32 v14, v15, s13
	v_mul_lo_u32 v15, v15, s14
	;; [unrolled: 1-line block ×3, first 2 shown]
	s_waitcnt lgkmcnt(0)
	v_mul_lo_u32 v18, v13, s8
	v_mul_lo_u32 v13, v13, s9
	s_delay_alu instid0(VALU_DEP_3) | instskip(NEXT) | instid1(VALU_DEP_3)
	v_add3_u32 v6, v16, v6, v17
	v_add3_u32 v7, v14, v7, v18
	s_delay_alu instid0(VALU_DEP_3)
	v_add3_u32 v8, v15, v8, v13
	s_cbranch_scc1 .LBB157_39
; %bb.40:
	s_set_inst_prefetch_distance 0x2
	s_bitcmp1_b32 s5, 0
	s_cselect_b32 s5, -1, 0
	s_delay_alu instid0(SALU_CYCLE_1)
	s_and_b32 vcc_lo, exec_lo, s5
	s_cbranch_vccnz .LBB157_43
; %bb.41:
	s_clause 0x3
	s_load_b64 s[6:7], s[2:3], 0x18
	s_load_b32 s5, s[2:3], 0x20
	s_load_b64 s[8:9], s[2:3], 0xd8
	s_load_b32 s2, s[2:3], 0xe0
	s_waitcnt lgkmcnt(0)
	v_mul_hi_u32 v13, s7, v11
	s_delay_alu instid0(VALU_DEP_1) | instskip(NEXT) | instid1(VALU_DEP_1)
	v_add_nc_u32_e32 v13, v11, v13
	v_lshrrev_b32_e32 v13, s5, v13
	s_delay_alu instid0(VALU_DEP_1) | instskip(NEXT) | instid1(VALU_DEP_1)
	v_mul_lo_u32 v13, v13, s6
	v_sub_nc_u32_e32 v11, v11, v13
	s_delay_alu instid0(VALU_DEP_1) | instskip(SKIP_2) | instid1(VALU_DEP_2)
	v_mad_u64_u32 v[13:14], null, v11, s8, v[6:7]
	v_mad_u64_u32 v[14:15], null, v11, s9, v[7:8]
	v_mad_u64_u32 v[15:16], null, v11, s2, v[8:9]
	v_dual_mov_b32 v6, v13 :: v_dual_mov_b32 v7, v14
	s_delay_alu instid0(VALU_DEP_2)
	v_mov_b32_e32 v8, v15
	s_branch .LBB157_43
.LBB157_42:
	s_mov_b32 s4, -1
                                        ; implicit-def: $vgpr6
                                        ; implicit-def: $vgpr7
                                        ; implicit-def: $vgpr8
.LBB157_43:
	s_delay_alu instid0(SALU_CYCLE_1)
	s_and_not1_b32 vcc_lo, exec_lo, s4
	s_cbranch_vccnz .LBB157_46
; %bb.44:
	s_clause 0x1
	s_load_b128 s[4:7], s[0:1], 0x4
	s_load_b128 s[8:11], s[0:1], 0xc4
	s_cmp_lt_u32 s22, 2
	s_waitcnt lgkmcnt(0)
	v_mul_hi_u32 v6, s5, v10
	s_delay_alu instid0(VALU_DEP_1) | instskip(NEXT) | instid1(VALU_DEP_1)
	v_add_nc_u32_e32 v6, v10, v6
	v_lshrrev_b32_e32 v11, s6, v6
	s_delay_alu instid0(VALU_DEP_1) | instskip(NEXT) | instid1(VALU_DEP_1)
	v_mul_lo_u32 v6, v11, s4
	v_sub_nc_u32_e32 v8, v10, v6
	s_delay_alu instid0(VALU_DEP_1)
	v_mul_lo_u32 v6, v8, s8
	v_mul_lo_u32 v7, v8, s9
	;; [unrolled: 1-line block ×3, first 2 shown]
	s_cbranch_scc1 .LBB157_46
; %bb.45:
	s_clause 0x1
	s_load_b128 s[4:7], s[0:1], 0x10
	s_load_b128 s[8:11], s[0:1], 0xd0
	s_waitcnt lgkmcnt(0)
	v_mul_hi_u32 v10, s5, v11
	s_delay_alu instid0(VALU_DEP_1) | instskip(NEXT) | instid1(VALU_DEP_1)
	v_add_nc_u32_e32 v10, v11, v10
	v_lshrrev_b32_e32 v10, s6, v10
	s_delay_alu instid0(VALU_DEP_1) | instskip(NEXT) | instid1(VALU_DEP_1)
	v_mul_lo_u32 v10, v10, s4
	v_sub_nc_u32_e32 v16, v11, v10
	s_delay_alu instid0(VALU_DEP_1) | instskip(SKIP_2) | instid1(VALU_DEP_2)
	v_mad_u64_u32 v[13:14], null, v16, s9, v[7:8]
	v_mad_u64_u32 v[10:11], null, v16, s8, v[6:7]
	v_mad_u64_u32 v[14:15], null, v16, s10, v[8:9]
	v_dual_mov_b32 v7, v13 :: v_dual_mov_b32 v6, v10
	s_delay_alu instid0(VALU_DEP_2)
	v_mov_b32_e32 v8, v14
.LBB157_46:
	v_cmp_ne_u32_e32 vcc_lo, 1, v9
	s_cbranch_vccnz .LBB157_52
; %bb.47:
	v_dual_mov_b32 v9, 0 :: v_dual_mov_b32 v10, 0
	v_mov_b32_e32 v11, 0
	s_cmp_lg_u32 s22, 0
	s_mov_b32 s4, 0
	s_cbranch_scc0 .LBB157_53
; %bb.48:
	s_min_u32 s5, s23, 15
	v_dual_mov_b32 v10, 0 :: v_dual_mov_b32 v11, 0
	s_add_i32 s2, s5, 1
	v_mov_b32_e32 v9, 0
	v_mov_b32_e32 v13, v12
	s_and_b32 s6, s2, 30
	s_add_u32 s2, s0, 0xffffffec
	s_addc_u32 s3, s1, -1
	s_set_inst_prefetch_distance 0x1
	.p2align	6
.LBB157_49:                             ; =>This Inner Loop Header: Depth=1
	s_clause 0x2
	s_load_b128 s[8:11], s[2:3], 0x18
	s_load_b64 s[16:17], s[2:3], 0x28
	s_load_b128 s[12:15], s[2:3], 0xd8
	s_waitcnt lgkmcnt(0)
	v_mul_hi_u32 v14, s9, v13
	s_delay_alu instid0(VALU_DEP_1) | instskip(NEXT) | instid1(VALU_DEP_1)
	v_add_nc_u32_e32 v14, v13, v14
	v_lshrrev_b32_e32 v14, s10, v14
	s_delay_alu instid0(VALU_DEP_1)
	v_mul_hi_u32 v15, s16, v14
	v_mul_lo_u32 v16, v14, s8
	s_load_b64 s[8:9], s[2:3], 0xe8
	s_add_u32 s2, s2, 24
	s_addc_u32 s3, s3, 0
	s_add_i32 s6, s6, -2
	s_delay_alu instid0(SALU_CYCLE_1) | instskip(NEXT) | instid1(VALU_DEP_2)
	s_cmp_lg_u32 s6, 0
	v_add_nc_u32_e32 v15, v14, v15
	s_delay_alu instid0(VALU_DEP_2) | instskip(NEXT) | instid1(VALU_DEP_2)
	v_sub_nc_u32_e32 v16, v13, v16
	v_lshrrev_b32_e32 v13, s17, v15
	s_delay_alu instid0(VALU_DEP_2) | instskip(NEXT) | instid1(VALU_DEP_2)
	v_mul_lo_u32 v17, v16, s12
	v_mul_lo_u32 v15, v13, s11
	s_delay_alu instid0(VALU_DEP_1) | instskip(SKIP_2) | instid1(VALU_DEP_3)
	v_sub_nc_u32_e32 v14, v14, v15
	v_mul_lo_u32 v15, v16, s13
	v_mul_lo_u32 v16, v16, s14
	;; [unrolled: 1-line block ×3, first 2 shown]
	s_waitcnt lgkmcnt(0)
	v_mul_lo_u32 v19, v14, s8
	v_mul_lo_u32 v14, v14, s9
	s_delay_alu instid0(VALU_DEP_3) | instskip(NEXT) | instid1(VALU_DEP_3)
	v_add3_u32 v9, v17, v9, v18
	v_add3_u32 v11, v15, v11, v19
	s_delay_alu instid0(VALU_DEP_3)
	v_add3_u32 v10, v16, v10, v14
	s_cbranch_scc1 .LBB157_49
; %bb.50:
	s_set_inst_prefetch_distance 0x2
	s_bitcmp1_b32 s5, 0
	s_cselect_b32 s5, -1, 0
	s_delay_alu instid0(SALU_CYCLE_1)
	s_and_b32 vcc_lo, exec_lo, s5
	s_cbranch_vccnz .LBB157_53
; %bb.51:
	s_clause 0x3
	s_load_b64 s[6:7], s[2:3], 0x18
	s_load_b32 s5, s[2:3], 0x20
	s_load_b64 s[8:9], s[2:3], 0xd8
	s_load_b32 s2, s[2:3], 0xe0
	s_waitcnt lgkmcnt(0)
	v_mul_hi_u32 v14, s7, v13
	s_delay_alu instid0(VALU_DEP_1) | instskip(NEXT) | instid1(VALU_DEP_1)
	v_add_nc_u32_e32 v14, v13, v14
	v_lshrrev_b32_e32 v14, s5, v14
	s_delay_alu instid0(VALU_DEP_1) | instskip(NEXT) | instid1(VALU_DEP_1)
	v_mul_lo_u32 v14, v14, s6
	v_sub_nc_u32_e32 v17, v13, v14
	s_delay_alu instid0(VALU_DEP_1) | instskip(SKIP_2) | instid1(VALU_DEP_3)
	v_mad_u64_u32 v[13:14], null, v17, s8, v[9:10]
	v_mad_u64_u32 v[14:15], null, v17, s9, v[11:12]
	;; [unrolled: 1-line block ×3, first 2 shown]
	v_mov_b32_e32 v9, v13
	s_delay_alu instid0(VALU_DEP_2)
	v_dual_mov_b32 v11, v14 :: v_dual_mov_b32 v10, v15
	s_branch .LBB157_53
.LBB157_52:
	s_mov_b32 s4, -1
                                        ; implicit-def: $vgpr9
                                        ; implicit-def: $vgpr11
                                        ; implicit-def: $vgpr10
.LBB157_53:
	s_delay_alu instid0(SALU_CYCLE_1)
	s_and_not1_b32 vcc_lo, exec_lo, s4
	s_cbranch_vccnz .LBB157_56
; %bb.54:
	s_clause 0x1
	s_load_b128 s[4:7], s[0:1], 0x4
	s_load_b128 s[8:11], s[0:1], 0xc4
	s_cmp_lt_u32 s22, 2
	s_waitcnt lgkmcnt(0)
	v_mul_hi_u32 v9, s5, v12
	s_delay_alu instid0(VALU_DEP_1) | instskip(NEXT) | instid1(VALU_DEP_1)
	v_add_nc_u32_e32 v9, v12, v9
	v_lshrrev_b32_e32 v13, s6, v9
	s_delay_alu instid0(VALU_DEP_1) | instskip(NEXT) | instid1(VALU_DEP_1)
	v_mul_lo_u32 v9, v13, s4
	v_sub_nc_u32_e32 v10, v12, v9
	s_delay_alu instid0(VALU_DEP_1)
	v_mul_lo_u32 v9, v10, s8
	v_mul_lo_u32 v11, v10, s9
	;; [unrolled: 1-line block ×3, first 2 shown]
	s_cbranch_scc1 .LBB157_56
; %bb.55:
	s_clause 0x1
	s_load_b128 s[4:7], s[0:1], 0x10
	s_load_b128 s[8:11], s[0:1], 0xd0
	s_waitcnt lgkmcnt(0)
	v_mul_hi_u32 v12, s5, v13
	s_delay_alu instid0(VALU_DEP_1) | instskip(NEXT) | instid1(VALU_DEP_1)
	v_add_nc_u32_e32 v12, v13, v12
	v_lshrrev_b32_e32 v12, s6, v12
	s_delay_alu instid0(VALU_DEP_1) | instskip(NEXT) | instid1(VALU_DEP_1)
	v_mul_lo_u32 v12, v12, s4
	v_sub_nc_u32_e32 v16, v13, v12
	s_delay_alu instid0(VALU_DEP_1) | instskip(NEXT) | instid1(VALU_DEP_1)
	v_mad_u64_u32 v[12:13], null, v16, s8, v[9:10]
	v_mad_u64_u32 v[13:14], null, v16, s9, v[11:12]
	;; [unrolled: 1-line block ×3, first 2 shown]
	v_mov_b32_e32 v9, v12
	s_delay_alu instid0(VALU_DEP_2)
	v_dual_mov_b32 v11, v13 :: v_dual_mov_b32 v10, v14
.LBB157_56:
	s_clause 0x2
	s_load_b64 s[2:3], s[0:1], 0x198
	s_load_b128 s[4:7], s[0:1], 0x188
	s_load_b32 s0, s[0:1], 0x1a0
	s_waitcnt lgkmcnt(0)
	s_clause 0x3
	global_load_u8 v2, v2, s[2:3]
	global_load_u8 v5, v5, s[2:3]
	;; [unrolled: 1-line block ×4, first 2 shown]
	s_clause 0x3
	global_load_b32 v1, v1, s[6:7]
	global_load_b32 v4, v4, s[6:7]
	;; [unrolled: 1-line block ×4, first 2 shown]
	s_waitcnt vmcnt(7)
	v_cvt_f32_ubyte0_e32 v2, v2
	s_waitcnt vmcnt(6)
	v_cvt_f32_ubyte0_e32 v5, v5
	;; [unrolled: 2-line block ×4, first 2 shown]
	s_waitcnt vmcnt(2)
	v_dual_mul_f32 v1, v1, v2 :: v_dual_mul_f32 v2, v4, v5
	s_waitcnt vmcnt(1)
	s_delay_alu instid0(VALU_DEP_1) | instskip(SKIP_1) | instid1(VALU_DEP_1)
	v_dual_mul_f32 v4, v7, v8 :: v_dual_mul_f32 v1, s0, v1
	s_waitcnt vmcnt(0)
	v_dual_mul_f32 v5, v11, v10 :: v_dual_mul_f32 v4, s0, v4
	s_delay_alu instid0(VALU_DEP_1)
	v_dual_mul_f32 v2, s0, v2 :: v_dual_mul_f32 v5, s0, v5
	s_clause 0x3
	global_store_b32 v0, v1, s[4:5]
	global_store_b32 v3, v2, s[4:5]
	;; [unrolled: 1-line block ×4, first 2 shown]
	s_nop 0
	s_sendmsg sendmsg(MSG_DEALLOC_VGPRS)
	s_endpgm
.LBB157_57:
	s_mov_b32 s33, -1
                                        ; implicit-def: $vgpr0
                                        ; implicit-def: $vgpr2
                                        ; implicit-def: $vgpr1
.LBB157_58:
	s_delay_alu instid0(SALU_CYCLE_1)
	s_and_not1_b32 vcc_lo, exec_lo, s33
	s_cbranch_vccnz .LBB157_61
; %bb.59:
	s_waitcnt lgkmcnt(0)
	v_mul_hi_u32 v0, s13, v6
	s_and_not1_b32 vcc_lo, exec_lo, s27
	s_delay_alu instid0(VALU_DEP_1) | instskip(NEXT) | instid1(VALU_DEP_1)
	v_add_nc_u32_e32 v0, v6, v0
	v_lshrrev_b32_e32 v3, s14, v0
	s_delay_alu instid0(VALU_DEP_1) | instskip(NEXT) | instid1(VALU_DEP_1)
	v_mul_lo_u32 v0, v3, s12
	v_sub_nc_u32_e32 v1, v6, v0
	s_delay_alu instid0(VALU_DEP_1)
	v_mul_lo_u32 v0, v1, s8
	v_mul_lo_u32 v2, v1, s9
	;; [unrolled: 1-line block ×3, first 2 shown]
	s_cbranch_vccnz .LBB157_61
; %bb.60:
	v_mul_hi_u32 v4, s18, v3
	s_delay_alu instid0(VALU_DEP_1) | instskip(NEXT) | instid1(VALU_DEP_1)
	v_add_nc_u32_e32 v4, v3, v4
	v_lshrrev_b32_e32 v4, s19, v4
	s_delay_alu instid0(VALU_DEP_1) | instskip(NEXT) | instid1(VALU_DEP_1)
	v_mul_lo_u32 v4, v4, s15
	v_sub_nc_u32_e32 v9, v3, v4
	s_delay_alu instid0(VALU_DEP_1) | instskip(SKIP_1) | instid1(VALU_DEP_2)
	v_mad_u64_u32 v[3:4], null, v9, s11, v[0:1]
	v_mad_u64_u32 v[7:8], null, v9, s17, v[1:2]
	;; [unrolled: 1-line block ×3, first 2 shown]
	v_mov_b32_e32 v0, v3
	s_delay_alu instid0(VALU_DEP_2)
	v_dual_mov_b32 v1, v7 :: v_dual_mov_b32 v2, v4
.LBB157_61:
	s_waitcnt lgkmcnt(0)
	global_load_u8 v1, v1, s[2:3]
	global_load_b32 v2, v2, s[6:7]
	v_add_nc_u32_e32 v6, 0x80, v6
	s_waitcnt vmcnt(1)
	v_cvt_f32_ubyte0_e32 v1, v1
	s_waitcnt vmcnt(0)
	s_delay_alu instid0(VALU_DEP_1) | instskip(NEXT) | instid1(VALU_DEP_1)
	v_mul_f32_e32 v1, v2, v1
	v_mul_f32_e32 v1, s26, v1
	global_store_b32 v0, v1, s[4:5]
	s_or_b32 exec_lo, exec_lo, s31
	s_delay_alu instid0(SALU_CYCLE_1)
	s_mov_b32 s31, exec_lo
	v_cmpx_gt_i32_e64 s29, v6
	s_cbranch_execnz .LBB157_16
.LBB157_62:
	s_or_b32 exec_lo, exec_lo, s31
	s_delay_alu instid0(SALU_CYCLE_1)
	s_mov_b32 s31, exec_lo
	v_cmpx_gt_i32_e64 s29, v6
	s_cbranch_execz .LBB157_74
.LBB157_63:
	s_and_not1_b32 vcc_lo, exec_lo, s24
	s_cbranch_vccnz .LBB157_77
; %bb.64:
	v_dual_mov_b32 v0, 0 :: v_dual_mov_b32 v1, 0
	v_mov_b32_e32 v2, 0
	s_and_not1_b32 vcc_lo, exec_lo, s30
	s_mov_b32 s33, 0
	s_cbranch_vccnz .LBB157_78
; %bb.65:
	s_add_i32 s20, s28, 1
	v_dual_mov_b32 v1, 0 :: v_dual_mov_b32 v2, 0
	v_dual_mov_b32 v0, 0 :: v_dual_mov_b32 v3, v6
	s_and_b32 s34, s20, 30
	s_add_u32 s20, s0, 0xffffffec
	s_addc_u32 s21, s1, -1
	s_set_inst_prefetch_distance 0x1
	.p2align	6
.LBB157_66:                             ; =>This Inner Loop Header: Depth=1
	s_clause 0x2
	s_load_b128 s[36:39], s[20:21], 0x18
	s_load_b64 s[44:45], s[20:21], 0x28
	s_load_b128 s[40:43], s[20:21], 0xd8
	s_waitcnt lgkmcnt(0)
	v_mul_hi_u32 v4, s37, v3
	s_delay_alu instid0(VALU_DEP_1) | instskip(NEXT) | instid1(VALU_DEP_1)
	v_add_nc_u32_e32 v4, v3, v4
	v_lshrrev_b32_e32 v4, s38, v4
	s_delay_alu instid0(VALU_DEP_1)
	v_mul_hi_u32 v5, s44, v4
	v_mul_lo_u32 v7, v4, s36
	s_load_b64 s[36:37], s[20:21], 0xe8
	s_add_u32 s20, s20, 24
	s_addc_u32 s21, s21, 0
	s_add_i32 s34, s34, -2
	s_delay_alu instid0(SALU_CYCLE_1) | instskip(NEXT) | instid1(VALU_DEP_2)
	s_cmp_eq_u32 s34, 0
	v_add_nc_u32_e32 v5, v4, v5
	s_delay_alu instid0(VALU_DEP_2) | instskip(NEXT) | instid1(VALU_DEP_2)
	v_sub_nc_u32_e32 v7, v3, v7
	v_lshrrev_b32_e32 v3, s45, v5
	s_delay_alu instid0(VALU_DEP_2) | instskip(NEXT) | instid1(VALU_DEP_2)
	v_mul_lo_u32 v8, v7, s40
	v_mul_lo_u32 v5, v3, s39
	s_delay_alu instid0(VALU_DEP_1) | instskip(SKIP_2) | instid1(VALU_DEP_3)
	v_sub_nc_u32_e32 v4, v4, v5
	v_mul_lo_u32 v5, v7, s41
	v_mul_lo_u32 v7, v7, s42
	;; [unrolled: 1-line block ×3, first 2 shown]
	s_waitcnt lgkmcnt(0)
	v_mul_lo_u32 v10, v4, s36
	v_mul_lo_u32 v4, v4, s37
	s_delay_alu instid0(VALU_DEP_3) | instskip(NEXT) | instid1(VALU_DEP_3)
	v_add3_u32 v0, v8, v0, v9
	v_add3_u32 v2, v5, v2, v10
	s_delay_alu instid0(VALU_DEP_3)
	v_add3_u32 v1, v7, v1, v4
	s_cbranch_scc0 .LBB157_66
; %bb.67:
	s_set_inst_prefetch_distance 0x2
	s_bitcmp1_b32 s28, 0
	s_cselect_b32 s34, -1, 0
	s_delay_alu instid0(SALU_CYCLE_1)
	s_and_b32 vcc_lo, exec_lo, s34
	s_cbranch_vccnz .LBB157_78
; %bb.68:
	s_clause 0x3
	s_load_b64 s[34:35], s[20:21], 0x18
	s_load_b32 s38, s[20:21], 0x20
	s_load_b64 s[36:37], s[20:21], 0xd8
	s_load_b32 s20, s[20:21], 0xe0
	s_waitcnt lgkmcnt(0)
	v_mul_hi_u32 v4, s35, v3
	s_delay_alu instid0(VALU_DEP_1) | instskip(NEXT) | instid1(VALU_DEP_1)
	v_add_nc_u32_e32 v4, v3, v4
	v_lshrrev_b32_e32 v4, s38, v4
	s_delay_alu instid0(VALU_DEP_1) | instskip(NEXT) | instid1(VALU_DEP_1)
	v_mul_lo_u32 v4, v4, s34
	v_sub_nc_u32_e32 v9, v3, v4
	s_delay_alu instid0(VALU_DEP_1) | instskip(SKIP_1) | instid1(VALU_DEP_2)
	v_mad_u64_u32 v[3:4], null, v9, s36, v[0:1]
	v_mad_u64_u32 v[7:8], null, v9, s20, v[1:2]
	;; [unrolled: 1-line block ×3, first 2 shown]
	v_mov_b32_e32 v0, v3
	s_delay_alu instid0(VALU_DEP_2)
	v_dual_mov_b32 v1, v7 :: v_dual_mov_b32 v2, v4
	s_branch .LBB157_78
.LBB157_69:
	s_mov_b32 s33, -1
                                        ; implicit-def: $vgpr0
                                        ; implicit-def: $vgpr2
                                        ; implicit-def: $vgpr1
.LBB157_70:
	s_delay_alu instid0(SALU_CYCLE_1)
	s_and_not1_b32 vcc_lo, exec_lo, s33
	s_cbranch_vccnz .LBB157_73
; %bb.71:
	s_waitcnt lgkmcnt(0)
	v_mul_hi_u32 v0, s13, v6
	s_and_not1_b32 vcc_lo, exec_lo, s27
	s_delay_alu instid0(VALU_DEP_1) | instskip(NEXT) | instid1(VALU_DEP_1)
	v_add_nc_u32_e32 v0, v6, v0
	v_lshrrev_b32_e32 v3, s14, v0
	s_delay_alu instid0(VALU_DEP_1) | instskip(NEXT) | instid1(VALU_DEP_1)
	v_mul_lo_u32 v0, v3, s12
	v_sub_nc_u32_e32 v1, v6, v0
	s_delay_alu instid0(VALU_DEP_1)
	v_mul_lo_u32 v0, v1, s8
	v_mul_lo_u32 v2, v1, s9
	;; [unrolled: 1-line block ×3, first 2 shown]
	s_cbranch_vccnz .LBB157_73
; %bb.72:
	v_mul_hi_u32 v4, s18, v3
	s_delay_alu instid0(VALU_DEP_1) | instskip(NEXT) | instid1(VALU_DEP_1)
	v_add_nc_u32_e32 v4, v3, v4
	v_lshrrev_b32_e32 v4, s19, v4
	s_delay_alu instid0(VALU_DEP_1) | instskip(NEXT) | instid1(VALU_DEP_1)
	v_mul_lo_u32 v4, v4, s15
	v_sub_nc_u32_e32 v9, v3, v4
	s_delay_alu instid0(VALU_DEP_1) | instskip(SKIP_1) | instid1(VALU_DEP_2)
	v_mad_u64_u32 v[3:4], null, v9, s11, v[0:1]
	v_mad_u64_u32 v[7:8], null, v9, s17, v[1:2]
	;; [unrolled: 1-line block ×3, first 2 shown]
	v_mov_b32_e32 v0, v3
	s_delay_alu instid0(VALU_DEP_2)
	v_dual_mov_b32 v1, v7 :: v_dual_mov_b32 v2, v4
.LBB157_73:
	s_waitcnt lgkmcnt(0)
	global_load_u8 v1, v1, s[2:3]
	global_load_b32 v2, v2, s[6:7]
	v_add_nc_u32_e32 v6, 0x80, v6
	s_waitcnt vmcnt(1)
	v_cvt_f32_ubyte0_e32 v1, v1
	s_waitcnt vmcnt(0)
	s_delay_alu instid0(VALU_DEP_1) | instskip(NEXT) | instid1(VALU_DEP_1)
	v_mul_f32_e32 v1, v2, v1
	v_mul_f32_e32 v1, s26, v1
	global_store_b32 v0, v1, s[4:5]
	s_or_b32 exec_lo, exec_lo, s31
	s_delay_alu instid0(SALU_CYCLE_1)
	s_mov_b32 s31, exec_lo
	v_cmpx_gt_i32_e64 s29, v6
	s_cbranch_execnz .LBB157_63
.LBB157_74:
	s_or_b32 exec_lo, exec_lo, s31
	v_cmp_gt_i32_e32 vcc_lo, s29, v6
	s_and_saveexec_b32 s29, vcc_lo
	s_cbranch_execnz .LBB157_82
.LBB157_75:
	s_or_b32 exec_lo, exec_lo, s29
                                        ; implicit-def: $vgpr12
                                        ; implicit-def: $vgpr6
	s_waitcnt lgkmcnt(0)
	s_and_not1_saveexec_b32 s2, s25
	s_cbranch_execnz .LBB157_9
.LBB157_76:
	s_nop 0
	s_sendmsg sendmsg(MSG_DEALLOC_VGPRS)
	s_endpgm
.LBB157_77:
	s_mov_b32 s33, -1
                                        ; implicit-def: $vgpr0
                                        ; implicit-def: $vgpr2
                                        ; implicit-def: $vgpr1
.LBB157_78:
	s_delay_alu instid0(SALU_CYCLE_1)
	s_and_not1_b32 vcc_lo, exec_lo, s33
	s_cbranch_vccnz .LBB157_81
; %bb.79:
	s_waitcnt lgkmcnt(0)
	v_mul_hi_u32 v0, s13, v6
	s_and_not1_b32 vcc_lo, exec_lo, s27
	s_delay_alu instid0(VALU_DEP_1) | instskip(NEXT) | instid1(VALU_DEP_1)
	v_add_nc_u32_e32 v0, v6, v0
	v_lshrrev_b32_e32 v3, s14, v0
	s_delay_alu instid0(VALU_DEP_1) | instskip(NEXT) | instid1(VALU_DEP_1)
	v_mul_lo_u32 v0, v3, s12
	v_sub_nc_u32_e32 v1, v6, v0
	s_delay_alu instid0(VALU_DEP_1)
	v_mul_lo_u32 v0, v1, s8
	v_mul_lo_u32 v2, v1, s9
	;; [unrolled: 1-line block ×3, first 2 shown]
	s_cbranch_vccnz .LBB157_81
; %bb.80:
	v_mul_hi_u32 v4, s18, v3
	s_delay_alu instid0(VALU_DEP_1) | instskip(NEXT) | instid1(VALU_DEP_1)
	v_add_nc_u32_e32 v4, v3, v4
	v_lshrrev_b32_e32 v4, s19, v4
	s_delay_alu instid0(VALU_DEP_1) | instskip(NEXT) | instid1(VALU_DEP_1)
	v_mul_lo_u32 v4, v4, s15
	v_sub_nc_u32_e32 v9, v3, v4
	s_delay_alu instid0(VALU_DEP_1) | instskip(SKIP_1) | instid1(VALU_DEP_2)
	v_mad_u64_u32 v[3:4], null, v9, s11, v[0:1]
	v_mad_u64_u32 v[7:8], null, v9, s17, v[1:2]
	;; [unrolled: 1-line block ×3, first 2 shown]
	v_mov_b32_e32 v0, v3
	s_delay_alu instid0(VALU_DEP_2)
	v_dual_mov_b32 v1, v7 :: v_dual_mov_b32 v2, v4
.LBB157_81:
	s_waitcnt lgkmcnt(0)
	global_load_u8 v1, v1, s[2:3]
	global_load_b32 v2, v2, s[6:7]
	v_add_nc_u32_e32 v6, 0x80, v6
	s_waitcnt vmcnt(1)
	v_cvt_f32_ubyte0_e32 v1, v1
	s_waitcnt vmcnt(0)
	s_delay_alu instid0(VALU_DEP_1) | instskip(NEXT) | instid1(VALU_DEP_1)
	v_mul_f32_e32 v1, v2, v1
	v_mul_f32_e32 v1, s26, v1
	global_store_b32 v0, v1, s[4:5]
	s_or_b32 exec_lo, exec_lo, s31
	v_cmp_gt_i32_e32 vcc_lo, s29, v6
	s_and_saveexec_b32 s29, vcc_lo
	s_cbranch_execz .LBB157_75
.LBB157_82:
	s_and_not1_b32 vcc_lo, exec_lo, s24
	s_cbranch_vccnz .LBB157_88
; %bb.83:
	v_dual_mov_b32 v1, 0 :: v_dual_mov_b32 v2, 0
	v_mov_b32_e32 v0, 0
	s_and_not1_b32 vcc_lo, exec_lo, s30
	s_mov_b32 s30, 0
	s_cbranch_vccnz .LBB157_89
; %bb.84:
	s_add_i32 s20, s28, 1
	v_dual_mov_b32 v0, 0 :: v_dual_mov_b32 v1, 0
	v_dual_mov_b32 v2, 0 :: v_dual_mov_b32 v3, v6
	s_and_b32 s31, s20, 30
	s_add_u32 s20, s0, 0xffffffec
	s_addc_u32 s21, s1, -1
	s_set_inst_prefetch_distance 0x1
	.p2align	6
.LBB157_85:                             ; =>This Inner Loop Header: Depth=1
	s_clause 0x2
	s_load_b128 s[36:39], s[20:21], 0x18
	s_load_b64 s[34:35], s[20:21], 0x28
	s_load_b128 s[40:43], s[20:21], 0xd8
	s_waitcnt lgkmcnt(0)
	v_mul_hi_u32 v4, s37, v3
	s_delay_alu instid0(VALU_DEP_1) | instskip(NEXT) | instid1(VALU_DEP_1)
	v_add_nc_u32_e32 v4, v3, v4
	v_lshrrev_b32_e32 v4, s38, v4
	s_delay_alu instid0(VALU_DEP_1)
	v_mul_hi_u32 v5, s34, v4
	v_mul_lo_u32 v7, v4, s36
	s_load_b64 s[36:37], s[20:21], 0xe8
	s_add_u32 s20, s20, 24
	s_addc_u32 s21, s21, 0
	s_add_i32 s31, s31, -2
	s_delay_alu instid0(SALU_CYCLE_1) | instskip(NEXT) | instid1(VALU_DEP_2)
	s_cmp_eq_u32 s31, 0
	v_add_nc_u32_e32 v5, v4, v5
	s_delay_alu instid0(VALU_DEP_2) | instskip(NEXT) | instid1(VALU_DEP_2)
	v_sub_nc_u32_e32 v7, v3, v7
	v_lshrrev_b32_e32 v3, s35, v5
	s_delay_alu instid0(VALU_DEP_2) | instskip(NEXT) | instid1(VALU_DEP_2)
	v_mul_lo_u32 v8, v7, s40
	v_mul_lo_u32 v5, v3, s39
	s_delay_alu instid0(VALU_DEP_1) | instskip(SKIP_2) | instid1(VALU_DEP_3)
	v_sub_nc_u32_e32 v4, v4, v5
	v_mul_lo_u32 v5, v7, s41
	v_mul_lo_u32 v7, v7, s42
	;; [unrolled: 1-line block ×3, first 2 shown]
	s_waitcnt lgkmcnt(0)
	v_mul_lo_u32 v10, v4, s36
	v_mul_lo_u32 v4, v4, s37
	s_delay_alu instid0(VALU_DEP_3) | instskip(NEXT) | instid1(VALU_DEP_3)
	v_add3_u32 v1, v8, v1, v9
	v_add3_u32 v2, v5, v2, v10
	s_delay_alu instid0(VALU_DEP_3)
	v_add3_u32 v0, v7, v0, v4
	s_cbranch_scc0 .LBB157_85
; %bb.86:
	s_set_inst_prefetch_distance 0x2
	s_bitcmp1_b32 s28, 0
	s_cselect_b32 s28, -1, 0
	s_delay_alu instid0(SALU_CYCLE_1)
	s_and_b32 vcc_lo, exec_lo, s28
	s_cbranch_vccnz .LBB157_89
; %bb.87:
	s_clause 0x3
	s_load_b64 s[34:35], s[20:21], 0x18
	s_load_b32 s28, s[20:21], 0x20
	s_load_b64 s[36:37], s[20:21], 0xd8
	s_load_b32 s20, s[20:21], 0xe0
	s_waitcnt lgkmcnt(0)
	v_mul_hi_u32 v4, s35, v3
	s_delay_alu instid0(VALU_DEP_1) | instskip(NEXT) | instid1(VALU_DEP_1)
	v_add_nc_u32_e32 v4, v3, v4
	v_lshrrev_b32_e32 v4, s28, v4
	s_delay_alu instid0(VALU_DEP_1) | instskip(NEXT) | instid1(VALU_DEP_1)
	v_mul_lo_u32 v4, v4, s34
	v_sub_nc_u32_e32 v9, v3, v4
	s_delay_alu instid0(VALU_DEP_1) | instskip(SKIP_1) | instid1(VALU_DEP_2)
	v_mad_u64_u32 v[3:4], null, v9, s36, v[1:2]
	v_mad_u64_u32 v[7:8], null, v9, s20, v[0:1]
	;; [unrolled: 1-line block ×3, first 2 shown]
	v_mov_b32_e32 v1, v3
	s_delay_alu instid0(VALU_DEP_3) | instskip(NEXT) | instid1(VALU_DEP_3)
	v_mov_b32_e32 v0, v7
	v_mov_b32_e32 v2, v4
	s_branch .LBB157_89
.LBB157_88:
	s_mov_b32 s30, -1
                                        ; implicit-def: $vgpr1
                                        ; implicit-def: $vgpr2
                                        ; implicit-def: $vgpr0
.LBB157_89:
	s_delay_alu instid0(SALU_CYCLE_1)
	s_and_not1_b32 vcc_lo, exec_lo, s30
	s_cbranch_vccnz .LBB157_92
; %bb.90:
	s_waitcnt lgkmcnt(0)
	v_mul_hi_u32 v0, s13, v6
	s_and_not1_b32 vcc_lo, exec_lo, s27
	s_delay_alu instid0(VALU_DEP_1) | instskip(NEXT) | instid1(VALU_DEP_1)
	v_add_nc_u32_e32 v0, v6, v0
	v_lshrrev_b32_e32 v3, s14, v0
	s_delay_alu instid0(VALU_DEP_1) | instskip(NEXT) | instid1(VALU_DEP_1)
	v_mul_lo_u32 v0, v3, s12
	v_sub_nc_u32_e32 v0, v6, v0
	s_delay_alu instid0(VALU_DEP_1)
	v_mul_lo_u32 v1, v0, s8
	v_mul_lo_u32 v2, v0, s9
	;; [unrolled: 1-line block ×3, first 2 shown]
	s_cbranch_vccnz .LBB157_92
; %bb.91:
	v_mul_hi_u32 v4, s18, v3
	s_delay_alu instid0(VALU_DEP_1) | instskip(NEXT) | instid1(VALU_DEP_1)
	v_add_nc_u32_e32 v4, v3, v4
	v_lshrrev_b32_e32 v4, s19, v4
	s_delay_alu instid0(VALU_DEP_1) | instskip(NEXT) | instid1(VALU_DEP_1)
	v_mul_lo_u32 v4, v4, s15
	v_sub_nc_u32_e32 v7, v3, v4
	s_delay_alu instid0(VALU_DEP_1) | instskip(NEXT) | instid1(VALU_DEP_1)
	v_mad_u64_u32 v[3:4], null, v7, s11, v[1:2]
	v_mad_u64_u32 v[4:5], null, v7, s16, v[2:3]
	;; [unrolled: 1-line block ×3, first 2 shown]
	s_delay_alu instid0(VALU_DEP_2) | instskip(NEXT) | instid1(VALU_DEP_2)
	v_dual_mov_b32 v1, v3 :: v_dual_mov_b32 v2, v4
	v_mov_b32_e32 v0, v5
.LBB157_92:
	s_waitcnt lgkmcnt(0)
	global_load_u8 v0, v0, s[2:3]
	global_load_b32 v2, v2, s[6:7]
	s_waitcnt vmcnt(1)
	v_cvt_f32_ubyte0_e32 v0, v0
	s_waitcnt vmcnt(0)
	s_delay_alu instid0(VALU_DEP_1) | instskip(NEXT) | instid1(VALU_DEP_1)
	v_mul_f32_e32 v0, v2, v0
	v_mul_f32_e32 v0, s26, v0
	global_store_b32 v1, v0, s[4:5]
	s_or_b32 exec_lo, exec_lo, s29
                                        ; implicit-def: $vgpr12
                                        ; implicit-def: $vgpr6
	s_and_not1_saveexec_b32 s2, s25
	s_cbranch_execz .LBB157_76
	s_branch .LBB157_9
	.section	.rodata,"a",@progbits
	.p2align	6, 0x0
	.amdhsa_kernel _ZN2at6native32elementwise_kernel_manual_unrollILi128ELi4EZNS0_22gpu_kernel_impl_nocastIZNS0_12_GLOBAL__N_119masked_scale_kernelIhffEEvRNS_6TensorERKS5_S8_T1_EUlfhE_EEvRNS_18TensorIteratorBaseERKT_EUlibE_EEviS9_
		.amdhsa_group_segment_fixed_size 0
		.amdhsa_private_segment_fixed_size 0
		.amdhsa_kernarg_size 432
		.amdhsa_user_sgpr_count 15
		.amdhsa_user_sgpr_dispatch_ptr 0
		.amdhsa_user_sgpr_queue_ptr 0
		.amdhsa_user_sgpr_kernarg_segment_ptr 1
		.amdhsa_user_sgpr_dispatch_id 0
		.amdhsa_user_sgpr_private_segment_size 0
		.amdhsa_wavefront_size32 1
		.amdhsa_uses_dynamic_stack 0
		.amdhsa_enable_private_segment 0
		.amdhsa_system_sgpr_workgroup_id_x 1
		.amdhsa_system_sgpr_workgroup_id_y 0
		.amdhsa_system_sgpr_workgroup_id_z 0
		.amdhsa_system_sgpr_workgroup_info 0
		.amdhsa_system_vgpr_workitem_id 0
		.amdhsa_next_free_vgpr 20
		.amdhsa_next_free_sgpr 46
		.amdhsa_reserve_vcc 1
		.amdhsa_float_round_mode_32 0
		.amdhsa_float_round_mode_16_64 0
		.amdhsa_float_denorm_mode_32 3
		.amdhsa_float_denorm_mode_16_64 3
		.amdhsa_dx10_clamp 1
		.amdhsa_ieee_mode 1
		.amdhsa_fp16_overflow 0
		.amdhsa_workgroup_processor_mode 1
		.amdhsa_memory_ordered 1
		.amdhsa_forward_progress 0
		.amdhsa_shared_vgpr_count 0
		.amdhsa_exception_fp_ieee_invalid_op 0
		.amdhsa_exception_fp_denorm_src 0
		.amdhsa_exception_fp_ieee_div_zero 0
		.amdhsa_exception_fp_ieee_overflow 0
		.amdhsa_exception_fp_ieee_underflow 0
		.amdhsa_exception_fp_ieee_inexact 0
		.amdhsa_exception_int_div_zero 0
	.end_amdhsa_kernel
	.section	.text._ZN2at6native32elementwise_kernel_manual_unrollILi128ELi4EZNS0_22gpu_kernel_impl_nocastIZNS0_12_GLOBAL__N_119masked_scale_kernelIhffEEvRNS_6TensorERKS5_S8_T1_EUlfhE_EEvRNS_18TensorIteratorBaseERKT_EUlibE_EEviS9_,"axG",@progbits,_ZN2at6native32elementwise_kernel_manual_unrollILi128ELi4EZNS0_22gpu_kernel_impl_nocastIZNS0_12_GLOBAL__N_119masked_scale_kernelIhffEEvRNS_6TensorERKS5_S8_T1_EUlfhE_EEvRNS_18TensorIteratorBaseERKT_EUlibE_EEviS9_,comdat
.Lfunc_end157:
	.size	_ZN2at6native32elementwise_kernel_manual_unrollILi128ELi4EZNS0_22gpu_kernel_impl_nocastIZNS0_12_GLOBAL__N_119masked_scale_kernelIhffEEvRNS_6TensorERKS5_S8_T1_EUlfhE_EEvRNS_18TensorIteratorBaseERKT_EUlibE_EEviS9_, .Lfunc_end157-_ZN2at6native32elementwise_kernel_manual_unrollILi128ELi4EZNS0_22gpu_kernel_impl_nocastIZNS0_12_GLOBAL__N_119masked_scale_kernelIhffEEvRNS_6TensorERKS5_S8_T1_EUlfhE_EEvRNS_18TensorIteratorBaseERKT_EUlibE_EEviS9_
                                        ; -- End function
	.section	.AMDGPU.csdata,"",@progbits
; Kernel info:
; codeLenInByte = 5968
; NumSgprs: 48
; NumVgprs: 20
; ScratchSize: 0
; MemoryBound: 0
; FloatMode: 240
; IeeeMode: 1
; LDSByteSize: 0 bytes/workgroup (compile time only)
; SGPRBlocks: 5
; VGPRBlocks: 2
; NumSGPRsForWavesPerEU: 48
; NumVGPRsForWavesPerEU: 20
; Occupancy: 16
; WaveLimiterHint : 1
; COMPUTE_PGM_RSRC2:SCRATCH_EN: 0
; COMPUTE_PGM_RSRC2:USER_SGPR: 15
; COMPUTE_PGM_RSRC2:TRAP_HANDLER: 0
; COMPUTE_PGM_RSRC2:TGID_X_EN: 1
; COMPUTE_PGM_RSRC2:TGID_Y_EN: 0
; COMPUTE_PGM_RSRC2:TGID_Z_EN: 0
; COMPUTE_PGM_RSRC2:TIDIG_COMP_CNT: 0
	.section	.text._ZN2at6native32elementwise_kernel_manual_unrollILi128ELi4EZNS0_15gpu_kernel_implIZNS0_12_GLOBAL__N_119masked_scale_kernelIhffEEvRNS_6TensorERKS5_S8_T1_EUlfhE_EEvRNS_18TensorIteratorBaseERKT_EUlibE_EEviS9_,"axG",@progbits,_ZN2at6native32elementwise_kernel_manual_unrollILi128ELi4EZNS0_15gpu_kernel_implIZNS0_12_GLOBAL__N_119masked_scale_kernelIhffEEvRNS_6TensorERKS5_S8_T1_EUlfhE_EEvRNS_18TensorIteratorBaseERKT_EUlibE_EEviS9_,comdat
	.globl	_ZN2at6native32elementwise_kernel_manual_unrollILi128ELi4EZNS0_15gpu_kernel_implIZNS0_12_GLOBAL__N_119masked_scale_kernelIhffEEvRNS_6TensorERKS5_S8_T1_EUlfhE_EEvRNS_18TensorIteratorBaseERKT_EUlibE_EEviS9_ ; -- Begin function _ZN2at6native32elementwise_kernel_manual_unrollILi128ELi4EZNS0_15gpu_kernel_implIZNS0_12_GLOBAL__N_119masked_scale_kernelIhffEEvRNS_6TensorERKS5_S8_T1_EUlfhE_EEvRNS_18TensorIteratorBaseERKT_EUlibE_EEviS9_
	.p2align	8
	.type	_ZN2at6native32elementwise_kernel_manual_unrollILi128ELi4EZNS0_15gpu_kernel_implIZNS0_12_GLOBAL__N_119masked_scale_kernelIhffEEvRNS_6TensorERKS5_S8_T1_EUlfhE_EEvRNS_18TensorIteratorBaseERKT_EUlibE_EEviS9_,@function
_ZN2at6native32elementwise_kernel_manual_unrollILi128ELi4EZNS0_15gpu_kernel_implIZNS0_12_GLOBAL__N_119masked_scale_kernelIhffEEvRNS_6TensorERKS5_S8_T1_EUlfhE_EEvRNS_18TensorIteratorBaseERKT_EUlibE_EEviS9_: ; @_ZN2at6native32elementwise_kernel_manual_unrollILi128ELi4EZNS0_15gpu_kernel_implIZNS0_12_GLOBAL__N_119masked_scale_kernelIhffEEvRNS_6TensorERKS5_S8_T1_EUlfhE_EEvRNS_18TensorIteratorBaseERKT_EUlibE_EEviS9_
; %bb.0:
	s_clause 0x4
	s_load_b32 s12, s[0:1], 0x30
	s_load_b32 s17, s[0:1], 0x0
	s_load_b128 s[4:7], s[0:1], 0x8
	s_load_b64 s[2:3], s[0:1], 0x18
	s_load_b128 s[8:11], s[0:1], 0x20
	v_lshl_or_b32 v7, s15, 9, v0
	s_mov_b32 s13, 0
	s_mov_b32 s16, 0
	s_mov_b32 s0, exec_lo
	s_delay_alu instid0(VALU_DEP_1) | instskip(SKIP_3) | instid1(VALU_DEP_1)
	v_or_b32_e32 v0, 0x180, v7
	s_waitcnt lgkmcnt(0)
	s_lshr_b32 s14, s12, 8
	s_lshr_b32 s1, s12, 16
	v_cmpx_le_i32_e64 s17, v0
	s_xor_b32 s15, exec_lo, s0
	s_cbranch_execz .LBB158_1536
; %bb.1:
	s_mov_b32 s23, -1
	s_mov_b32 s21, 0
	s_mov_b32 s19, 0
	;; [unrolled: 1-line block ×3, first 2 shown]
	s_mov_b32 s20, exec_lo
	v_cmpx_gt_i32_e64 s17, v7
	s_cbranch_execz .LBB158_378
; %bb.2:
	v_mul_lo_u32 v0, v7, s9
	v_and_b32_e64 v2, 0xff, s14
	s_delay_alu instid0(VALU_DEP_1) | instskip(NEXT) | instid1(VALU_DEP_3)
	v_cmp_gt_i16_e32 vcc_lo, 11, v2
	v_ashrrev_i32_e32 v1, 31, v0
	v_add_co_u32 v0, s0, s6, v0
	s_delay_alu instid0(VALU_DEP_1)
	v_add_co_ci_u32_e64 v1, s0, s7, v1, s0
	s_cbranch_vccnz .LBB158_9
; %bb.3:
	v_cmp_lt_i16_e32 vcc_lo, 25, v2
	s_cbranch_vccz .LBB158_18
; %bb.4:
	v_cmp_lt_i16_e32 vcc_lo, 28, v2
	s_cbranch_vccz .LBB158_28
	;; [unrolled: 3-line block ×4, first 2 shown]
; %bb.7:
	v_cmp_eq_u16_e32 vcc_lo, 46, v2
	s_cbranch_vccz .LBB158_37
; %bb.8:
	global_load_b32 v3, v[0:1], off
	s_mov_b32 s0, -1
	s_waitcnt vmcnt(0)
	v_lshlrev_b32_e32 v4, 16, v3
	s_branch .LBB158_39
.LBB158_9:
	s_mov_b32 s0, 0
                                        ; implicit-def: $vgpr4
	s_cbranch_execnz .LBB158_105
.LBB158_10:
	s_and_not1_b32 vcc_lo, exec_lo, s0
	s_cbranch_vccnz .LBB158_152
.LBB158_11:
	v_mul_lo_u32 v0, v7, s10
	v_and_b32_e64 v5, 0xff, s1
	s_delay_alu instid0(VALU_DEP_1) | instskip(NEXT) | instid1(VALU_DEP_3)
	v_cmp_gt_i16_e32 vcc_lo, 11, v5
	v_ashrrev_i32_e32 v1, 31, v0
	v_add_co_u32 v0, s0, s2, v0
	s_delay_alu instid0(VALU_DEP_1)
	v_add_co_ci_u32_e64 v1, s0, s3, v1, s0
	s_cbranch_vccnz .LBB158_19
; %bb.12:
	v_cmp_lt_i16_e32 vcc_lo, 25, v5
	s_cbranch_vccz .LBB158_29
; %bb.13:
	v_cmp_lt_i16_e32 vcc_lo, 28, v5
	s_cbranch_vccz .LBB158_32
; %bb.14:
	v_cmp_lt_i16_e32 vcc_lo, 43, v5
	s_cbranch_vccz .LBB158_35
; %bb.15:
	v_cmp_lt_i16_e32 vcc_lo, 45, v5
	s_cbranch_vccz .LBB158_42
; %bb.16:
	v_cmp_eq_u16_e32 vcc_lo, 46, v5
	s_mov_b32 s16, 0
	s_cbranch_vccz .LBB158_153
; %bb.17:
	global_load_b32 v2, v[0:1], off
	s_mov_b32 s0, -1
	s_mov_b32 s18, 0
	s_waitcnt vmcnt(0)
	v_lshlrev_b32_e32 v2, 16, v2
	s_delay_alu instid0(VALU_DEP_1) | instskip(NEXT) | instid1(VALU_DEP_1)
	v_trunc_f32_e32 v2, v2
	v_mul_f32_e64 v3, 0x2f800000, |v2|
	s_delay_alu instid0(VALU_DEP_1) | instskip(NEXT) | instid1(VALU_DEP_1)
	v_floor_f32_e32 v3, v3
	v_fma_f32 v3, 0xcf800000, v3, |v2|
	v_ashrrev_i32_e32 v2, 31, v2
	s_delay_alu instid0(VALU_DEP_2) | instskip(NEXT) | instid1(VALU_DEP_1)
	v_cvt_u32_f32_e32 v3, v3
	v_xor_b32_e32 v3, v3, v2
	s_delay_alu instid0(VALU_DEP_1)
	v_sub_nc_u32_e32 v2, v3, v2
	s_branch .LBB158_155
.LBB158_18:
	s_mov_b32 s0, 0
                                        ; implicit-def: $vgpr4
	s_cbranch_execnz .LBB158_70
	s_branch .LBB158_104
.LBB158_19:
	s_mov_b32 s18, 0
	s_mov_b32 s0, 0
                                        ; implicit-def: $vgpr2
	s_cbranch_execnz .LBB158_327
.LBB158_20:
	s_and_not1_b32 vcc_lo, exec_lo, s0
	s_cbranch_vccnz .LBB158_375
.LBB158_21:
	v_mul_lo_u32 v1, v7, s8
	s_waitcnt vmcnt(0)
	s_delay_alu instid0(VALU_DEP_2) | instskip(SKIP_1) | instid1(VALU_DEP_2)
	v_cvt_f32_ubyte0_e32 v0, v2
	v_and_b32_e64 v5, 0xff, s12
	v_mul_f32_e32 v0, v4, v0
	s_delay_alu instid0(VALU_DEP_2) | instskip(SKIP_1) | instid1(VALU_DEP_3)
	v_cmp_gt_i16_e32 vcc_lo, 11, v5
	v_ashrrev_i32_e32 v3, 31, v1
	v_mul_f32_e32 v2, s11, v0
	v_add_co_u32 v0, s0, s4, v1
	s_delay_alu instid0(VALU_DEP_1)
	v_add_co_ci_u32_e64 v1, s0, s5, v3, s0
	s_cbranch_vccnz .LBB158_30
; %bb.22:
	v_cmp_lt_i16_e32 vcc_lo, 25, v5
	s_cbranch_vccz .LBB158_33
; %bb.23:
	v_cmp_lt_i16_e32 vcc_lo, 28, v5
	s_cbranch_vccz .LBB158_36
	;; [unrolled: 3-line block ×4, first 2 shown]
; %bb.26:
	v_cmp_eq_u16_e32 vcc_lo, 46, v5
	s_mov_b32 s22, 0
	s_mov_b32 s0, -1
	s_mov_b32 s16, 0
	s_cbranch_vccz .LBB158_159
; %bb.27:
	v_bfe_u32 v3, v2, 16, 1
	v_cmp_o_f32_e32 vcc_lo, v2, v2
	s_mov_b32 s16, -1
	s_mov_b32 s0, 0
	s_delay_alu instid0(VALU_DEP_2) | instskip(NEXT) | instid1(VALU_DEP_1)
	v_add3_u32 v3, v2, v3, 0x7fff
	v_lshrrev_b32_e32 v3, 16, v3
	s_delay_alu instid0(VALU_DEP_1)
	v_cndmask_b32_e32 v3, 0x7fc0, v3, vcc_lo
	global_store_b32 v[0:1], v3, off
	s_branch .LBB158_159
.LBB158_28:
	s_mov_b32 s16, -1
	s_mov_b32 s0, 0
                                        ; implicit-def: $vgpr4
	s_branch .LBB158_51
.LBB158_29:
	s_mov_b32 s16, -1
	s_mov_b32 s18, 0
	s_mov_b32 s0, 0
                                        ; implicit-def: $vgpr2
	s_branch .LBB158_293
.LBB158_30:
	s_mov_b32 s22, -1
	s_mov_b32 s0, 0
	s_mov_b32 s16, 0
	s_branch .LBB158_228
.LBB158_31:
	s_mov_b32 s16, -1
	s_mov_b32 s0, 0
                                        ; implicit-def: $vgpr4
	s_branch .LBB158_46
.LBB158_32:
	s_mov_b32 s16, -1
	s_mov_b32 s18, 0
	s_mov_b32 s0, 0
                                        ; implicit-def: $vgpr2
	s_branch .LBB158_276
.LBB158_33:
	s_mov_b32 s22, -1
	s_mov_b32 s0, 0
	s_mov_b32 s16, 0
	s_branch .LBB158_186
.LBB158_34:
	s_mov_b32 s16, -1
	s_branch .LBB158_38
.LBB158_35:
	s_mov_b32 s16, -1
	s_mov_b32 s18, 0
	s_mov_b32 s0, 0
                                        ; implicit-def: $vgpr2
	s_branch .LBB158_271
.LBB158_36:
	s_mov_b32 s22, -1
	s_mov_b32 s0, 0
	s_mov_b32 s16, 0
	s_branch .LBB158_169
.LBB158_37:
	s_mov_b32 s19, -1
.LBB158_38:
	s_mov_b32 s0, 0
                                        ; implicit-def: $vgpr4
.LBB158_39:
	s_and_b32 vcc_lo, exec_lo, s16
	s_cbranch_vccz .LBB158_45
; %bb.40:
	v_cmp_eq_u16_e32 vcc_lo, 44, v2
	s_cbranch_vccz .LBB158_44
; %bb.41:
	global_load_u8 v3, v[0:1], off
	s_mov_b32 s19, 0
	s_mov_b32 s0, -1
	s_waitcnt vmcnt(0)
	v_lshlrev_b32_e32 v4, 23, v3
	v_cmp_ne_u32_e32 vcc_lo, 0xff, v3
	s_delay_alu instid0(VALU_DEP_2) | instskip(SKIP_1) | instid1(VALU_DEP_2)
	v_cndmask_b32_e32 v4, 0x7f800001, v4, vcc_lo
	v_cmp_ne_u32_e32 vcc_lo, 0, v3
	v_cndmask_b32_e32 v4, 0x400000, v4, vcc_lo
	s_branch .LBB158_45
.LBB158_42:
	s_mov_b32 s16, -1
	s_mov_b32 s18, 0
	s_branch .LBB158_154
.LBB158_43:
	s_mov_b32 s22, -1
	s_mov_b32 s0, 0
	s_mov_b32 s16, 0
	s_branch .LBB158_165
.LBB158_44:
	s_mov_b32 s19, -1
                                        ; implicit-def: $vgpr4
.LBB158_45:
	s_mov_b32 s16, 0
.LBB158_46:
	s_delay_alu instid0(SALU_CYCLE_1)
	s_and_b32 vcc_lo, exec_lo, s16
	s_cbranch_vccz .LBB158_50
; %bb.47:
	v_cmp_eq_u16_e32 vcc_lo, 29, v2
	s_cbranch_vccz .LBB158_49
; %bb.48:
	global_load_b64 v[3:4], v[0:1], off
	s_mov_b32 s0, -1
	s_mov_b32 s19, 0
	s_mov_b32 s16, 0
	s_waitcnt vmcnt(0)
	v_clz_i32_u32_e32 v5, v4
	s_delay_alu instid0(VALU_DEP_1) | instskip(NEXT) | instid1(VALU_DEP_1)
	v_min_u32_e32 v5, 32, v5
	v_lshlrev_b64 v[3:4], v5, v[3:4]
	s_delay_alu instid0(VALU_DEP_1) | instskip(NEXT) | instid1(VALU_DEP_1)
	v_min_u32_e32 v3, 1, v3
	v_or_b32_e32 v3, v4, v3
	v_sub_nc_u32_e32 v4, 32, v5
	s_delay_alu instid0(VALU_DEP_2) | instskip(NEXT) | instid1(VALU_DEP_1)
	v_cvt_f32_u32_e32 v3, v3
	v_ldexp_f32 v4, v3, v4
	s_branch .LBB158_51
.LBB158_49:
	s_mov_b32 s19, -1
                                        ; implicit-def: $vgpr4
.LBB158_50:
	s_mov_b32 s16, 0
.LBB158_51:
	s_delay_alu instid0(SALU_CYCLE_1)
	s_and_b32 vcc_lo, exec_lo, s16
	s_cbranch_vccz .LBB158_69
; %bb.52:
	v_cmp_gt_i16_e32 vcc_lo, 27, v2
	s_cbranch_vccnz .LBB158_55
; %bb.53:
	v_cmp_lt_i16_e32 vcc_lo, 27, v2
	s_cbranch_vccz .LBB158_56
; %bb.54:
	global_load_b32 v3, v[0:1], off
	s_mov_b32 s0, 0
	s_waitcnt vmcnt(0)
	v_cvt_f32_u32_e32 v4, v3
	s_branch .LBB158_57
.LBB158_55:
	s_mov_b32 s0, -1
                                        ; implicit-def: $vgpr4
	s_branch .LBB158_60
.LBB158_56:
	s_mov_b32 s0, -1
                                        ; implicit-def: $vgpr4
.LBB158_57:
	s_delay_alu instid0(SALU_CYCLE_1)
	s_and_not1_b32 vcc_lo, exec_lo, s0
	s_cbranch_vccnz .LBB158_59
; %bb.58:
	global_load_u16 v3, v[0:1], off
	s_waitcnt vmcnt(0)
	v_cvt_f32_u32_e32 v4, v3
.LBB158_59:
	s_mov_b32 s0, 0
.LBB158_60:
	s_delay_alu instid0(SALU_CYCLE_1)
	s_and_not1_b32 vcc_lo, exec_lo, s0
	s_cbranch_vccnz .LBB158_68
; %bb.61:
	global_load_u8 v3, v[0:1], off
	s_mov_b32 s0, 0
	s_mov_b32 s18, exec_lo
                                        ; implicit-def: $sgpr16
	s_waitcnt vmcnt(0)
	v_cmpx_lt_i16_e32 0x7f, v3
	s_xor_b32 s18, exec_lo, s18
	s_cbranch_execz .LBB158_81
; %bb.62:
	s_mov_b32 s0, -1
	s_mov_b32 s22, exec_lo
                                        ; implicit-def: $sgpr16
	v_cmpx_eq_u16_e32 0x80, v3
; %bb.63:
	s_mov_b32 s16, 0x7f800001
	s_xor_b32 s0, exec_lo, -1
; %bb.64:
	s_or_b32 exec_lo, exec_lo, s22
	s_delay_alu instid0(SALU_CYCLE_1)
	s_and_b32 s0, s0, exec_lo
	s_or_saveexec_b32 s18, s18
	v_mov_b32_e32 v4, s16
	s_xor_b32 exec_lo, exec_lo, s18
	s_cbranch_execnz .LBB158_82
.LBB158_65:
	s_or_b32 exec_lo, exec_lo, s18
	s_and_saveexec_b32 s16, s0
	s_cbranch_execz .LBB158_67
.LBB158_66:
	v_and_b32_e32 v4, 0xffff, v3
	v_lshlrev_b32_e32 v3, 24, v3
	s_delay_alu instid0(VALU_DEP_2) | instskip(NEXT) | instid1(VALU_DEP_2)
	v_and_b32_e32 v5, 7, v4
	v_and_b32_e32 v3, 0x80000000, v3
	s_delay_alu instid0(VALU_DEP_2) | instskip(NEXT) | instid1(VALU_DEP_1)
	v_clz_i32_u32_e32 v6, v5
	v_min_u32_e32 v6, 32, v6
	s_delay_alu instid0(VALU_DEP_1) | instskip(SKIP_1) | instid1(VALU_DEP_2)
	v_subrev_nc_u32_e32 v8, 28, v6
	v_sub_nc_u32_e32 v6, 29, v6
	v_lshlrev_b32_e32 v8, v8, v4
	v_bfe_u32 v4, v4, 3, 4
	s_delay_alu instid0(VALU_DEP_2) | instskip(NEXT) | instid1(VALU_DEP_2)
	v_and_b32_e32 v8, 7, v8
	v_cmp_eq_u32_e32 vcc_lo, 0, v4
	s_delay_alu instid0(VALU_DEP_2) | instskip(NEXT) | instid1(VALU_DEP_1)
	v_dual_cndmask_b32 v4, v4, v6 :: v_dual_cndmask_b32 v5, v5, v8
	v_lshl_add_u32 v4, v4, 23, 0x3b800000
	s_delay_alu instid0(VALU_DEP_2) | instskip(NEXT) | instid1(VALU_DEP_1)
	v_lshlrev_b32_e32 v5, 20, v5
	v_or3_b32 v4, v3, v4, v5
.LBB158_67:
	s_or_b32 exec_lo, exec_lo, s16
.LBB158_68:
	s_mov_b32 s0, -1
.LBB158_69:
	s_branch .LBB158_104
.LBB158_70:
	v_cmp_lt_i16_e32 vcc_lo, 22, v2
	s_cbranch_vccz .LBB158_80
; %bb.71:
	v_cmp_gt_i16_e32 vcc_lo, 24, v2
	s_cbranch_vccnz .LBB158_83
; %bb.72:
	v_cmp_lt_i16_e32 vcc_lo, 24, v2
	s_cbranch_vccz .LBB158_84
; %bb.73:
	global_load_u8 v3, v[0:1], off
	s_mov_b32 s0, 0
	s_mov_b32 s18, exec_lo
                                        ; implicit-def: $sgpr16
	s_waitcnt vmcnt(0)
	v_cmpx_lt_i16_e32 0x7f, v3
	s_xor_b32 s18, exec_lo, s18
	s_cbranch_execz .LBB158_96
; %bb.74:
	s_mov_b32 s0, -1
	s_mov_b32 s22, exec_lo
                                        ; implicit-def: $sgpr16
	v_cmpx_eq_u16_e32 0x80, v3
; %bb.75:
	s_mov_b32 s16, 0x7f800001
	s_xor_b32 s0, exec_lo, -1
; %bb.76:
	s_or_b32 exec_lo, exec_lo, s22
	s_delay_alu instid0(SALU_CYCLE_1)
	s_and_b32 s0, s0, exec_lo
	s_or_saveexec_b32 s18, s18
	v_mov_b32_e32 v4, s16
	s_xor_b32 exec_lo, exec_lo, s18
	s_cbranch_execnz .LBB158_97
.LBB158_77:
	s_or_b32 exec_lo, exec_lo, s18
	s_and_saveexec_b32 s16, s0
	s_cbranch_execz .LBB158_79
.LBB158_78:
	v_and_b32_e32 v4, 0xffff, v3
	v_lshlrev_b32_e32 v3, 24, v3
	s_delay_alu instid0(VALU_DEP_2) | instskip(NEXT) | instid1(VALU_DEP_2)
	v_and_b32_e32 v5, 3, v4
	v_and_b32_e32 v3, 0x80000000, v3
	s_delay_alu instid0(VALU_DEP_2) | instskip(NEXT) | instid1(VALU_DEP_1)
	v_clz_i32_u32_e32 v6, v5
	v_min_u32_e32 v6, 32, v6
	s_delay_alu instid0(VALU_DEP_1) | instskip(SKIP_1) | instid1(VALU_DEP_2)
	v_subrev_nc_u32_e32 v8, 29, v6
	v_sub_nc_u32_e32 v6, 30, v6
	v_lshlrev_b32_e32 v8, v8, v4
	v_bfe_u32 v4, v4, 2, 5
	s_delay_alu instid0(VALU_DEP_2) | instskip(NEXT) | instid1(VALU_DEP_2)
	v_and_b32_e32 v8, 3, v8
	v_cmp_eq_u32_e32 vcc_lo, 0, v4
	s_delay_alu instid0(VALU_DEP_2) | instskip(NEXT) | instid1(VALU_DEP_1)
	v_dual_cndmask_b32 v4, v4, v6 :: v_dual_cndmask_b32 v5, v5, v8
	v_lshl_add_u32 v4, v4, 23, 0x37800000
	s_delay_alu instid0(VALU_DEP_2) | instskip(NEXT) | instid1(VALU_DEP_1)
	v_lshlrev_b32_e32 v5, 21, v5
	v_or3_b32 v4, v3, v4, v5
.LBB158_79:
	s_or_b32 exec_lo, exec_lo, s16
	s_mov_b32 s0, 0
	s_branch .LBB158_85
.LBB158_80:
	s_mov_b32 s16, -1
                                        ; implicit-def: $vgpr4
	s_branch .LBB158_91
.LBB158_81:
	s_or_saveexec_b32 s18, s18
	v_mov_b32_e32 v4, s16
	s_xor_b32 exec_lo, exec_lo, s18
	s_cbranch_execz .LBB158_65
.LBB158_82:
	v_cmp_ne_u16_e32 vcc_lo, 0, v3
	v_mov_b32_e32 v4, 0
	s_and_not1_b32 s0, s0, exec_lo
	s_and_b32 s16, vcc_lo, exec_lo
	s_delay_alu instid0(SALU_CYCLE_1)
	s_or_b32 s0, s0, s16
	s_or_b32 exec_lo, exec_lo, s18
	s_and_saveexec_b32 s16, s0
	s_cbranch_execnz .LBB158_66
	s_branch .LBB158_67
.LBB158_83:
	s_mov_b32 s0, -1
                                        ; implicit-def: $vgpr4
	s_branch .LBB158_88
.LBB158_84:
	s_mov_b32 s0, -1
                                        ; implicit-def: $vgpr4
.LBB158_85:
	s_delay_alu instid0(SALU_CYCLE_1)
	s_and_b32 vcc_lo, exec_lo, s0
	s_cbranch_vccz .LBB158_87
; %bb.86:
	global_load_u8 v3, v[0:1], off
	s_waitcnt vmcnt(0)
	v_lshlrev_b32_e32 v3, 24, v3
	s_delay_alu instid0(VALU_DEP_1) | instskip(NEXT) | instid1(VALU_DEP_1)
	v_and_b32_e32 v4, 0x7f000000, v3
	v_clz_i32_u32_e32 v5, v4
	v_add_nc_u32_e32 v8, 0x1000000, v4
	v_cmp_ne_u32_e32 vcc_lo, 0, v4
	s_delay_alu instid0(VALU_DEP_3) | instskip(NEXT) | instid1(VALU_DEP_1)
	v_min_u32_e32 v5, 32, v5
	v_sub_nc_u32_e64 v5, v5, 4 clamp
	s_delay_alu instid0(VALU_DEP_1) | instskip(SKIP_1) | instid1(VALU_DEP_2)
	v_lshlrev_b32_e32 v6, v5, v4
	v_lshlrev_b32_e32 v5, 23, v5
	v_lshrrev_b32_e32 v6, 4, v6
	s_delay_alu instid0(VALU_DEP_1) | instskip(SKIP_1) | instid1(VALU_DEP_2)
	v_sub_nc_u32_e32 v5, v6, v5
	v_ashrrev_i32_e32 v6, 8, v8
	v_add_nc_u32_e32 v5, 0x3c000000, v5
	s_delay_alu instid0(VALU_DEP_1) | instskip(NEXT) | instid1(VALU_DEP_1)
	v_and_or_b32 v5, 0x7f800000, v6, v5
	v_cndmask_b32_e32 v4, 0, v5, vcc_lo
	s_delay_alu instid0(VALU_DEP_1)
	v_and_or_b32 v4, 0x80000000, v3, v4
.LBB158_87:
	s_mov_b32 s0, 0
.LBB158_88:
	s_delay_alu instid0(SALU_CYCLE_1)
	s_and_not1_b32 vcc_lo, exec_lo, s0
	s_cbranch_vccnz .LBB158_90
; %bb.89:
	global_load_u8 v3, v[0:1], off
	s_waitcnt vmcnt(0)
	v_lshlrev_b32_e32 v4, 25, v3
	v_lshlrev_b16 v3, 8, v3
	s_delay_alu instid0(VALU_DEP_2) | instskip(NEXT) | instid1(VALU_DEP_2)
	v_lshrrev_b32_e32 v5, 4, v4
	v_and_or_b32 v6, 0x7f00, v3, 0.5
	v_bfe_i32 v3, v3, 0, 16
	s_delay_alu instid0(VALU_DEP_3) | instskip(NEXT) | instid1(VALU_DEP_1)
	v_or_b32_e32 v5, 0x70000000, v5
	v_dual_add_f32 v6, -0.5, v6 :: v_dual_mul_f32 v5, 0x7800000, v5
	v_cmp_gt_u32_e32 vcc_lo, 0x8000000, v4
	s_delay_alu instid0(VALU_DEP_2) | instskip(NEXT) | instid1(VALU_DEP_1)
	v_cndmask_b32_e32 v4, v5, v6, vcc_lo
	v_and_or_b32 v4, 0x80000000, v3, v4
.LBB158_90:
	s_mov_b32 s16, 0
	s_mov_b32 s0, -1
.LBB158_91:
	s_and_not1_b32 vcc_lo, exec_lo, s16
	s_cbranch_vccnz .LBB158_104
; %bb.92:
	v_cmp_lt_i16_e32 vcc_lo, 14, v2
	s_cbranch_vccz .LBB158_95
; %bb.93:
	v_cmp_eq_u16_e32 vcc_lo, 15, v2
	s_cbranch_vccz .LBB158_98
; %bb.94:
	global_load_u16 v3, v[0:1], off
	s_mov_b32 s0, -1
	s_mov_b32 s19, 0
	s_waitcnt vmcnt(0)
	v_lshlrev_b32_e32 v4, 16, v3
	s_branch .LBB158_99
.LBB158_95:
	s_mov_b32 s16, -1
                                        ; implicit-def: $vgpr4
	s_branch .LBB158_100
.LBB158_96:
	s_or_saveexec_b32 s18, s18
	v_mov_b32_e32 v4, s16
	s_xor_b32 exec_lo, exec_lo, s18
	s_cbranch_execz .LBB158_77
.LBB158_97:
	v_cmp_ne_u16_e32 vcc_lo, 0, v3
	v_mov_b32_e32 v4, 0
	s_and_not1_b32 s0, s0, exec_lo
	s_and_b32 s16, vcc_lo, exec_lo
	s_delay_alu instid0(SALU_CYCLE_1)
	s_or_b32 s0, s0, s16
	s_or_b32 exec_lo, exec_lo, s18
	s_and_saveexec_b32 s16, s0
	s_cbranch_execnz .LBB158_78
	s_branch .LBB158_79
.LBB158_98:
	s_mov_b32 s19, -1
                                        ; implicit-def: $vgpr4
.LBB158_99:
	s_mov_b32 s16, 0
.LBB158_100:
	s_delay_alu instid0(SALU_CYCLE_1)
	s_and_b32 vcc_lo, exec_lo, s16
	s_cbranch_vccz .LBB158_104
; %bb.101:
	v_cmp_eq_u16_e32 vcc_lo, 11, v2
	s_cbranch_vccz .LBB158_103
; %bb.102:
	global_load_u8 v3, v[0:1], off
	s_mov_b32 s19, 0
	s_mov_b32 s0, -1
	s_waitcnt vmcnt(0)
	v_cmp_ne_u16_e32 vcc_lo, 0, v3
	v_cndmask_b32_e64 v4, 0, 1.0, vcc_lo
	s_branch .LBB158_104
.LBB158_103:
	s_mov_b32 s19, -1
                                        ; implicit-def: $vgpr4
.LBB158_104:
	s_branch .LBB158_10
.LBB158_105:
	v_cmp_gt_i16_e32 vcc_lo, 5, v2
	s_cbranch_vccnz .LBB158_110
; %bb.106:
	v_cmp_gt_i16_e32 vcc_lo, 8, v2
	s_cbranch_vccnz .LBB158_111
; %bb.107:
	;; [unrolled: 3-line block ×3, first 2 shown]
	v_cmp_lt_i16_e32 vcc_lo, 9, v2
	s_cbranch_vccz .LBB158_113
; %bb.109:
	global_load_b64 v[3:4], v[0:1], off
	s_mov_b32 s0, 0
	s_waitcnt vmcnt(0)
	v_cvt_f32_f64_e32 v4, v[3:4]
	s_branch .LBB158_114
.LBB158_110:
                                        ; implicit-def: $vgpr4
	s_branch .LBB158_132
.LBB158_111:
	s_mov_b32 s0, -1
                                        ; implicit-def: $vgpr4
	s_branch .LBB158_120
.LBB158_112:
	s_mov_b32 s0, -1
                                        ; implicit-def: $vgpr4
	s_branch .LBB158_117
.LBB158_113:
	s_mov_b32 s0, -1
                                        ; implicit-def: $vgpr4
.LBB158_114:
	s_delay_alu instid0(SALU_CYCLE_1)
	s_and_not1_b32 vcc_lo, exec_lo, s0
	s_cbranch_vccnz .LBB158_116
; %bb.115:
	global_load_b32 v4, v[0:1], off
.LBB158_116:
	s_mov_b32 s0, 0
.LBB158_117:
	s_delay_alu instid0(SALU_CYCLE_1)
	s_and_not1_b32 vcc_lo, exec_lo, s0
	s_cbranch_vccnz .LBB158_119
; %bb.118:
	global_load_b32 v3, v[0:1], off
	s_waitcnt vmcnt(0)
	v_cvt_f32_f16_e32 v4, v3
.LBB158_119:
	s_mov_b32 s0, 0
.LBB158_120:
	s_delay_alu instid0(SALU_CYCLE_1)
	s_and_not1_b32 vcc_lo, exec_lo, s0
	s_cbranch_vccnz .LBB158_131
; %bb.121:
	v_cmp_gt_i16_e32 vcc_lo, 6, v2
	s_cbranch_vccnz .LBB158_124
; %bb.122:
	v_cmp_lt_i16_e32 vcc_lo, 6, v2
	s_cbranch_vccz .LBB158_125
; %bb.123:
	global_load_b64 v[3:4], v[0:1], off
	s_mov_b32 s0, 0
	s_waitcnt vmcnt(0)
	v_cvt_f32_f64_e32 v4, v[3:4]
	s_branch .LBB158_126
.LBB158_124:
	s_mov_b32 s0, -1
                                        ; implicit-def: $vgpr4
	s_branch .LBB158_129
.LBB158_125:
	s_mov_b32 s0, -1
                                        ; implicit-def: $vgpr4
.LBB158_126:
	s_delay_alu instid0(SALU_CYCLE_1)
	s_and_not1_b32 vcc_lo, exec_lo, s0
	s_cbranch_vccnz .LBB158_128
; %bb.127:
	global_load_b32 v4, v[0:1], off
.LBB158_128:
	s_mov_b32 s0, 0
.LBB158_129:
	s_delay_alu instid0(SALU_CYCLE_1)
	s_and_not1_b32 vcc_lo, exec_lo, s0
	s_cbranch_vccnz .LBB158_131
; %bb.130:
	global_load_u16 v3, v[0:1], off
	s_waitcnt vmcnt(0)
	v_cvt_f32_f16_e32 v4, v3
.LBB158_131:
	s_cbranch_execnz .LBB158_151
.LBB158_132:
	v_cmp_gt_i16_e32 vcc_lo, 2, v2
	s_cbranch_vccnz .LBB158_136
; %bb.133:
	v_cmp_gt_i16_e32 vcc_lo, 3, v2
	s_cbranch_vccnz .LBB158_137
; %bb.134:
	v_cmp_lt_i16_e32 vcc_lo, 3, v2
	s_cbranch_vccz .LBB158_138
; %bb.135:
	global_load_b64 v[3:4], v[0:1], off
	s_mov_b32 s0, 0
	s_waitcnt vmcnt(0)
	v_xor_b32_e32 v5, v3, v4
	v_cls_i32_e32 v6, v4
	s_delay_alu instid0(VALU_DEP_2) | instskip(NEXT) | instid1(VALU_DEP_2)
	v_ashrrev_i32_e32 v5, 31, v5
	v_add_nc_u32_e32 v6, -1, v6
	s_delay_alu instid0(VALU_DEP_2) | instskip(NEXT) | instid1(VALU_DEP_1)
	v_add_nc_u32_e32 v5, 32, v5
	v_min_u32_e32 v5, v6, v5
	s_delay_alu instid0(VALU_DEP_1) | instskip(NEXT) | instid1(VALU_DEP_1)
	v_lshlrev_b64 v[3:4], v5, v[3:4]
	v_min_u32_e32 v3, 1, v3
	s_delay_alu instid0(VALU_DEP_1) | instskip(SKIP_1) | instid1(VALU_DEP_2)
	v_or_b32_e32 v3, v4, v3
	v_sub_nc_u32_e32 v4, 32, v5
	v_cvt_f32_i32_e32 v3, v3
	s_delay_alu instid0(VALU_DEP_1)
	v_ldexp_f32 v4, v3, v4
	s_branch .LBB158_139
.LBB158_136:
	s_mov_b32 s0, -1
                                        ; implicit-def: $vgpr4
	s_branch .LBB158_145
.LBB158_137:
	s_mov_b32 s0, -1
                                        ; implicit-def: $vgpr4
	s_branch .LBB158_142
.LBB158_138:
	s_mov_b32 s0, -1
                                        ; implicit-def: $vgpr4
.LBB158_139:
	s_delay_alu instid0(SALU_CYCLE_1)
	s_and_not1_b32 vcc_lo, exec_lo, s0
	s_cbranch_vccnz .LBB158_141
; %bb.140:
	global_load_b32 v3, v[0:1], off
	s_waitcnt vmcnt(0)
	v_cvt_f32_i32_e32 v4, v3
.LBB158_141:
	s_mov_b32 s0, 0
.LBB158_142:
	s_delay_alu instid0(SALU_CYCLE_1)
	s_and_not1_b32 vcc_lo, exec_lo, s0
	s_cbranch_vccnz .LBB158_144
; %bb.143:
	global_load_i16 v3, v[0:1], off
	s_waitcnt vmcnt(0)
	v_cvt_f32_i32_e32 v4, v3
.LBB158_144:
	s_mov_b32 s0, 0
.LBB158_145:
	s_delay_alu instid0(SALU_CYCLE_1)
	s_and_not1_b32 vcc_lo, exec_lo, s0
	s_cbranch_vccnz .LBB158_151
; %bb.146:
	v_cmp_lt_i16_e32 vcc_lo, 0, v2
	s_mov_b32 s0, 0
	s_cbranch_vccz .LBB158_148
; %bb.147:
	global_load_i8 v2, v[0:1], off
	s_waitcnt vmcnt(0)
	v_cvt_f32_i32_e32 v4, v2
	s_branch .LBB158_149
.LBB158_148:
	s_mov_b32 s0, -1
                                        ; implicit-def: $vgpr4
.LBB158_149:
	s_delay_alu instid0(SALU_CYCLE_1)
	s_and_not1_b32 vcc_lo, exec_lo, s0
	s_cbranch_vccnz .LBB158_151
; %bb.150:
	global_load_u8 v0, v[0:1], off
	s_waitcnt vmcnt(0)
	v_cvt_f32_ubyte0_e32 v4, v0
.LBB158_151:
	s_branch .LBB158_11
.LBB158_152:
	s_mov_b32 s0, 0
	s_mov_b32 s18, 0
	s_branch .LBB158_376
.LBB158_153:
	s_mov_b32 s18, -1
.LBB158_154:
	s_mov_b32 s0, 0
                                        ; implicit-def: $vgpr2
.LBB158_155:
	s_and_b32 vcc_lo, exec_lo, s16
	s_cbranch_vccz .LBB158_270
; %bb.156:
	v_cmp_eq_u16_e32 vcc_lo, 44, v5
	s_cbranch_vccz .LBB158_269
; %bb.157:
	global_load_u8 v2, v[0:1], off
	s_mov_b32 s18, 0
	s_mov_b32 s0, -1
	s_waitcnt vmcnt(0)
	v_lshlrev_b32_e32 v3, 23, v2
	v_cmp_ne_u32_e32 vcc_lo, 0, v2
	s_delay_alu instid0(VALU_DEP_2) | instskip(NEXT) | instid1(VALU_DEP_1)
	v_trunc_f32_e32 v3, v3
	v_mul_f32_e64 v6, 0x2f800000, |v3|
	s_delay_alu instid0(VALU_DEP_1) | instskip(NEXT) | instid1(VALU_DEP_1)
	v_floor_f32_e32 v6, v6
	v_fma_f32 v6, 0xcf800000, v6, |v3|
	v_ashrrev_i32_e32 v3, 31, v3
	s_delay_alu instid0(VALU_DEP_2) | instskip(NEXT) | instid1(VALU_DEP_1)
	v_cvt_u32_f32_e32 v6, v6
	v_xor_b32_e32 v6, v6, v3
	s_delay_alu instid0(VALU_DEP_1) | instskip(NEXT) | instid1(VALU_DEP_1)
	v_sub_nc_u32_e32 v3, v6, v3
	v_cndmask_b32_e32 v2, 0, v3, vcc_lo
	s_branch .LBB158_270
.LBB158_158:
	s_mov_b32 s22, -1
	s_mov_b32 s0, 0
	s_mov_b32 s16, 0
.LBB158_159:
	s_and_b32 vcc_lo, exec_lo, s22
	s_cbranch_vccz .LBB158_164
; %bb.160:
	v_cmp_eq_u16_e32 vcc_lo, 44, v5
	s_mov_b32 s0, -1
	s_cbranch_vccz .LBB158_164
; %bb.161:
	v_bfe_u32 v4, v2, 23, 8
	v_mov_b32_e32 v3, 0xff
	s_mov_b32 s16, exec_lo
	s_delay_alu instid0(VALU_DEP_2)
	v_cmpx_ne_u32_e32 0xff, v4
; %bb.162:
	v_and_b32_e32 v3, 0x400000, v2
	v_and_or_b32 v4, 0x3fffff, v2, v4
	s_delay_alu instid0(VALU_DEP_2) | instskip(NEXT) | instid1(VALU_DEP_2)
	v_cmp_ne_u32_e32 vcc_lo, 0, v3
	v_cmp_ne_u32_e64 s0, 0, v4
	v_lshrrev_b32_e32 v3, 23, v2
	s_delay_alu instid0(VALU_DEP_2) | instskip(NEXT) | instid1(SALU_CYCLE_1)
	s_and_b32 s0, vcc_lo, s0
	v_cndmask_b32_e64 v4, 0, 1, s0
	s_delay_alu instid0(VALU_DEP_1)
	v_add_nc_u32_e32 v3, v3, v4
; %bb.163:
	s_or_b32 exec_lo, exec_lo, s16
	s_mov_b32 s16, -1
	s_mov_b32 s0, 0
	global_store_b8 v[0:1], v3, off
.LBB158_164:
	s_mov_b32 s22, 0
.LBB158_165:
	s_delay_alu instid0(SALU_CYCLE_1)
	s_and_b32 vcc_lo, exec_lo, s22
	s_cbranch_vccz .LBB158_168
; %bb.166:
	v_cmp_eq_u16_e32 vcc_lo, 29, v5
	s_mov_b32 s0, -1
	s_cbranch_vccz .LBB158_168
; %bb.167:
	v_trunc_f32_e32 v3, v2
	s_mov_b32 s16, -1
	s_mov_b32 s0, 0
	s_mov_b32 s22, 0
	s_delay_alu instid0(VALU_DEP_1) | instskip(NEXT) | instid1(VALU_DEP_1)
	v_mul_f32_e32 v4, 0x2f800000, v3
	v_floor_f32_e32 v4, v4
	s_delay_alu instid0(VALU_DEP_1) | instskip(SKIP_1) | instid1(VALU_DEP_2)
	v_fmamk_f32 v3, v4, 0xcf800000, v3
	v_cvt_u32_f32_e32 v4, v4
	v_cvt_u32_f32_e32 v3, v3
	global_store_b64 v[0:1], v[3:4], off
	s_branch .LBB158_169
.LBB158_168:
	s_mov_b32 s22, 0
.LBB158_169:
	s_delay_alu instid0(SALU_CYCLE_1)
	s_and_b32 vcc_lo, exec_lo, s22
	s_cbranch_vccz .LBB158_185
; %bb.170:
	v_cmp_gt_i16_e32 vcc_lo, 27, v5
	s_mov_b32 s16, -1
	s_cbranch_vccnz .LBB158_176
; %bb.171:
	v_cmp_lt_i16_e32 vcc_lo, 27, v5
	s_cbranch_vccz .LBB158_173
; %bb.172:
	v_cvt_u32_f32_e32 v3, v2
	s_mov_b32 s16, 0
	global_store_b32 v[0:1], v3, off
.LBB158_173:
	s_and_not1_b32 vcc_lo, exec_lo, s16
	s_cbranch_vccnz .LBB158_175
; %bb.174:
	v_cvt_u32_f32_e32 v3, v2
	global_store_b16 v[0:1], v3, off
.LBB158_175:
	s_mov_b32 s16, 0
.LBB158_176:
	s_delay_alu instid0(SALU_CYCLE_1)
	s_and_not1_b32 vcc_lo, exec_lo, s16
	s_cbranch_vccnz .LBB158_184
; %bb.177:
	v_and_b32_e32 v3, 0x7fffffff, v2
	v_mov_b32_e32 v4, 0x80
	s_mov_b32 s16, exec_lo
	s_delay_alu instid0(VALU_DEP_2)
	v_cmpx_gt_u32_e32 0x43800000, v3
	s_cbranch_execz .LBB158_183
; %bb.178:
	v_cmp_lt_u32_e32 vcc_lo, 0x3bffffff, v3
	s_mov_b32 s22, 0
                                        ; implicit-def: $vgpr3
	s_and_saveexec_b32 s23, vcc_lo
	s_delay_alu instid0(SALU_CYCLE_1)
	s_xor_b32 s23, exec_lo, s23
	s_cbranch_execz .LBB158_404
; %bb.179:
	v_bfe_u32 v3, v2, 20, 1
	s_mov_b32 s22, exec_lo
	s_delay_alu instid0(VALU_DEP_1) | instskip(NEXT) | instid1(VALU_DEP_1)
	v_add3_u32 v3, v2, v3, 0x487ffff
	v_lshrrev_b32_e32 v3, 20, v3
	s_or_saveexec_b32 s23, s23
                                        ; implicit-def: $sgpr24
	s_delay_alu instid0(SALU_CYCLE_1)
	s_xor_b32 exec_lo, exec_lo, s23
	s_cbranch_execnz .LBB158_405
.LBB158_180:
	s_or_b32 exec_lo, exec_lo, s23
	v_mov_b32_e32 v4, s24
	s_and_saveexec_b32 s23, s22
.LBB158_181:
	v_lshrrev_b32_e32 v4, 24, v2
	s_delay_alu instid0(VALU_DEP_1)
	v_and_or_b32 v4, 0x80, v4, v3
.LBB158_182:
	s_or_b32 exec_lo, exec_lo, s23
.LBB158_183:
	s_delay_alu instid0(SALU_CYCLE_1)
	s_or_b32 exec_lo, exec_lo, s16
	global_store_b8 v[0:1], v4, off
.LBB158_184:
	s_mov_b32 s16, -1
.LBB158_185:
	s_mov_b32 s22, 0
.LBB158_186:
	s_delay_alu instid0(SALU_CYCLE_1)
	s_and_b32 vcc_lo, exec_lo, s22
	s_cbranch_vccz .LBB158_227
; %bb.187:
	v_cmp_lt_i16_e32 vcc_lo, 22, v5
	s_mov_b32 s22, -1
	s_cbranch_vccz .LBB158_219
; %bb.188:
	v_cmp_gt_i16_e32 vcc_lo, 24, v5
	s_mov_b32 s16, -1
	s_cbranch_vccnz .LBB158_208
; %bb.189:
	v_cmp_lt_i16_e32 vcc_lo, 24, v5
	s_cbranch_vccz .LBB158_197
; %bb.190:
	v_and_b32_e32 v3, 0x7fffffff, v2
	v_mov_b32_e32 v4, 0x80
	s_mov_b32 s16, exec_lo
	s_delay_alu instid0(VALU_DEP_2)
	v_cmpx_gt_u32_e32 0x47800000, v3
	s_cbranch_execz .LBB158_196
; %bb.191:
	v_cmp_lt_u32_e32 vcc_lo, 0x37ffffff, v3
	s_mov_b32 s22, 0
                                        ; implicit-def: $vgpr3
	s_and_saveexec_b32 s23, vcc_lo
	s_delay_alu instid0(SALU_CYCLE_1)
	s_xor_b32 s23, exec_lo, s23
	s_cbranch_execz .LBB158_523
; %bb.192:
	v_bfe_u32 v3, v2, 21, 1
	s_mov_b32 s22, exec_lo
	s_delay_alu instid0(VALU_DEP_1) | instskip(NEXT) | instid1(VALU_DEP_1)
	v_add3_u32 v3, v2, v3, 0x88fffff
	v_lshrrev_b32_e32 v3, 21, v3
	s_or_saveexec_b32 s23, s23
                                        ; implicit-def: $sgpr24
	s_delay_alu instid0(SALU_CYCLE_1)
	s_xor_b32 exec_lo, exec_lo, s23
	s_cbranch_execnz .LBB158_524
.LBB158_193:
	s_or_b32 exec_lo, exec_lo, s23
	v_mov_b32_e32 v4, s24
	s_and_saveexec_b32 s23, s22
.LBB158_194:
	v_lshrrev_b32_e32 v4, 24, v2
	s_delay_alu instid0(VALU_DEP_1)
	v_and_or_b32 v4, 0x80, v4, v3
.LBB158_195:
	s_or_b32 exec_lo, exec_lo, s23
.LBB158_196:
	s_delay_alu instid0(SALU_CYCLE_1)
	s_or_b32 exec_lo, exec_lo, s16
	s_mov_b32 s16, 0
	global_store_b8 v[0:1], v4, off
.LBB158_197:
	s_and_b32 vcc_lo, exec_lo, s16
	s_cbranch_vccz .LBB158_207
; %bb.198:
	v_and_b32_e32 v4, 0x7fffffff, v2
	s_mov_b32 s16, exec_lo
                                        ; implicit-def: $vgpr3
	s_delay_alu instid0(VALU_DEP_1)
	v_cmpx_gt_u32_e32 0x43f00000, v4
	s_xor_b32 s16, exec_lo, s16
	s_cbranch_execz .LBB158_204
; %bb.199:
	s_mov_b32 s22, exec_lo
                                        ; implicit-def: $vgpr3
	v_cmpx_lt_u32_e32 0x3c7fffff, v4
	s_xor_b32 s22, exec_lo, s22
; %bb.200:
	v_bfe_u32 v3, v2, 20, 1
	s_delay_alu instid0(VALU_DEP_1) | instskip(NEXT) | instid1(VALU_DEP_1)
	v_add3_u32 v3, v2, v3, 0x407ffff
	v_and_b32_e32 v4, 0xff00000, v3
	v_lshrrev_b32_e32 v3, 20, v3
	s_delay_alu instid0(VALU_DEP_2) | instskip(NEXT) | instid1(VALU_DEP_2)
	v_cmp_ne_u32_e32 vcc_lo, 0x7f00000, v4
	v_cndmask_b32_e32 v3, 0x7e, v3, vcc_lo
; %bb.201:
	s_and_not1_saveexec_b32 s22, s22
; %bb.202:
	v_add_f32_e64 v3, 0x46800000, |v2|
; %bb.203:
	s_or_b32 exec_lo, exec_lo, s22
                                        ; implicit-def: $vgpr4
.LBB158_204:
	s_and_not1_saveexec_b32 s16, s16
; %bb.205:
	v_mov_b32_e32 v3, 0x7f
	v_cmp_lt_u32_e32 vcc_lo, 0x7f800000, v4
	s_delay_alu instid0(VALU_DEP_2)
	v_cndmask_b32_e32 v3, 0x7e, v3, vcc_lo
; %bb.206:
	s_or_b32 exec_lo, exec_lo, s16
	v_lshrrev_b32_e32 v4, 24, v2
	s_delay_alu instid0(VALU_DEP_1)
	v_and_or_b32 v3, 0x80, v4, v3
	global_store_b8 v[0:1], v3, off
.LBB158_207:
	s_mov_b32 s16, 0
.LBB158_208:
	s_delay_alu instid0(SALU_CYCLE_1)
	s_and_not1_b32 vcc_lo, exec_lo, s16
	s_cbranch_vccnz .LBB158_218
; %bb.209:
	v_and_b32_e32 v4, 0x7fffffff, v2
	s_mov_b32 s16, exec_lo
                                        ; implicit-def: $vgpr3
	s_delay_alu instid0(VALU_DEP_1)
	v_cmpx_gt_u32_e32 0x47800000, v4
	s_xor_b32 s16, exec_lo, s16
	s_cbranch_execz .LBB158_215
; %bb.210:
	s_mov_b32 s22, exec_lo
                                        ; implicit-def: $vgpr3
	v_cmpx_lt_u32_e32 0x387fffff, v4
	s_xor_b32 s22, exec_lo, s22
; %bb.211:
	v_bfe_u32 v3, v2, 21, 1
	s_delay_alu instid0(VALU_DEP_1) | instskip(NEXT) | instid1(VALU_DEP_1)
	v_add3_u32 v3, v2, v3, 0x80fffff
	v_lshrrev_b32_e32 v3, 21, v3
; %bb.212:
	s_and_not1_saveexec_b32 s22, s22
; %bb.213:
	v_add_f32_e64 v3, 0x43000000, |v2|
; %bb.214:
	s_or_b32 exec_lo, exec_lo, s22
                                        ; implicit-def: $vgpr4
.LBB158_215:
	s_and_not1_saveexec_b32 s16, s16
; %bb.216:
	v_mov_b32_e32 v3, 0x7f
	v_cmp_lt_u32_e32 vcc_lo, 0x7f800000, v4
	s_delay_alu instid0(VALU_DEP_2)
	v_cndmask_b32_e32 v3, 0x7c, v3, vcc_lo
; %bb.217:
	s_or_b32 exec_lo, exec_lo, s16
	v_lshrrev_b32_e32 v4, 24, v2
	s_delay_alu instid0(VALU_DEP_1)
	v_and_or_b32 v3, 0x80, v4, v3
	global_store_b8 v[0:1], v3, off
.LBB158_218:
	s_mov_b32 s22, 0
	s_mov_b32 s16, -1
.LBB158_219:
	s_and_not1_b32 vcc_lo, exec_lo, s22
	s_cbranch_vccnz .LBB158_227
; %bb.220:
	v_cmp_lt_i16_e32 vcc_lo, 14, v5
	s_mov_b32 s22, -1
	s_cbranch_vccz .LBB158_224
; %bb.221:
	v_cmp_eq_u16_e32 vcc_lo, 15, v5
	s_mov_b32 s0, -1
	s_cbranch_vccz .LBB158_223
; %bb.222:
	v_bfe_u32 v3, v2, 16, 1
	v_cmp_o_f32_e32 vcc_lo, v2, v2
	s_mov_b32 s16, -1
	s_mov_b32 s0, 0
	s_delay_alu instid0(VALU_DEP_2) | instskip(NEXT) | instid1(VALU_DEP_1)
	v_add3_u32 v3, v2, v3, 0x7fff
	v_lshrrev_b32_e32 v3, 16, v3
	s_delay_alu instid0(VALU_DEP_1)
	v_cndmask_b32_e32 v3, 0x7fc0, v3, vcc_lo
	global_store_b16 v[0:1], v3, off
.LBB158_223:
	s_mov_b32 s22, 0
.LBB158_224:
	s_delay_alu instid0(SALU_CYCLE_1)
	s_and_b32 vcc_lo, exec_lo, s22
	s_cbranch_vccz .LBB158_227
; %bb.225:
	v_cmp_eq_u16_e32 vcc_lo, 11, v5
	s_mov_b32 s0, -1
	s_cbranch_vccz .LBB158_227
; %bb.226:
	v_cmp_neq_f32_e32 vcc_lo, 0, v2
	s_mov_b32 s0, 0
	s_mov_b32 s16, -1
	v_cndmask_b32_e64 v3, 0, 1, vcc_lo
	global_store_b8 v[0:1], v3, off
.LBB158_227:
	s_mov_b32 s22, 0
.LBB158_228:
	s_delay_alu instid0(SALU_CYCLE_1)
	s_and_b32 vcc_lo, exec_lo, s22
	s_cbranch_vccz .LBB158_267
; %bb.229:
	v_cmp_gt_i16_e32 vcc_lo, 5, v5
	s_mov_b32 s16, -1
	s_cbranch_vccnz .LBB158_250
; %bb.230:
	v_cmp_gt_i16_e32 vcc_lo, 8, v5
	s_cbranch_vccnz .LBB158_240
; %bb.231:
	v_cmp_gt_i16_e32 vcc_lo, 9, v5
	s_cbranch_vccnz .LBB158_237
; %bb.232:
	v_cmp_lt_i16_e32 vcc_lo, 9, v5
	s_cbranch_vccz .LBB158_234
; %bb.233:
	v_cvt_f64_f32_e32 v[8:9], v2
	v_mov_b32_e32 v10, 0
	s_mov_b32 s16, 0
	s_delay_alu instid0(VALU_DEP_1)
	v_mov_b32_e32 v11, v10
	global_store_b128 v[0:1], v[8:11], off
.LBB158_234:
	s_and_not1_b32 vcc_lo, exec_lo, s16
	s_cbranch_vccnz .LBB158_236
; %bb.235:
	v_mov_b32_e32 v3, 0
	global_store_b64 v[0:1], v[2:3], off
.LBB158_236:
	s_mov_b32 s16, 0
.LBB158_237:
	s_delay_alu instid0(SALU_CYCLE_1)
	s_and_not1_b32 vcc_lo, exec_lo, s16
	s_cbranch_vccnz .LBB158_239
; %bb.238:
	v_cvt_f16_f32_e32 v3, v2
	s_delay_alu instid0(VALU_DEP_1)
	v_and_b32_e32 v3, 0xffff, v3
	global_store_b32 v[0:1], v3, off
.LBB158_239:
	s_mov_b32 s16, 0
.LBB158_240:
	s_delay_alu instid0(SALU_CYCLE_1)
	s_and_not1_b32 vcc_lo, exec_lo, s16
	s_cbranch_vccnz .LBB158_249
; %bb.241:
	v_cmp_gt_i16_e32 vcc_lo, 6, v5
	s_mov_b32 s16, -1
	s_cbranch_vccnz .LBB158_247
; %bb.242:
	v_cmp_lt_i16_e32 vcc_lo, 6, v5
	s_cbranch_vccz .LBB158_244
; %bb.243:
	v_cvt_f64_f32_e32 v[3:4], v2
	s_mov_b32 s16, 0
	global_store_b64 v[0:1], v[3:4], off
.LBB158_244:
	s_and_not1_b32 vcc_lo, exec_lo, s16
	s_cbranch_vccnz .LBB158_246
; %bb.245:
	global_store_b32 v[0:1], v2, off
.LBB158_246:
	s_mov_b32 s16, 0
.LBB158_247:
	s_delay_alu instid0(SALU_CYCLE_1)
	s_and_not1_b32 vcc_lo, exec_lo, s16
	s_cbranch_vccnz .LBB158_249
; %bb.248:
	v_cvt_f16_f32_e32 v3, v2
	global_store_b16 v[0:1], v3, off
.LBB158_249:
	s_mov_b32 s16, 0
.LBB158_250:
	s_delay_alu instid0(SALU_CYCLE_1)
	s_and_not1_b32 vcc_lo, exec_lo, s16
	s_cbranch_vccnz .LBB158_266
; %bb.251:
	v_cmp_gt_i16_e32 vcc_lo, 2, v5
	s_mov_b32 s16, -1
	s_cbranch_vccnz .LBB158_261
; %bb.252:
	v_cmp_gt_i16_e32 vcc_lo, 3, v5
	s_cbranch_vccnz .LBB158_258
; %bb.253:
	v_cmp_lt_i16_e32 vcc_lo, 3, v5
	s_cbranch_vccz .LBB158_255
; %bb.254:
	v_trunc_f32_e32 v3, v2
	s_mov_b32 s16, 0
	s_delay_alu instid0(VALU_DEP_1) | instskip(SKIP_1) | instid1(VALU_DEP_2)
	v_mul_f32_e64 v4, 0x2f800000, |v3|
	v_ashrrev_i32_e32 v8, 31, v3
	v_floor_f32_e32 v4, v4
	s_delay_alu instid0(VALU_DEP_1) | instskip(SKIP_1) | instid1(VALU_DEP_2)
	v_fma_f32 v6, 0xcf800000, v4, |v3|
	v_cvt_u32_f32_e32 v4, v4
	v_cvt_u32_f32_e32 v3, v6
	s_delay_alu instid0(VALU_DEP_2) | instskip(NEXT) | instid1(VALU_DEP_2)
	v_xor_b32_e32 v4, v4, v8
	v_xor_b32_e32 v3, v3, v8
	s_delay_alu instid0(VALU_DEP_1) | instskip(NEXT) | instid1(VALU_DEP_3)
	v_sub_co_u32 v3, vcc_lo, v3, v8
	v_sub_co_ci_u32_e32 v4, vcc_lo, v4, v8, vcc_lo
	global_store_b64 v[0:1], v[3:4], off
.LBB158_255:
	s_and_not1_b32 vcc_lo, exec_lo, s16
	s_cbranch_vccnz .LBB158_257
; %bb.256:
	v_cvt_i32_f32_e32 v3, v2
	global_store_b32 v[0:1], v3, off
.LBB158_257:
	s_mov_b32 s16, 0
.LBB158_258:
	s_delay_alu instid0(SALU_CYCLE_1)
	s_and_not1_b32 vcc_lo, exec_lo, s16
	s_cbranch_vccnz .LBB158_260
; %bb.259:
	v_cvt_i32_f32_e32 v3, v2
	global_store_b16 v[0:1], v3, off
.LBB158_260:
	s_mov_b32 s16, 0
.LBB158_261:
	s_delay_alu instid0(SALU_CYCLE_1)
	s_and_not1_b32 vcc_lo, exec_lo, s16
	s_cbranch_vccnz .LBB158_266
; %bb.262:
	v_cmp_lt_i16_e32 vcc_lo, 0, v5
	s_mov_b32 s16, -1
	s_cbranch_vccz .LBB158_264
; %bb.263:
	v_cvt_i32_f32_e32 v3, v2
	s_mov_b32 s16, 0
	global_store_b8 v[0:1], v3, off
.LBB158_264:
	s_and_not1_b32 vcc_lo, exec_lo, s16
	s_cbranch_vccnz .LBB158_266
; %bb.265:
	v_trunc_f32_e32 v2, v2
	s_delay_alu instid0(VALU_DEP_1) | instskip(NEXT) | instid1(VALU_DEP_1)
	v_mul_f32_e64 v3, 0x2f800000, |v2|
	v_floor_f32_e32 v3, v3
	s_delay_alu instid0(VALU_DEP_1) | instskip(SKIP_1) | instid1(VALU_DEP_2)
	v_fma_f32 v3, 0xcf800000, v3, |v2|
	v_ashrrev_i32_e32 v2, 31, v2
	v_cvt_u32_f32_e32 v3, v3
	s_delay_alu instid0(VALU_DEP_1) | instskip(NEXT) | instid1(VALU_DEP_1)
	v_xor_b32_e32 v3, v3, v2
	v_sub_nc_u32_e32 v2, v3, v2
	global_store_b8 v[0:1], v2, off
.LBB158_266:
	s_mov_b32 s16, -1
.LBB158_267:
	s_delay_alu instid0(SALU_CYCLE_1)
	s_and_not1_b32 vcc_lo, exec_lo, s16
	s_cbranch_vccnz .LBB158_376
; %bb.268:
	v_add_nc_u32_e32 v7, 0x80, v7
	s_mov_b32 s22, -1
	s_branch .LBB158_377
.LBB158_269:
	s_mov_b32 s18, -1
                                        ; implicit-def: $vgpr2
.LBB158_270:
	s_mov_b32 s16, 0
.LBB158_271:
	s_delay_alu instid0(SALU_CYCLE_1)
	s_and_b32 vcc_lo, exec_lo, s16
	s_cbranch_vccz .LBB158_275
; %bb.272:
	v_cmp_eq_u16_e32 vcc_lo, 29, v5
	s_cbranch_vccz .LBB158_274
; %bb.273:
	global_load_b64 v[2:3], v[0:1], off
	s_mov_b32 s0, -1
	s_mov_b32 s18, 0
	s_branch .LBB158_275
.LBB158_274:
	s_mov_b32 s18, -1
                                        ; implicit-def: $vgpr2
.LBB158_275:
	s_mov_b32 s16, 0
.LBB158_276:
	s_delay_alu instid0(SALU_CYCLE_1)
	s_and_b32 vcc_lo, exec_lo, s16
	s_cbranch_vccz .LBB158_292
; %bb.277:
	v_cmp_gt_i16_e32 vcc_lo, 27, v5
	s_cbranch_vccnz .LBB158_280
; %bb.278:
	v_cmp_lt_i16_e32 vcc_lo, 27, v5
	s_cbranch_vccz .LBB158_281
; %bb.279:
	global_load_b32 v2, v[0:1], off
	s_mov_b32 s0, 0
	s_branch .LBB158_282
.LBB158_280:
	s_mov_b32 s0, -1
                                        ; implicit-def: $vgpr2
	s_branch .LBB158_285
.LBB158_281:
	s_mov_b32 s0, -1
                                        ; implicit-def: $vgpr2
.LBB158_282:
	s_delay_alu instid0(SALU_CYCLE_1)
	s_and_not1_b32 vcc_lo, exec_lo, s0
	s_cbranch_vccnz .LBB158_284
; %bb.283:
	global_load_u16 v2, v[0:1], off
.LBB158_284:
	s_mov_b32 s0, 0
.LBB158_285:
	s_delay_alu instid0(SALU_CYCLE_1)
	s_and_not1_b32 vcc_lo, exec_lo, s0
	s_cbranch_vccnz .LBB158_291
; %bb.286:
	global_load_u8 v3, v[0:1], off
	s_mov_b32 s16, 0
	s_mov_b32 s0, exec_lo
                                        ; implicit-def: $sgpr22
	s_waitcnt vmcnt(0)
	v_cmpx_lt_i16_e32 0x7f, v3
	s_xor_b32 s0, exec_lo, s0
	s_cbranch_execz .LBB158_303
; %bb.287:
	v_cmp_ne_u16_e32 vcc_lo, 0x80, v3
	s_mov_b32 s22, 0
	s_and_b32 s16, vcc_lo, exec_lo
	s_or_saveexec_b32 s0, s0
	v_mov_b32_e32 v2, s22
	s_xor_b32 exec_lo, exec_lo, s0
	s_cbranch_execnz .LBB158_304
.LBB158_288:
	s_or_b32 exec_lo, exec_lo, s0
	s_and_saveexec_b32 s0, s16
	s_cbranch_execz .LBB158_290
.LBB158_289:
	v_and_b32_e32 v2, 0xffff, v3
	s_delay_alu instid0(VALU_DEP_1) | instskip(NEXT) | instid1(VALU_DEP_1)
	v_and_b32_e32 v6, 7, v2
	v_clz_i32_u32_e32 v8, v6
	s_delay_alu instid0(VALU_DEP_1) | instskip(NEXT) | instid1(VALU_DEP_1)
	v_min_u32_e32 v8, 32, v8
	v_subrev_nc_u32_e32 v9, 28, v8
	v_sub_nc_u32_e32 v8, 29, v8
	s_delay_alu instid0(VALU_DEP_2) | instskip(SKIP_1) | instid1(VALU_DEP_1)
	v_lshlrev_b32_e32 v9, v9, v2
	v_bfe_u32 v2, v2, 3, 4
	v_cmp_eq_u32_e32 vcc_lo, 0, v2
	s_delay_alu instid0(VALU_DEP_3) | instskip(SKIP_1) | instid1(VALU_DEP_2)
	v_dual_cndmask_b32 v2, v2, v8 :: v_dual_and_b32 v9, 7, v9
	v_lshlrev_b32_e32 v3, 24, v3
	v_lshl_add_u32 v2, v2, 23, 0x3b800000
	s_delay_alu instid0(VALU_DEP_2) | instskip(NEXT) | instid1(VALU_DEP_1)
	v_dual_cndmask_b32 v6, v6, v9 :: v_dual_and_b32 v3, 0x80000000, v3
	v_lshlrev_b32_e32 v6, 20, v6
	s_delay_alu instid0(VALU_DEP_1) | instskip(NEXT) | instid1(VALU_DEP_1)
	v_or3_b32 v2, v3, v2, v6
	v_trunc_f32_e32 v2, v2
	s_delay_alu instid0(VALU_DEP_1) | instskip(NEXT) | instid1(VALU_DEP_1)
	v_mul_f32_e64 v3, 0x2f800000, |v2|
	v_floor_f32_e32 v3, v3
	s_delay_alu instid0(VALU_DEP_1) | instskip(SKIP_1) | instid1(VALU_DEP_2)
	v_fma_f32 v3, 0xcf800000, v3, |v2|
	v_ashrrev_i32_e32 v2, 31, v2
	v_cvt_u32_f32_e32 v3, v3
	s_delay_alu instid0(VALU_DEP_1) | instskip(NEXT) | instid1(VALU_DEP_1)
	v_xor_b32_e32 v3, v3, v2
	v_sub_nc_u32_e32 v2, v3, v2
.LBB158_290:
	s_or_b32 exec_lo, exec_lo, s0
.LBB158_291:
	s_mov_b32 s0, -1
.LBB158_292:
	s_mov_b32 s16, 0
.LBB158_293:
	s_delay_alu instid0(SALU_CYCLE_1)
	s_and_b32 vcc_lo, exec_lo, s16
	s_cbranch_vccz .LBB158_326
; %bb.294:
	v_cmp_lt_i16_e32 vcc_lo, 22, v5
	s_cbranch_vccz .LBB158_302
; %bb.295:
	v_cmp_gt_i16_e32 vcc_lo, 24, v5
	s_cbranch_vccnz .LBB158_305
; %bb.296:
	v_cmp_lt_i16_e32 vcc_lo, 24, v5
	s_cbranch_vccz .LBB158_306
; %bb.297:
	global_load_u8 v3, v[0:1], off
	s_mov_b32 s16, 0
	s_mov_b32 s0, exec_lo
                                        ; implicit-def: $sgpr22
	s_waitcnt vmcnt(0)
	v_cmpx_lt_i16_e32 0x7f, v3
	s_xor_b32 s0, exec_lo, s0
	s_cbranch_execz .LBB158_318
; %bb.298:
	v_cmp_ne_u16_e32 vcc_lo, 0x80, v3
	s_mov_b32 s22, 0
	s_and_b32 s16, vcc_lo, exec_lo
	s_or_saveexec_b32 s0, s0
	v_mov_b32_e32 v2, s22
	s_xor_b32 exec_lo, exec_lo, s0
	s_cbranch_execnz .LBB158_319
.LBB158_299:
	s_or_b32 exec_lo, exec_lo, s0
	s_and_saveexec_b32 s0, s16
	s_cbranch_execz .LBB158_301
.LBB158_300:
	v_and_b32_e32 v2, 0xffff, v3
	s_delay_alu instid0(VALU_DEP_1) | instskip(NEXT) | instid1(VALU_DEP_1)
	v_and_b32_e32 v6, 3, v2
	v_clz_i32_u32_e32 v8, v6
	s_delay_alu instid0(VALU_DEP_1) | instskip(NEXT) | instid1(VALU_DEP_1)
	v_min_u32_e32 v8, 32, v8
	v_subrev_nc_u32_e32 v9, 29, v8
	v_sub_nc_u32_e32 v8, 30, v8
	s_delay_alu instid0(VALU_DEP_2) | instskip(SKIP_1) | instid1(VALU_DEP_1)
	v_lshlrev_b32_e32 v9, v9, v2
	v_bfe_u32 v2, v2, 2, 5
	v_cmp_eq_u32_e32 vcc_lo, 0, v2
	s_delay_alu instid0(VALU_DEP_3) | instskip(SKIP_1) | instid1(VALU_DEP_2)
	v_dual_cndmask_b32 v2, v2, v8 :: v_dual_and_b32 v9, 3, v9
	v_lshlrev_b32_e32 v3, 24, v3
	v_lshl_add_u32 v2, v2, 23, 0x37800000
	s_delay_alu instid0(VALU_DEP_2) | instskip(NEXT) | instid1(VALU_DEP_1)
	v_dual_cndmask_b32 v6, v6, v9 :: v_dual_and_b32 v3, 0x80000000, v3
	v_lshlrev_b32_e32 v6, 21, v6
	s_delay_alu instid0(VALU_DEP_1) | instskip(NEXT) | instid1(VALU_DEP_1)
	v_or3_b32 v2, v3, v2, v6
	v_trunc_f32_e32 v2, v2
	s_delay_alu instid0(VALU_DEP_1) | instskip(NEXT) | instid1(VALU_DEP_1)
	v_mul_f32_e64 v3, 0x2f800000, |v2|
	v_floor_f32_e32 v3, v3
	s_delay_alu instid0(VALU_DEP_1) | instskip(SKIP_1) | instid1(VALU_DEP_2)
	v_fma_f32 v3, 0xcf800000, v3, |v2|
	v_ashrrev_i32_e32 v2, 31, v2
	v_cvt_u32_f32_e32 v3, v3
	s_delay_alu instid0(VALU_DEP_1) | instskip(NEXT) | instid1(VALU_DEP_1)
	v_xor_b32_e32 v3, v3, v2
	v_sub_nc_u32_e32 v2, v3, v2
.LBB158_301:
	s_or_b32 exec_lo, exec_lo, s0
	s_mov_b32 s0, 0
	s_branch .LBB158_307
.LBB158_302:
	s_mov_b32 s16, -1
                                        ; implicit-def: $vgpr2
	s_branch .LBB158_313
.LBB158_303:
	s_or_saveexec_b32 s0, s0
	v_mov_b32_e32 v2, s22
	s_xor_b32 exec_lo, exec_lo, s0
	s_cbranch_execz .LBB158_288
.LBB158_304:
	v_cmp_ne_u16_e32 vcc_lo, 0, v3
	v_mov_b32_e32 v2, 0
	s_and_not1_b32 s16, s16, exec_lo
	s_and_b32 s22, vcc_lo, exec_lo
	s_delay_alu instid0(SALU_CYCLE_1)
	s_or_b32 s16, s16, s22
	s_or_b32 exec_lo, exec_lo, s0
	s_and_saveexec_b32 s0, s16
	s_cbranch_execnz .LBB158_289
	s_branch .LBB158_290
.LBB158_305:
	s_mov_b32 s0, -1
                                        ; implicit-def: $vgpr2
	s_branch .LBB158_310
.LBB158_306:
	s_mov_b32 s0, -1
                                        ; implicit-def: $vgpr2
.LBB158_307:
	s_delay_alu instid0(SALU_CYCLE_1)
	s_and_b32 vcc_lo, exec_lo, s0
	s_cbranch_vccz .LBB158_309
; %bb.308:
	global_load_u8 v2, v[0:1], off
	s_waitcnt vmcnt(0)
	v_lshlrev_b32_e32 v2, 24, v2
	s_delay_alu instid0(VALU_DEP_1) | instskip(NEXT) | instid1(VALU_DEP_1)
	v_and_b32_e32 v3, 0x7f000000, v2
	v_clz_i32_u32_e32 v6, v3
	v_cmp_ne_u32_e32 vcc_lo, 0, v3
	v_add_nc_u32_e32 v9, 0x1000000, v3
	s_delay_alu instid0(VALU_DEP_3) | instskip(NEXT) | instid1(VALU_DEP_1)
	v_min_u32_e32 v6, 32, v6
	v_sub_nc_u32_e64 v6, v6, 4 clamp
	s_delay_alu instid0(VALU_DEP_1) | instskip(SKIP_1) | instid1(VALU_DEP_2)
	v_lshlrev_b32_e32 v8, v6, v3
	v_lshlrev_b32_e32 v6, 23, v6
	v_lshrrev_b32_e32 v8, 4, v8
	s_delay_alu instid0(VALU_DEP_1) | instskip(SKIP_1) | instid1(VALU_DEP_2)
	v_sub_nc_u32_e32 v6, v8, v6
	v_ashrrev_i32_e32 v8, 8, v9
	v_add_nc_u32_e32 v6, 0x3c000000, v6
	s_delay_alu instid0(VALU_DEP_1) | instskip(NEXT) | instid1(VALU_DEP_1)
	v_and_or_b32 v6, 0x7f800000, v8, v6
	v_cndmask_b32_e32 v3, 0, v6, vcc_lo
	s_delay_alu instid0(VALU_DEP_1) | instskip(NEXT) | instid1(VALU_DEP_1)
	v_and_or_b32 v2, 0x80000000, v2, v3
	v_trunc_f32_e32 v2, v2
	s_delay_alu instid0(VALU_DEP_1) | instskip(NEXT) | instid1(VALU_DEP_1)
	v_mul_f32_e64 v3, 0x2f800000, |v2|
	v_floor_f32_e32 v3, v3
	s_delay_alu instid0(VALU_DEP_1) | instskip(SKIP_1) | instid1(VALU_DEP_2)
	v_fma_f32 v3, 0xcf800000, v3, |v2|
	v_ashrrev_i32_e32 v2, 31, v2
	v_cvt_u32_f32_e32 v3, v3
	s_delay_alu instid0(VALU_DEP_1) | instskip(NEXT) | instid1(VALU_DEP_1)
	v_xor_b32_e32 v3, v3, v2
	v_sub_nc_u32_e32 v2, v3, v2
.LBB158_309:
	s_mov_b32 s0, 0
.LBB158_310:
	s_delay_alu instid0(SALU_CYCLE_1)
	s_and_not1_b32 vcc_lo, exec_lo, s0
	s_cbranch_vccnz .LBB158_312
; %bb.311:
	global_load_u8 v2, v[0:1], off
	s_waitcnt vmcnt(0)
	v_lshlrev_b32_e32 v3, 25, v2
	v_lshlrev_b16 v2, 8, v2
	s_delay_alu instid0(VALU_DEP_1) | instskip(SKIP_1) | instid1(VALU_DEP_2)
	v_and_or_b32 v8, 0x7f00, v2, 0.5
	v_bfe_i32 v2, v2, 0, 16
	v_add_f32_e32 v8, -0.5, v8
	v_lshrrev_b32_e32 v6, 4, v3
	v_cmp_gt_u32_e32 vcc_lo, 0x8000000, v3
	s_delay_alu instid0(VALU_DEP_2) | instskip(NEXT) | instid1(VALU_DEP_1)
	v_or_b32_e32 v6, 0x70000000, v6
	v_mul_f32_e32 v6, 0x7800000, v6
	s_delay_alu instid0(VALU_DEP_1) | instskip(NEXT) | instid1(VALU_DEP_1)
	v_cndmask_b32_e32 v3, v6, v8, vcc_lo
	v_and_or_b32 v2, 0x80000000, v2, v3
	s_delay_alu instid0(VALU_DEP_1) | instskip(NEXT) | instid1(VALU_DEP_1)
	v_trunc_f32_e32 v2, v2
	v_mul_f32_e64 v3, 0x2f800000, |v2|
	s_delay_alu instid0(VALU_DEP_1) | instskip(NEXT) | instid1(VALU_DEP_1)
	v_floor_f32_e32 v3, v3
	v_fma_f32 v3, 0xcf800000, v3, |v2|
	v_ashrrev_i32_e32 v2, 31, v2
	s_delay_alu instid0(VALU_DEP_2) | instskip(NEXT) | instid1(VALU_DEP_1)
	v_cvt_u32_f32_e32 v3, v3
	v_xor_b32_e32 v3, v3, v2
	s_delay_alu instid0(VALU_DEP_1)
	v_sub_nc_u32_e32 v2, v3, v2
.LBB158_312:
	s_mov_b32 s16, 0
	s_mov_b32 s0, -1
.LBB158_313:
	s_and_not1_b32 vcc_lo, exec_lo, s16
	s_cbranch_vccnz .LBB158_326
; %bb.314:
	v_cmp_lt_i16_e32 vcc_lo, 14, v5
	s_cbranch_vccz .LBB158_317
; %bb.315:
	v_cmp_eq_u16_e32 vcc_lo, 15, v5
	s_cbranch_vccz .LBB158_320
; %bb.316:
	global_load_u16 v2, v[0:1], off
	s_mov_b32 s0, -1
	s_mov_b32 s18, 0
	s_waitcnt vmcnt(0)
	v_lshlrev_b32_e32 v2, 16, v2
	s_delay_alu instid0(VALU_DEP_1) | instskip(NEXT) | instid1(VALU_DEP_1)
	v_trunc_f32_e32 v2, v2
	v_mul_f32_e64 v3, 0x2f800000, |v2|
	s_delay_alu instid0(VALU_DEP_1) | instskip(NEXT) | instid1(VALU_DEP_1)
	v_floor_f32_e32 v3, v3
	v_fma_f32 v3, 0xcf800000, v3, |v2|
	v_ashrrev_i32_e32 v2, 31, v2
	s_delay_alu instid0(VALU_DEP_2) | instskip(NEXT) | instid1(VALU_DEP_1)
	v_cvt_u32_f32_e32 v3, v3
	v_xor_b32_e32 v3, v3, v2
	s_delay_alu instid0(VALU_DEP_1)
	v_sub_nc_u32_e32 v2, v3, v2
	s_branch .LBB158_321
.LBB158_317:
	s_mov_b32 s16, -1
                                        ; implicit-def: $vgpr2
	s_branch .LBB158_322
.LBB158_318:
	s_or_saveexec_b32 s0, s0
	v_mov_b32_e32 v2, s22
	s_xor_b32 exec_lo, exec_lo, s0
	s_cbranch_execz .LBB158_299
.LBB158_319:
	v_cmp_ne_u16_e32 vcc_lo, 0, v3
	v_mov_b32_e32 v2, 0
	s_and_not1_b32 s16, s16, exec_lo
	s_and_b32 s22, vcc_lo, exec_lo
	s_delay_alu instid0(SALU_CYCLE_1)
	s_or_b32 s16, s16, s22
	s_or_b32 exec_lo, exec_lo, s0
	s_and_saveexec_b32 s0, s16
	s_cbranch_execnz .LBB158_300
	s_branch .LBB158_301
.LBB158_320:
	s_mov_b32 s18, -1
                                        ; implicit-def: $vgpr2
.LBB158_321:
	s_mov_b32 s16, 0
.LBB158_322:
	s_delay_alu instid0(SALU_CYCLE_1)
	s_and_b32 vcc_lo, exec_lo, s16
	s_cbranch_vccz .LBB158_326
; %bb.323:
	v_cmp_eq_u16_e32 vcc_lo, 11, v5
	s_cbranch_vccz .LBB158_325
; %bb.324:
	global_load_u8 v2, v[0:1], off
	s_mov_b32 s18, 0
	s_mov_b32 s0, -1
	s_waitcnt vmcnt(0)
	v_cmp_ne_u16_e32 vcc_lo, 0, v2
	v_cndmask_b32_e64 v2, 0, 1, vcc_lo
	s_branch .LBB158_326
.LBB158_325:
	s_mov_b32 s18, -1
                                        ; implicit-def: $vgpr2
.LBB158_326:
	s_branch .LBB158_20
.LBB158_327:
	v_cmp_gt_i16_e32 vcc_lo, 5, v5
	s_cbranch_vccnz .LBB158_332
; %bb.328:
	v_cmp_gt_i16_e32 vcc_lo, 8, v5
	s_cbranch_vccnz .LBB158_333
; %bb.329:
	;; [unrolled: 3-line block ×3, first 2 shown]
	v_cmp_lt_i16_e32 vcc_lo, 9, v5
	s_cbranch_vccz .LBB158_335
; %bb.331:
	global_load_b64 v[2:3], v[0:1], off
	s_mov_b32 s0, 0
	s_waitcnt vmcnt(0)
	v_trunc_f64_e32 v[2:3], v[2:3]
	s_delay_alu instid0(VALU_DEP_1) | instskip(NEXT) | instid1(VALU_DEP_1)
	v_ldexp_f64 v[8:9], v[2:3], 0xffffffe0
	v_floor_f64_e32 v[8:9], v[8:9]
	s_delay_alu instid0(VALU_DEP_1) | instskip(NEXT) | instid1(VALU_DEP_1)
	v_fma_f64 v[2:3], 0xc1f00000, v[8:9], v[2:3]
	v_cvt_u32_f64_e32 v2, v[2:3]
	s_branch .LBB158_336
.LBB158_332:
	s_mov_b32 s0, -1
                                        ; implicit-def: $vgpr2
	s_branch .LBB158_354
.LBB158_333:
	s_mov_b32 s0, -1
                                        ; implicit-def: $vgpr2
	s_branch .LBB158_342
.LBB158_334:
	s_mov_b32 s0, -1
                                        ; implicit-def: $vgpr2
	s_branch .LBB158_339
.LBB158_335:
	s_mov_b32 s0, -1
                                        ; implicit-def: $vgpr2
.LBB158_336:
	s_delay_alu instid0(SALU_CYCLE_1)
	s_and_not1_b32 vcc_lo, exec_lo, s0
	s_cbranch_vccnz .LBB158_338
; %bb.337:
	global_load_b32 v2, v[0:1], off
	s_waitcnt vmcnt(0)
	v_trunc_f32_e32 v2, v2
	s_delay_alu instid0(VALU_DEP_1) | instskip(NEXT) | instid1(VALU_DEP_1)
	v_mul_f32_e64 v3, 0x2f800000, |v2|
	v_floor_f32_e32 v3, v3
	s_delay_alu instid0(VALU_DEP_1) | instskip(SKIP_1) | instid1(VALU_DEP_2)
	v_fma_f32 v3, 0xcf800000, v3, |v2|
	v_ashrrev_i32_e32 v2, 31, v2
	v_cvt_u32_f32_e32 v3, v3
	s_delay_alu instid0(VALU_DEP_1) | instskip(NEXT) | instid1(VALU_DEP_1)
	v_xor_b32_e32 v3, v3, v2
	v_sub_nc_u32_e32 v2, v3, v2
.LBB158_338:
	s_mov_b32 s0, 0
.LBB158_339:
	s_delay_alu instid0(SALU_CYCLE_1)
	s_and_not1_b32 vcc_lo, exec_lo, s0
	s_cbranch_vccnz .LBB158_341
; %bb.340:
	global_load_b32 v2, v[0:1], off
	s_waitcnt vmcnt(0)
	v_cvt_f32_f16_e32 v2, v2
	s_delay_alu instid0(VALU_DEP_1)
	v_cvt_i32_f32_e32 v2, v2
.LBB158_341:
	s_mov_b32 s0, 0
.LBB158_342:
	s_delay_alu instid0(SALU_CYCLE_1)
	s_and_not1_b32 vcc_lo, exec_lo, s0
	s_cbranch_vccnz .LBB158_353
; %bb.343:
	v_cmp_gt_i16_e32 vcc_lo, 6, v5
	s_cbranch_vccnz .LBB158_346
; %bb.344:
	v_cmp_lt_i16_e32 vcc_lo, 6, v5
	s_cbranch_vccz .LBB158_347
; %bb.345:
	global_load_b64 v[2:3], v[0:1], off
	s_mov_b32 s0, 0
	s_waitcnt vmcnt(0)
	v_trunc_f64_e32 v[2:3], v[2:3]
	s_delay_alu instid0(VALU_DEP_1) | instskip(NEXT) | instid1(VALU_DEP_1)
	v_ldexp_f64 v[8:9], v[2:3], 0xffffffe0
	v_floor_f64_e32 v[8:9], v[8:9]
	s_delay_alu instid0(VALU_DEP_1) | instskip(NEXT) | instid1(VALU_DEP_1)
	v_fma_f64 v[2:3], 0xc1f00000, v[8:9], v[2:3]
	v_cvt_u32_f64_e32 v2, v[2:3]
	s_branch .LBB158_348
.LBB158_346:
	s_mov_b32 s0, -1
                                        ; implicit-def: $vgpr2
	s_branch .LBB158_351
.LBB158_347:
	s_mov_b32 s0, -1
                                        ; implicit-def: $vgpr2
.LBB158_348:
	s_delay_alu instid0(SALU_CYCLE_1)
	s_and_not1_b32 vcc_lo, exec_lo, s0
	s_cbranch_vccnz .LBB158_350
; %bb.349:
	global_load_b32 v2, v[0:1], off
	s_waitcnt vmcnt(0)
	v_trunc_f32_e32 v2, v2
	s_delay_alu instid0(VALU_DEP_1) | instskip(NEXT) | instid1(VALU_DEP_1)
	v_mul_f32_e64 v3, 0x2f800000, |v2|
	v_floor_f32_e32 v3, v3
	s_delay_alu instid0(VALU_DEP_1) | instskip(SKIP_1) | instid1(VALU_DEP_2)
	v_fma_f32 v3, 0xcf800000, v3, |v2|
	v_ashrrev_i32_e32 v2, 31, v2
	v_cvt_u32_f32_e32 v3, v3
	s_delay_alu instid0(VALU_DEP_1) | instskip(NEXT) | instid1(VALU_DEP_1)
	v_xor_b32_e32 v3, v3, v2
	v_sub_nc_u32_e32 v2, v3, v2
.LBB158_350:
	s_mov_b32 s0, 0
.LBB158_351:
	s_delay_alu instid0(SALU_CYCLE_1)
	s_and_not1_b32 vcc_lo, exec_lo, s0
	s_cbranch_vccnz .LBB158_353
; %bb.352:
	global_load_u16 v2, v[0:1], off
	s_waitcnt vmcnt(0)
	v_cvt_f32_f16_e32 v2, v2
	s_delay_alu instid0(VALU_DEP_1)
	v_cvt_i32_f32_e32 v2, v2
.LBB158_353:
	s_mov_b32 s0, 0
.LBB158_354:
	s_delay_alu instid0(SALU_CYCLE_1)
	s_and_not1_b32 vcc_lo, exec_lo, s0
	s_cbranch_vccnz .LBB158_374
; %bb.355:
	v_cmp_gt_i16_e32 vcc_lo, 2, v5
	s_cbranch_vccnz .LBB158_359
; %bb.356:
	v_cmp_gt_i16_e32 vcc_lo, 3, v5
	s_cbranch_vccnz .LBB158_360
; %bb.357:
	v_cmp_lt_i16_e32 vcc_lo, 3, v5
	s_cbranch_vccz .LBB158_361
; %bb.358:
	global_load_b64 v[2:3], v[0:1], off
	s_mov_b32 s0, 0
	s_branch .LBB158_362
.LBB158_359:
	s_mov_b32 s0, -1
                                        ; implicit-def: $vgpr2
	s_branch .LBB158_368
.LBB158_360:
	s_mov_b32 s0, -1
                                        ; implicit-def: $vgpr2
	s_branch .LBB158_365
.LBB158_361:
	s_mov_b32 s0, -1
                                        ; implicit-def: $vgpr2
.LBB158_362:
	s_delay_alu instid0(SALU_CYCLE_1)
	s_and_not1_b32 vcc_lo, exec_lo, s0
	s_cbranch_vccnz .LBB158_364
; %bb.363:
	global_load_b32 v2, v[0:1], off
.LBB158_364:
	s_mov_b32 s0, 0
.LBB158_365:
	s_delay_alu instid0(SALU_CYCLE_1)
	s_and_not1_b32 vcc_lo, exec_lo, s0
	s_cbranch_vccnz .LBB158_367
; %bb.366:
	global_load_u16 v2, v[0:1], off
.LBB158_367:
	s_mov_b32 s0, 0
.LBB158_368:
	s_delay_alu instid0(SALU_CYCLE_1)
	s_and_not1_b32 vcc_lo, exec_lo, s0
	s_cbranch_vccnz .LBB158_374
; %bb.369:
	v_cmp_lt_i16_e32 vcc_lo, 0, v5
	s_mov_b32 s0, 0
	s_cbranch_vccz .LBB158_371
; %bb.370:
	global_load_u8 v2, v[0:1], off
	s_branch .LBB158_372
.LBB158_371:
	s_mov_b32 s0, -1
                                        ; implicit-def: $vgpr2
.LBB158_372:
	s_delay_alu instid0(SALU_CYCLE_1)
	s_and_not1_b32 vcc_lo, exec_lo, s0
	s_cbranch_vccnz .LBB158_374
; %bb.373:
	global_load_u8 v2, v[0:1], off
.LBB158_374:
	s_branch .LBB158_21
.LBB158_375:
	s_mov_b32 s0, 0
.LBB158_376:
	s_mov_b32 s22, 0
                                        ; implicit-def: $vgpr7
.LBB158_377:
	s_and_b32 s16, s0, exec_lo
	s_and_b32 s18, s18, exec_lo
	;; [unrolled: 1-line block ×3, first 2 shown]
	s_or_not1_b32 s23, s22, exec_lo
.LBB158_378:
	s_or_b32 exec_lo, exec_lo, s20
	s_mov_b32 s22, 0
	s_mov_b32 s0, 0
                                        ; implicit-def: $vgpr2
                                        ; implicit-def: $vgpr0_vgpr1
                                        ; implicit-def: $vgpr5
	s_and_saveexec_b32 s20, s23
	s_cbranch_execz .LBB158_1236
; %bb.379:
	s_mov_b32 s26, -1
	s_mov_b32 s21, s19
	s_mov_b32 s23, s18
	;; [unrolled: 1-line block ×3, first 2 shown]
	s_mov_b32 s24, exec_lo
	v_cmpx_gt_i32_e64 s17, v7
	s_cbranch_execz .LBB158_764
; %bb.380:
	v_mul_lo_u32 v0, v7, s9
	s_waitcnt vmcnt(0)
	v_and_b32_e64 v2, 0xff, s14
	s_delay_alu instid0(VALU_DEP_1) | instskip(NEXT) | instid1(VALU_DEP_3)
	v_cmp_gt_i16_e32 vcc_lo, 11, v2
	v_ashrrev_i32_e32 v1, 31, v0
	v_add_co_u32 v0, s0, s6, v0
	s_delay_alu instid0(VALU_DEP_1)
	v_add_co_ci_u32_e64 v1, s0, s7, v1, s0
	s_cbranch_vccnz .LBB158_387
; %bb.381:
	v_cmp_lt_i16_e32 vcc_lo, 25, v2
	s_cbranch_vccz .LBB158_396
; %bb.382:
	v_cmp_lt_i16_e32 vcc_lo, 28, v2
	s_cbranch_vccz .LBB158_398
; %bb.383:
	v_cmp_lt_i16_e32 vcc_lo, 43, v2
	s_cbranch_vccz .LBB158_400
; %bb.384:
	v_cmp_lt_i16_e32 vcc_lo, 45, v2
	s_cbranch_vccz .LBB158_402
; %bb.385:
	v_cmp_eq_u16_e32 vcc_lo, 46, v2
	s_mov_b32 s22, 0
	s_cbranch_vccz .LBB158_406
; %bb.386:
	global_load_b32 v3, v[0:1], off
	s_mov_b32 s0, -1
	s_mov_b32 s21, 0
	s_waitcnt vmcnt(0)
	v_lshlrev_b32_e32 v4, 16, v3
	s_branch .LBB158_408
.LBB158_387:
	s_mov_b32 s0, 0
	s_mov_b32 s21, s19
                                        ; implicit-def: $vgpr4
	s_cbranch_execnz .LBB158_474
.LBB158_388:
	s_and_not1_b32 vcc_lo, exec_lo, s0
	s_cbranch_vccnz .LBB158_522
.LBB158_389:
	v_mul_lo_u32 v0, v7, s10
	v_and_b32_e64 v5, 0xff, s1
	s_delay_alu instid0(VALU_DEP_1) | instskip(NEXT) | instid1(VALU_DEP_3)
	v_cmp_gt_i16_e32 vcc_lo, 11, v5
	v_ashrrev_i32_e32 v1, 31, v0
	v_add_co_u32 v0, s0, s2, v0
	s_delay_alu instid0(VALU_DEP_1)
	v_add_co_ci_u32_e64 v1, s0, s3, v1, s0
	s_cbranch_vccnz .LBB158_397
; %bb.390:
	v_cmp_lt_i16_e32 vcc_lo, 25, v5
	s_cbranch_vccz .LBB158_399
; %bb.391:
	v_cmp_lt_i16_e32 vcc_lo, 28, v5
	s_cbranch_vccz .LBB158_401
	;; [unrolled: 3-line block ×4, first 2 shown]
; %bb.394:
	v_cmp_eq_u16_e32 vcc_lo, 46, v5
	s_mov_b32 s22, 0
	s_cbranch_vccz .LBB158_525
; %bb.395:
	global_load_b32 v2, v[0:1], off
	s_mov_b32 s0, -1
	s_mov_b32 s23, 0
	s_waitcnt vmcnt(0)
	v_lshlrev_b32_e32 v2, 16, v2
	s_delay_alu instid0(VALU_DEP_1) | instskip(NEXT) | instid1(VALU_DEP_1)
	v_trunc_f32_e32 v2, v2
	v_mul_f32_e64 v3, 0x2f800000, |v2|
	s_delay_alu instid0(VALU_DEP_1) | instskip(NEXT) | instid1(VALU_DEP_1)
	v_floor_f32_e32 v3, v3
	v_fma_f32 v3, 0xcf800000, v3, |v2|
	v_ashrrev_i32_e32 v2, 31, v2
	s_delay_alu instid0(VALU_DEP_2) | instskip(NEXT) | instid1(VALU_DEP_1)
	v_cvt_u32_f32_e32 v3, v3
	v_xor_b32_e32 v3, v3, v2
	s_delay_alu instid0(VALU_DEP_1)
	v_sub_nc_u32_e32 v2, v3, v2
	s_branch .LBB158_527
.LBB158_396:
	s_mov_b32 s22, -1
	s_mov_b32 s0, 0
	s_mov_b32 s21, s19
                                        ; implicit-def: $vgpr4
	s_branch .LBB158_438
.LBB158_397:
	s_mov_b32 s22, -1
	s_mov_b32 s0, 0
	s_mov_b32 s23, s18
                                        ; implicit-def: $vgpr2
	s_branch .LBB158_588
.LBB158_398:
	s_mov_b32 s22, -1
	s_mov_b32 s0, 0
	s_mov_b32 s21, s19
                                        ; implicit-def: $vgpr4
	s_branch .LBB158_419
.LBB158_399:
	s_mov_b32 s22, -1
	s_mov_b32 s0, 0
	s_mov_b32 s23, s18
                                        ; implicit-def: $vgpr2
	s_branch .LBB158_554
.LBB158_400:
	s_mov_b32 s22, -1
	s_mov_b32 s0, 0
	s_mov_b32 s21, s19
                                        ; implicit-def: $vgpr4
	s_branch .LBB158_414
.LBB158_401:
	s_mov_b32 s22, -1
	s_mov_b32 s0, 0
	s_mov_b32 s23, s18
                                        ; implicit-def: $vgpr2
	s_branch .LBB158_537
.LBB158_402:
	s_mov_b32 s22, -1
	s_mov_b32 s0, 0
	s_mov_b32 s21, s19
	s_branch .LBB158_407
.LBB158_403:
	s_mov_b32 s22, -1
	s_mov_b32 s0, 0
	s_mov_b32 s23, s18
                                        ; implicit-def: $vgpr2
	s_branch .LBB158_532
.LBB158_404:
	s_or_saveexec_b32 s23, s23
                                        ; implicit-def: $sgpr24
	s_delay_alu instid0(SALU_CYCLE_1)
	s_xor_b32 exec_lo, exec_lo, s23
	s_cbranch_execz .LBB158_180
.LBB158_405:
	v_add_f32_e64 v3, 0x46000000, |v2|
	s_and_not1_b32 s22, s22, exec_lo
	s_mov_b32 s24, 0
	s_delay_alu instid0(VALU_DEP_1) | instskip(NEXT) | instid1(VALU_DEP_1)
	v_and_b32_e32 v3, 0xff, v3
	v_cmp_ne_u32_e32 vcc_lo, 0, v3
	s_and_b32 s25, vcc_lo, exec_lo
	s_delay_alu instid0(SALU_CYCLE_1)
	s_or_b32 s22, s22, s25
	s_or_b32 exec_lo, exec_lo, s23
	v_mov_b32_e32 v4, s24
	s_and_saveexec_b32 s23, s22
	s_cbranch_execnz .LBB158_181
	s_branch .LBB158_182
.LBB158_406:
	s_mov_b32 s21, -1
	s_mov_b32 s0, 0
.LBB158_407:
                                        ; implicit-def: $vgpr4
.LBB158_408:
	s_and_b32 vcc_lo, exec_lo, s22
	s_cbranch_vccz .LBB158_413
; %bb.409:
	v_cmp_eq_u16_e32 vcc_lo, 44, v2
	s_cbranch_vccz .LBB158_412
; %bb.410:
	global_load_u8 v3, v[0:1], off
	s_mov_b32 s21, 0
	s_mov_b32 s0, -1
	s_waitcnt vmcnt(0)
	v_lshlrev_b32_e32 v4, 23, v3
	v_cmp_ne_u32_e32 vcc_lo, 0xff, v3
	s_delay_alu instid0(VALU_DEP_2) | instskip(SKIP_1) | instid1(VALU_DEP_2)
	v_cndmask_b32_e32 v4, 0x7f800001, v4, vcc_lo
	v_cmp_ne_u32_e32 vcc_lo, 0, v3
	v_cndmask_b32_e32 v4, 0x400000, v4, vcc_lo
	s_branch .LBB158_413
.LBB158_411:
	s_mov_b32 s22, -1
	s_mov_b32 s0, 0
	s_mov_b32 s23, s18
	s_branch .LBB158_526
.LBB158_412:
	s_mov_b32 s21, -1
                                        ; implicit-def: $vgpr4
.LBB158_413:
	s_mov_b32 s22, 0
.LBB158_414:
	s_delay_alu instid0(SALU_CYCLE_1)
	s_and_b32 vcc_lo, exec_lo, s22
	s_cbranch_vccz .LBB158_418
; %bb.415:
	v_cmp_eq_u16_e32 vcc_lo, 29, v2
	s_cbranch_vccz .LBB158_417
; %bb.416:
	global_load_b64 v[3:4], v[0:1], off
	s_mov_b32 s0, -1
	s_mov_b32 s21, 0
	s_mov_b32 s22, 0
	s_waitcnt vmcnt(0)
	v_clz_i32_u32_e32 v5, v4
	s_delay_alu instid0(VALU_DEP_1) | instskip(NEXT) | instid1(VALU_DEP_1)
	v_min_u32_e32 v5, 32, v5
	v_lshlrev_b64 v[3:4], v5, v[3:4]
	s_delay_alu instid0(VALU_DEP_1) | instskip(NEXT) | instid1(VALU_DEP_1)
	v_min_u32_e32 v3, 1, v3
	v_or_b32_e32 v3, v4, v3
	v_sub_nc_u32_e32 v4, 32, v5
	s_delay_alu instid0(VALU_DEP_2) | instskip(NEXT) | instid1(VALU_DEP_1)
	v_cvt_f32_u32_e32 v3, v3
	v_ldexp_f32 v4, v3, v4
	s_branch .LBB158_419
.LBB158_417:
	s_mov_b32 s21, -1
                                        ; implicit-def: $vgpr4
.LBB158_418:
	s_mov_b32 s22, 0
.LBB158_419:
	s_delay_alu instid0(SALU_CYCLE_1)
	s_and_b32 vcc_lo, exec_lo, s22
	s_cbranch_vccz .LBB158_437
; %bb.420:
	v_cmp_gt_i16_e32 vcc_lo, 27, v2
	s_cbranch_vccnz .LBB158_423
; %bb.421:
	v_cmp_lt_i16_e32 vcc_lo, 27, v2
	s_cbranch_vccz .LBB158_424
; %bb.422:
	global_load_b32 v3, v[0:1], off
	s_mov_b32 s0, 0
	s_waitcnt vmcnt(0)
	v_cvt_f32_u32_e32 v4, v3
	s_branch .LBB158_425
.LBB158_423:
	s_mov_b32 s0, -1
                                        ; implicit-def: $vgpr4
	s_branch .LBB158_428
.LBB158_424:
	s_mov_b32 s0, -1
                                        ; implicit-def: $vgpr4
.LBB158_425:
	s_delay_alu instid0(SALU_CYCLE_1)
	s_and_not1_b32 vcc_lo, exec_lo, s0
	s_cbranch_vccnz .LBB158_427
; %bb.426:
	global_load_u16 v3, v[0:1], off
	s_waitcnt vmcnt(0)
	v_cvt_f32_u32_e32 v4, v3
.LBB158_427:
	s_mov_b32 s0, 0
.LBB158_428:
	s_delay_alu instid0(SALU_CYCLE_1)
	s_and_not1_b32 vcc_lo, exec_lo, s0
	s_cbranch_vccnz .LBB158_436
; %bb.429:
	global_load_u8 v3, v[0:1], off
	s_mov_b32 s0, 0
	s_mov_b32 s23, exec_lo
                                        ; implicit-def: $sgpr22
	s_waitcnt vmcnt(0)
	v_cmpx_lt_i16_e32 0x7f, v3
	s_xor_b32 s23, exec_lo, s23
	s_cbranch_execz .LBB158_450
; %bb.430:
	s_mov_b32 s0, -1
	s_mov_b32 s25, exec_lo
                                        ; implicit-def: $sgpr22
	v_cmpx_eq_u16_e32 0x80, v3
; %bb.431:
	s_mov_b32 s22, 0x7f800001
	s_xor_b32 s0, exec_lo, -1
; %bb.432:
	s_or_b32 exec_lo, exec_lo, s25
	s_delay_alu instid0(SALU_CYCLE_1)
	s_and_b32 s0, s0, exec_lo
	s_or_saveexec_b32 s23, s23
	v_mov_b32_e32 v4, s22
	s_xor_b32 exec_lo, exec_lo, s23
	s_cbranch_execnz .LBB158_451
.LBB158_433:
	s_or_b32 exec_lo, exec_lo, s23
	s_and_saveexec_b32 s22, s0
	s_cbranch_execz .LBB158_435
.LBB158_434:
	v_and_b32_e32 v4, 0xffff, v3
	v_lshlrev_b32_e32 v3, 24, v3
	s_delay_alu instid0(VALU_DEP_2) | instskip(NEXT) | instid1(VALU_DEP_2)
	v_and_b32_e32 v5, 7, v4
	v_and_b32_e32 v3, 0x80000000, v3
	s_delay_alu instid0(VALU_DEP_2) | instskip(NEXT) | instid1(VALU_DEP_1)
	v_clz_i32_u32_e32 v6, v5
	v_min_u32_e32 v6, 32, v6
	s_delay_alu instid0(VALU_DEP_1) | instskip(SKIP_1) | instid1(VALU_DEP_2)
	v_subrev_nc_u32_e32 v8, 28, v6
	v_sub_nc_u32_e32 v6, 29, v6
	v_lshlrev_b32_e32 v8, v8, v4
	v_bfe_u32 v4, v4, 3, 4
	s_delay_alu instid0(VALU_DEP_2) | instskip(NEXT) | instid1(VALU_DEP_2)
	v_and_b32_e32 v8, 7, v8
	v_cmp_eq_u32_e32 vcc_lo, 0, v4
	s_delay_alu instid0(VALU_DEP_2) | instskip(NEXT) | instid1(VALU_DEP_1)
	v_dual_cndmask_b32 v4, v4, v6 :: v_dual_cndmask_b32 v5, v5, v8
	v_lshl_add_u32 v4, v4, 23, 0x3b800000
	s_delay_alu instid0(VALU_DEP_2) | instskip(NEXT) | instid1(VALU_DEP_1)
	v_lshlrev_b32_e32 v5, 20, v5
	v_or3_b32 v4, v3, v4, v5
.LBB158_435:
	s_or_b32 exec_lo, exec_lo, s22
.LBB158_436:
	s_mov_b32 s0, -1
.LBB158_437:
	s_mov_b32 s22, 0
.LBB158_438:
	s_delay_alu instid0(SALU_CYCLE_1)
	s_and_b32 vcc_lo, exec_lo, s22
	s_cbranch_vccz .LBB158_473
; %bb.439:
	v_cmp_lt_i16_e32 vcc_lo, 22, v2
	s_cbranch_vccz .LBB158_449
; %bb.440:
	v_cmp_gt_i16_e32 vcc_lo, 24, v2
	s_cbranch_vccnz .LBB158_452
; %bb.441:
	v_cmp_lt_i16_e32 vcc_lo, 24, v2
	s_cbranch_vccz .LBB158_453
; %bb.442:
	global_load_u8 v3, v[0:1], off
	s_mov_b32 s0, 0
	s_mov_b32 s23, exec_lo
                                        ; implicit-def: $sgpr22
	s_waitcnt vmcnt(0)
	v_cmpx_lt_i16_e32 0x7f, v3
	s_xor_b32 s23, exec_lo, s23
	s_cbranch_execz .LBB158_465
; %bb.443:
	s_mov_b32 s0, -1
	s_mov_b32 s25, exec_lo
                                        ; implicit-def: $sgpr22
	v_cmpx_eq_u16_e32 0x80, v3
; %bb.444:
	s_mov_b32 s22, 0x7f800001
	s_xor_b32 s0, exec_lo, -1
; %bb.445:
	s_or_b32 exec_lo, exec_lo, s25
	s_delay_alu instid0(SALU_CYCLE_1)
	s_and_b32 s0, s0, exec_lo
	s_or_saveexec_b32 s23, s23
	v_mov_b32_e32 v4, s22
	s_xor_b32 exec_lo, exec_lo, s23
	s_cbranch_execnz .LBB158_466
.LBB158_446:
	s_or_b32 exec_lo, exec_lo, s23
	s_and_saveexec_b32 s22, s0
	s_cbranch_execz .LBB158_448
.LBB158_447:
	v_and_b32_e32 v4, 0xffff, v3
	v_lshlrev_b32_e32 v3, 24, v3
	s_delay_alu instid0(VALU_DEP_2) | instskip(NEXT) | instid1(VALU_DEP_2)
	v_and_b32_e32 v5, 3, v4
	v_and_b32_e32 v3, 0x80000000, v3
	s_delay_alu instid0(VALU_DEP_2) | instskip(NEXT) | instid1(VALU_DEP_1)
	v_clz_i32_u32_e32 v6, v5
	v_min_u32_e32 v6, 32, v6
	s_delay_alu instid0(VALU_DEP_1) | instskip(SKIP_1) | instid1(VALU_DEP_2)
	v_subrev_nc_u32_e32 v8, 29, v6
	v_sub_nc_u32_e32 v6, 30, v6
	v_lshlrev_b32_e32 v8, v8, v4
	v_bfe_u32 v4, v4, 2, 5
	s_delay_alu instid0(VALU_DEP_2) | instskip(NEXT) | instid1(VALU_DEP_2)
	v_and_b32_e32 v8, 3, v8
	v_cmp_eq_u32_e32 vcc_lo, 0, v4
	s_delay_alu instid0(VALU_DEP_2) | instskip(NEXT) | instid1(VALU_DEP_1)
	v_dual_cndmask_b32 v4, v4, v6 :: v_dual_cndmask_b32 v5, v5, v8
	v_lshl_add_u32 v4, v4, 23, 0x37800000
	s_delay_alu instid0(VALU_DEP_2) | instskip(NEXT) | instid1(VALU_DEP_1)
	v_lshlrev_b32_e32 v5, 21, v5
	v_or3_b32 v4, v3, v4, v5
.LBB158_448:
	s_or_b32 exec_lo, exec_lo, s22
	s_mov_b32 s0, 0
	s_branch .LBB158_454
.LBB158_449:
	s_mov_b32 s22, -1
                                        ; implicit-def: $vgpr4
	s_branch .LBB158_460
.LBB158_450:
	s_or_saveexec_b32 s23, s23
	v_mov_b32_e32 v4, s22
	s_xor_b32 exec_lo, exec_lo, s23
	s_cbranch_execz .LBB158_433
.LBB158_451:
	v_cmp_ne_u16_e32 vcc_lo, 0, v3
	v_mov_b32_e32 v4, 0
	s_and_not1_b32 s0, s0, exec_lo
	s_and_b32 s22, vcc_lo, exec_lo
	s_delay_alu instid0(SALU_CYCLE_1)
	s_or_b32 s0, s0, s22
	s_or_b32 exec_lo, exec_lo, s23
	s_and_saveexec_b32 s22, s0
	s_cbranch_execnz .LBB158_434
	s_branch .LBB158_435
.LBB158_452:
	s_mov_b32 s0, -1
                                        ; implicit-def: $vgpr4
	s_branch .LBB158_457
.LBB158_453:
	s_mov_b32 s0, -1
                                        ; implicit-def: $vgpr4
.LBB158_454:
	s_delay_alu instid0(SALU_CYCLE_1)
	s_and_b32 vcc_lo, exec_lo, s0
	s_cbranch_vccz .LBB158_456
; %bb.455:
	global_load_u8 v3, v[0:1], off
	s_waitcnt vmcnt(0)
	v_lshlrev_b32_e32 v3, 24, v3
	s_delay_alu instid0(VALU_DEP_1) | instskip(NEXT) | instid1(VALU_DEP_1)
	v_and_b32_e32 v4, 0x7f000000, v3
	v_clz_i32_u32_e32 v5, v4
	v_add_nc_u32_e32 v8, 0x1000000, v4
	v_cmp_ne_u32_e32 vcc_lo, 0, v4
	s_delay_alu instid0(VALU_DEP_3) | instskip(NEXT) | instid1(VALU_DEP_1)
	v_min_u32_e32 v5, 32, v5
	v_sub_nc_u32_e64 v5, v5, 4 clamp
	s_delay_alu instid0(VALU_DEP_1) | instskip(SKIP_1) | instid1(VALU_DEP_2)
	v_lshlrev_b32_e32 v6, v5, v4
	v_lshlrev_b32_e32 v5, 23, v5
	v_lshrrev_b32_e32 v6, 4, v6
	s_delay_alu instid0(VALU_DEP_1) | instskip(SKIP_1) | instid1(VALU_DEP_2)
	v_sub_nc_u32_e32 v5, v6, v5
	v_ashrrev_i32_e32 v6, 8, v8
	v_add_nc_u32_e32 v5, 0x3c000000, v5
	s_delay_alu instid0(VALU_DEP_1) | instskip(NEXT) | instid1(VALU_DEP_1)
	v_and_or_b32 v5, 0x7f800000, v6, v5
	v_cndmask_b32_e32 v4, 0, v5, vcc_lo
	s_delay_alu instid0(VALU_DEP_1)
	v_and_or_b32 v4, 0x80000000, v3, v4
.LBB158_456:
	s_mov_b32 s0, 0
.LBB158_457:
	s_delay_alu instid0(SALU_CYCLE_1)
	s_and_not1_b32 vcc_lo, exec_lo, s0
	s_cbranch_vccnz .LBB158_459
; %bb.458:
	global_load_u8 v3, v[0:1], off
	s_waitcnt vmcnt(0)
	v_lshlrev_b32_e32 v4, 25, v3
	v_lshlrev_b16 v3, 8, v3
	s_delay_alu instid0(VALU_DEP_2) | instskip(NEXT) | instid1(VALU_DEP_2)
	v_lshrrev_b32_e32 v5, 4, v4
	v_and_or_b32 v6, 0x7f00, v3, 0.5
	v_bfe_i32 v3, v3, 0, 16
	s_delay_alu instid0(VALU_DEP_3) | instskip(NEXT) | instid1(VALU_DEP_1)
	v_or_b32_e32 v5, 0x70000000, v5
	v_dual_add_f32 v6, -0.5, v6 :: v_dual_mul_f32 v5, 0x7800000, v5
	v_cmp_gt_u32_e32 vcc_lo, 0x8000000, v4
	s_delay_alu instid0(VALU_DEP_2) | instskip(NEXT) | instid1(VALU_DEP_1)
	v_cndmask_b32_e32 v4, v5, v6, vcc_lo
	v_and_or_b32 v4, 0x80000000, v3, v4
.LBB158_459:
	s_mov_b32 s22, 0
	s_mov_b32 s0, -1
.LBB158_460:
	s_and_not1_b32 vcc_lo, exec_lo, s22
	s_cbranch_vccnz .LBB158_473
; %bb.461:
	v_cmp_lt_i16_e32 vcc_lo, 14, v2
	s_cbranch_vccz .LBB158_464
; %bb.462:
	v_cmp_eq_u16_e32 vcc_lo, 15, v2
	s_cbranch_vccz .LBB158_467
; %bb.463:
	global_load_u16 v3, v[0:1], off
	s_mov_b32 s0, -1
	s_mov_b32 s21, 0
	s_waitcnt vmcnt(0)
	v_lshlrev_b32_e32 v4, 16, v3
	s_branch .LBB158_468
.LBB158_464:
	s_mov_b32 s22, -1
                                        ; implicit-def: $vgpr4
	s_branch .LBB158_469
.LBB158_465:
	s_or_saveexec_b32 s23, s23
	v_mov_b32_e32 v4, s22
	s_xor_b32 exec_lo, exec_lo, s23
	s_cbranch_execz .LBB158_446
.LBB158_466:
	v_cmp_ne_u16_e32 vcc_lo, 0, v3
	v_mov_b32_e32 v4, 0
	s_and_not1_b32 s0, s0, exec_lo
	s_and_b32 s22, vcc_lo, exec_lo
	s_delay_alu instid0(SALU_CYCLE_1)
	s_or_b32 s0, s0, s22
	s_or_b32 exec_lo, exec_lo, s23
	s_and_saveexec_b32 s22, s0
	s_cbranch_execnz .LBB158_447
	s_branch .LBB158_448
.LBB158_467:
	s_mov_b32 s21, -1
                                        ; implicit-def: $vgpr4
.LBB158_468:
	s_mov_b32 s22, 0
.LBB158_469:
	s_delay_alu instid0(SALU_CYCLE_1)
	s_and_b32 vcc_lo, exec_lo, s22
	s_cbranch_vccz .LBB158_473
; %bb.470:
	v_cmp_eq_u16_e32 vcc_lo, 11, v2
	s_cbranch_vccz .LBB158_472
; %bb.471:
	global_load_u8 v3, v[0:1], off
	s_mov_b32 s21, 0
	s_mov_b32 s0, -1
	s_waitcnt vmcnt(0)
	v_cmp_ne_u16_e32 vcc_lo, 0, v3
	v_cndmask_b32_e64 v4, 0, 1.0, vcc_lo
	s_branch .LBB158_473
.LBB158_472:
	s_mov_b32 s21, -1
                                        ; implicit-def: $vgpr4
.LBB158_473:
	s_branch .LBB158_388
.LBB158_474:
	v_cmp_gt_i16_e32 vcc_lo, 5, v2
	s_cbranch_vccnz .LBB158_479
; %bb.475:
	v_cmp_gt_i16_e32 vcc_lo, 8, v2
	s_cbranch_vccnz .LBB158_480
; %bb.476:
	;; [unrolled: 3-line block ×3, first 2 shown]
	v_cmp_lt_i16_e32 vcc_lo, 9, v2
	s_cbranch_vccz .LBB158_482
; %bb.478:
	global_load_b64 v[3:4], v[0:1], off
	s_mov_b32 s0, 0
	s_waitcnt vmcnt(0)
	v_cvt_f32_f64_e32 v4, v[3:4]
	s_branch .LBB158_483
.LBB158_479:
	s_mov_b32 s0, -1
                                        ; implicit-def: $vgpr4
	s_branch .LBB158_501
.LBB158_480:
	s_mov_b32 s0, -1
                                        ; implicit-def: $vgpr4
	s_branch .LBB158_489
.LBB158_481:
	s_mov_b32 s0, -1
                                        ; implicit-def: $vgpr4
	s_branch .LBB158_486
.LBB158_482:
	s_mov_b32 s0, -1
                                        ; implicit-def: $vgpr4
.LBB158_483:
	s_delay_alu instid0(SALU_CYCLE_1)
	s_and_not1_b32 vcc_lo, exec_lo, s0
	s_cbranch_vccnz .LBB158_485
; %bb.484:
	global_load_b32 v4, v[0:1], off
.LBB158_485:
	s_mov_b32 s0, 0
.LBB158_486:
	s_delay_alu instid0(SALU_CYCLE_1)
	s_and_not1_b32 vcc_lo, exec_lo, s0
	s_cbranch_vccnz .LBB158_488
; %bb.487:
	global_load_b32 v3, v[0:1], off
	s_waitcnt vmcnt(0)
	v_cvt_f32_f16_e32 v4, v3
.LBB158_488:
	s_mov_b32 s0, 0
.LBB158_489:
	s_delay_alu instid0(SALU_CYCLE_1)
	s_and_not1_b32 vcc_lo, exec_lo, s0
	s_cbranch_vccnz .LBB158_500
; %bb.490:
	v_cmp_gt_i16_e32 vcc_lo, 6, v2
	s_cbranch_vccnz .LBB158_493
; %bb.491:
	v_cmp_lt_i16_e32 vcc_lo, 6, v2
	s_cbranch_vccz .LBB158_494
; %bb.492:
	global_load_b64 v[3:4], v[0:1], off
	s_mov_b32 s0, 0
	s_waitcnt vmcnt(0)
	v_cvt_f32_f64_e32 v4, v[3:4]
	s_branch .LBB158_495
.LBB158_493:
	s_mov_b32 s0, -1
                                        ; implicit-def: $vgpr4
	s_branch .LBB158_498
.LBB158_494:
	s_mov_b32 s0, -1
                                        ; implicit-def: $vgpr4
.LBB158_495:
	s_delay_alu instid0(SALU_CYCLE_1)
	s_and_not1_b32 vcc_lo, exec_lo, s0
	s_cbranch_vccnz .LBB158_497
; %bb.496:
	global_load_b32 v4, v[0:1], off
.LBB158_497:
	s_mov_b32 s0, 0
.LBB158_498:
	s_delay_alu instid0(SALU_CYCLE_1)
	s_and_not1_b32 vcc_lo, exec_lo, s0
	s_cbranch_vccnz .LBB158_500
; %bb.499:
	global_load_u16 v3, v[0:1], off
	s_waitcnt vmcnt(0)
	v_cvt_f32_f16_e32 v4, v3
.LBB158_500:
	s_mov_b32 s0, 0
.LBB158_501:
	s_delay_alu instid0(SALU_CYCLE_1)
	s_and_not1_b32 vcc_lo, exec_lo, s0
	s_cbranch_vccnz .LBB158_521
; %bb.502:
	v_cmp_gt_i16_e32 vcc_lo, 2, v2
	s_cbranch_vccnz .LBB158_506
; %bb.503:
	v_cmp_gt_i16_e32 vcc_lo, 3, v2
	s_cbranch_vccnz .LBB158_507
; %bb.504:
	v_cmp_lt_i16_e32 vcc_lo, 3, v2
	s_cbranch_vccz .LBB158_508
; %bb.505:
	global_load_b64 v[3:4], v[0:1], off
	s_mov_b32 s0, 0
	s_waitcnt vmcnt(0)
	v_xor_b32_e32 v5, v3, v4
	v_cls_i32_e32 v6, v4
	s_delay_alu instid0(VALU_DEP_2) | instskip(NEXT) | instid1(VALU_DEP_2)
	v_ashrrev_i32_e32 v5, 31, v5
	v_add_nc_u32_e32 v6, -1, v6
	s_delay_alu instid0(VALU_DEP_2) | instskip(NEXT) | instid1(VALU_DEP_1)
	v_add_nc_u32_e32 v5, 32, v5
	v_min_u32_e32 v5, v6, v5
	s_delay_alu instid0(VALU_DEP_1) | instskip(NEXT) | instid1(VALU_DEP_1)
	v_lshlrev_b64 v[3:4], v5, v[3:4]
	v_min_u32_e32 v3, 1, v3
	s_delay_alu instid0(VALU_DEP_1) | instskip(SKIP_1) | instid1(VALU_DEP_2)
	v_or_b32_e32 v3, v4, v3
	v_sub_nc_u32_e32 v4, 32, v5
	v_cvt_f32_i32_e32 v3, v3
	s_delay_alu instid0(VALU_DEP_1)
	v_ldexp_f32 v4, v3, v4
	s_branch .LBB158_509
.LBB158_506:
	s_mov_b32 s0, -1
                                        ; implicit-def: $vgpr4
	s_branch .LBB158_515
.LBB158_507:
	s_mov_b32 s0, -1
                                        ; implicit-def: $vgpr4
	s_branch .LBB158_512
.LBB158_508:
	s_mov_b32 s0, -1
                                        ; implicit-def: $vgpr4
.LBB158_509:
	s_delay_alu instid0(SALU_CYCLE_1)
	s_and_not1_b32 vcc_lo, exec_lo, s0
	s_cbranch_vccnz .LBB158_511
; %bb.510:
	global_load_b32 v3, v[0:1], off
	s_waitcnt vmcnt(0)
	v_cvt_f32_i32_e32 v4, v3
.LBB158_511:
	s_mov_b32 s0, 0
.LBB158_512:
	s_delay_alu instid0(SALU_CYCLE_1)
	s_and_not1_b32 vcc_lo, exec_lo, s0
	s_cbranch_vccnz .LBB158_514
; %bb.513:
	global_load_i16 v3, v[0:1], off
	s_waitcnt vmcnt(0)
	v_cvt_f32_i32_e32 v4, v3
.LBB158_514:
	s_mov_b32 s0, 0
.LBB158_515:
	s_delay_alu instid0(SALU_CYCLE_1)
	s_and_not1_b32 vcc_lo, exec_lo, s0
	s_cbranch_vccnz .LBB158_521
; %bb.516:
	v_cmp_lt_i16_e32 vcc_lo, 0, v2
	s_mov_b32 s0, 0
	s_cbranch_vccz .LBB158_518
; %bb.517:
	global_load_i8 v2, v[0:1], off
	s_waitcnt vmcnt(0)
	v_cvt_f32_i32_e32 v4, v2
	s_branch .LBB158_519
.LBB158_518:
	s_mov_b32 s0, -1
                                        ; implicit-def: $vgpr4
.LBB158_519:
	s_delay_alu instid0(SALU_CYCLE_1)
	s_and_not1_b32 vcc_lo, exec_lo, s0
	s_cbranch_vccnz .LBB158_521
; %bb.520:
	global_load_u8 v0, v[0:1], off
	s_waitcnt vmcnt(0)
	v_cvt_f32_ubyte0_e32 v4, v0
.LBB158_521:
	s_branch .LBB158_389
.LBB158_522:
	s_mov_b32 s25, 0
	s_mov_b32 s0, s16
	;; [unrolled: 1-line block ×3, first 2 shown]
	s_branch .LBB158_762
.LBB158_523:
	s_or_saveexec_b32 s23, s23
                                        ; implicit-def: $sgpr24
	s_delay_alu instid0(SALU_CYCLE_1)
	s_xor_b32 exec_lo, exec_lo, s23
	s_cbranch_execz .LBB158_193
.LBB158_524:
	v_add_f32_e64 v3, 0x42800000, |v2|
	s_and_not1_b32 s22, s22, exec_lo
	s_mov_b32 s24, 0
	s_delay_alu instid0(VALU_DEP_1) | instskip(NEXT) | instid1(VALU_DEP_1)
	v_and_b32_e32 v3, 0xff, v3
	v_cmp_ne_u32_e32 vcc_lo, 0, v3
	s_and_b32 s25, vcc_lo, exec_lo
	s_delay_alu instid0(SALU_CYCLE_1)
	s_or_b32 s22, s22, s25
	s_or_b32 exec_lo, exec_lo, s23
	v_mov_b32_e32 v4, s24
	s_and_saveexec_b32 s23, s22
	s_cbranch_execnz .LBB158_194
	s_branch .LBB158_195
.LBB158_525:
	s_mov_b32 s23, -1
	s_mov_b32 s0, 0
.LBB158_526:
                                        ; implicit-def: $vgpr2
.LBB158_527:
	s_and_b32 vcc_lo, exec_lo, s22
	s_cbranch_vccz .LBB158_531
; %bb.528:
	v_cmp_eq_u16_e32 vcc_lo, 44, v5
	s_cbranch_vccz .LBB158_530
; %bb.529:
	global_load_u8 v2, v[0:1], off
	s_mov_b32 s23, 0
	s_mov_b32 s0, -1
	s_waitcnt vmcnt(0)
	v_lshlrev_b32_e32 v3, 23, v2
	v_cmp_ne_u32_e32 vcc_lo, 0, v2
	s_delay_alu instid0(VALU_DEP_2) | instskip(NEXT) | instid1(VALU_DEP_1)
	v_trunc_f32_e32 v3, v3
	v_mul_f32_e64 v6, 0x2f800000, |v3|
	s_delay_alu instid0(VALU_DEP_1) | instskip(NEXT) | instid1(VALU_DEP_1)
	v_floor_f32_e32 v6, v6
	v_fma_f32 v6, 0xcf800000, v6, |v3|
	v_ashrrev_i32_e32 v3, 31, v3
	s_delay_alu instid0(VALU_DEP_2) | instskip(NEXT) | instid1(VALU_DEP_1)
	v_cvt_u32_f32_e32 v6, v6
	v_xor_b32_e32 v6, v6, v3
	s_delay_alu instid0(VALU_DEP_1) | instskip(NEXT) | instid1(VALU_DEP_1)
	v_sub_nc_u32_e32 v3, v6, v3
	v_cndmask_b32_e32 v2, 0, v3, vcc_lo
	s_branch .LBB158_531
.LBB158_530:
	s_mov_b32 s23, -1
                                        ; implicit-def: $vgpr2
.LBB158_531:
	s_mov_b32 s22, 0
.LBB158_532:
	s_delay_alu instid0(SALU_CYCLE_1)
	s_and_b32 vcc_lo, exec_lo, s22
	s_cbranch_vccz .LBB158_536
; %bb.533:
	v_cmp_eq_u16_e32 vcc_lo, 29, v5
	s_cbranch_vccz .LBB158_535
; %bb.534:
	global_load_b64 v[2:3], v[0:1], off
	s_mov_b32 s0, -1
	s_mov_b32 s23, 0
	s_branch .LBB158_536
.LBB158_535:
	s_mov_b32 s23, -1
                                        ; implicit-def: $vgpr2
.LBB158_536:
	s_mov_b32 s22, 0
.LBB158_537:
	s_delay_alu instid0(SALU_CYCLE_1)
	s_and_b32 vcc_lo, exec_lo, s22
	s_cbranch_vccz .LBB158_553
; %bb.538:
	v_cmp_gt_i16_e32 vcc_lo, 27, v5
	s_cbranch_vccnz .LBB158_541
; %bb.539:
	v_cmp_lt_i16_e32 vcc_lo, 27, v5
	s_cbranch_vccz .LBB158_542
; %bb.540:
	global_load_b32 v2, v[0:1], off
	s_mov_b32 s0, 0
	s_branch .LBB158_543
.LBB158_541:
	s_mov_b32 s0, -1
                                        ; implicit-def: $vgpr2
	s_branch .LBB158_546
.LBB158_542:
	s_mov_b32 s0, -1
                                        ; implicit-def: $vgpr2
.LBB158_543:
	s_delay_alu instid0(SALU_CYCLE_1)
	s_and_not1_b32 vcc_lo, exec_lo, s0
	s_cbranch_vccnz .LBB158_545
; %bb.544:
	global_load_u16 v2, v[0:1], off
.LBB158_545:
	s_mov_b32 s0, 0
.LBB158_546:
	s_delay_alu instid0(SALU_CYCLE_1)
	s_and_not1_b32 vcc_lo, exec_lo, s0
	s_cbranch_vccnz .LBB158_552
; %bb.547:
	global_load_u8 v3, v[0:1], off
	s_mov_b32 s22, 0
	s_mov_b32 s0, exec_lo
                                        ; implicit-def: $sgpr25
	s_waitcnt vmcnt(0)
	v_cmpx_lt_i16_e32 0x7f, v3
	s_xor_b32 s0, exec_lo, s0
	s_cbranch_execz .LBB158_564
; %bb.548:
	v_cmp_ne_u16_e32 vcc_lo, 0x80, v3
	s_mov_b32 s25, 0
	s_and_b32 s22, vcc_lo, exec_lo
	s_or_saveexec_b32 s0, s0
	v_mov_b32_e32 v2, s25
	s_xor_b32 exec_lo, exec_lo, s0
	s_cbranch_execnz .LBB158_565
.LBB158_549:
	s_or_b32 exec_lo, exec_lo, s0
	s_and_saveexec_b32 s0, s22
	s_cbranch_execz .LBB158_551
.LBB158_550:
	v_and_b32_e32 v2, 0xffff, v3
	s_delay_alu instid0(VALU_DEP_1) | instskip(NEXT) | instid1(VALU_DEP_1)
	v_and_b32_e32 v6, 7, v2
	v_clz_i32_u32_e32 v8, v6
	s_delay_alu instid0(VALU_DEP_1) | instskip(NEXT) | instid1(VALU_DEP_1)
	v_min_u32_e32 v8, 32, v8
	v_subrev_nc_u32_e32 v9, 28, v8
	v_sub_nc_u32_e32 v8, 29, v8
	s_delay_alu instid0(VALU_DEP_2) | instskip(SKIP_1) | instid1(VALU_DEP_1)
	v_lshlrev_b32_e32 v9, v9, v2
	v_bfe_u32 v2, v2, 3, 4
	v_cmp_eq_u32_e32 vcc_lo, 0, v2
	s_delay_alu instid0(VALU_DEP_3) | instskip(SKIP_1) | instid1(VALU_DEP_2)
	v_dual_cndmask_b32 v2, v2, v8 :: v_dual_and_b32 v9, 7, v9
	v_lshlrev_b32_e32 v3, 24, v3
	v_lshl_add_u32 v2, v2, 23, 0x3b800000
	s_delay_alu instid0(VALU_DEP_2) | instskip(NEXT) | instid1(VALU_DEP_1)
	v_dual_cndmask_b32 v6, v6, v9 :: v_dual_and_b32 v3, 0x80000000, v3
	v_lshlrev_b32_e32 v6, 20, v6
	s_delay_alu instid0(VALU_DEP_1) | instskip(NEXT) | instid1(VALU_DEP_1)
	v_or3_b32 v2, v3, v2, v6
	v_trunc_f32_e32 v2, v2
	s_delay_alu instid0(VALU_DEP_1) | instskip(NEXT) | instid1(VALU_DEP_1)
	v_mul_f32_e64 v3, 0x2f800000, |v2|
	v_floor_f32_e32 v3, v3
	s_delay_alu instid0(VALU_DEP_1) | instskip(SKIP_1) | instid1(VALU_DEP_2)
	v_fma_f32 v3, 0xcf800000, v3, |v2|
	v_ashrrev_i32_e32 v2, 31, v2
	v_cvt_u32_f32_e32 v3, v3
	s_delay_alu instid0(VALU_DEP_1) | instskip(NEXT) | instid1(VALU_DEP_1)
	v_xor_b32_e32 v3, v3, v2
	v_sub_nc_u32_e32 v2, v3, v2
.LBB158_551:
	s_or_b32 exec_lo, exec_lo, s0
.LBB158_552:
	s_mov_b32 s0, -1
.LBB158_553:
	s_mov_b32 s22, 0
.LBB158_554:
	s_delay_alu instid0(SALU_CYCLE_1)
	s_and_b32 vcc_lo, exec_lo, s22
	s_cbranch_vccz .LBB158_587
; %bb.555:
	v_cmp_lt_i16_e32 vcc_lo, 22, v5
	s_cbranch_vccz .LBB158_563
; %bb.556:
	v_cmp_gt_i16_e32 vcc_lo, 24, v5
	s_cbranch_vccnz .LBB158_566
; %bb.557:
	v_cmp_lt_i16_e32 vcc_lo, 24, v5
	s_cbranch_vccz .LBB158_567
; %bb.558:
	global_load_u8 v3, v[0:1], off
	s_mov_b32 s22, 0
	s_mov_b32 s0, exec_lo
                                        ; implicit-def: $sgpr25
	s_waitcnt vmcnt(0)
	v_cmpx_lt_i16_e32 0x7f, v3
	s_xor_b32 s0, exec_lo, s0
	s_cbranch_execz .LBB158_579
; %bb.559:
	v_cmp_ne_u16_e32 vcc_lo, 0x80, v3
	s_mov_b32 s25, 0
	s_and_b32 s22, vcc_lo, exec_lo
	s_or_saveexec_b32 s0, s0
	v_mov_b32_e32 v2, s25
	s_xor_b32 exec_lo, exec_lo, s0
	s_cbranch_execnz .LBB158_580
.LBB158_560:
	s_or_b32 exec_lo, exec_lo, s0
	s_and_saveexec_b32 s0, s22
	s_cbranch_execz .LBB158_562
.LBB158_561:
	v_and_b32_e32 v2, 0xffff, v3
	s_delay_alu instid0(VALU_DEP_1) | instskip(NEXT) | instid1(VALU_DEP_1)
	v_and_b32_e32 v6, 3, v2
	v_clz_i32_u32_e32 v8, v6
	s_delay_alu instid0(VALU_DEP_1) | instskip(NEXT) | instid1(VALU_DEP_1)
	v_min_u32_e32 v8, 32, v8
	v_subrev_nc_u32_e32 v9, 29, v8
	v_sub_nc_u32_e32 v8, 30, v8
	s_delay_alu instid0(VALU_DEP_2) | instskip(SKIP_1) | instid1(VALU_DEP_1)
	v_lshlrev_b32_e32 v9, v9, v2
	v_bfe_u32 v2, v2, 2, 5
	v_cmp_eq_u32_e32 vcc_lo, 0, v2
	s_delay_alu instid0(VALU_DEP_3) | instskip(SKIP_1) | instid1(VALU_DEP_2)
	v_dual_cndmask_b32 v2, v2, v8 :: v_dual_and_b32 v9, 3, v9
	v_lshlrev_b32_e32 v3, 24, v3
	v_lshl_add_u32 v2, v2, 23, 0x37800000
	s_delay_alu instid0(VALU_DEP_2) | instskip(NEXT) | instid1(VALU_DEP_1)
	v_dual_cndmask_b32 v6, v6, v9 :: v_dual_and_b32 v3, 0x80000000, v3
	v_lshlrev_b32_e32 v6, 21, v6
	s_delay_alu instid0(VALU_DEP_1) | instskip(NEXT) | instid1(VALU_DEP_1)
	v_or3_b32 v2, v3, v2, v6
	v_trunc_f32_e32 v2, v2
	s_delay_alu instid0(VALU_DEP_1) | instskip(NEXT) | instid1(VALU_DEP_1)
	v_mul_f32_e64 v3, 0x2f800000, |v2|
	v_floor_f32_e32 v3, v3
	s_delay_alu instid0(VALU_DEP_1) | instskip(SKIP_1) | instid1(VALU_DEP_2)
	v_fma_f32 v3, 0xcf800000, v3, |v2|
	v_ashrrev_i32_e32 v2, 31, v2
	v_cvt_u32_f32_e32 v3, v3
	s_delay_alu instid0(VALU_DEP_1) | instskip(NEXT) | instid1(VALU_DEP_1)
	v_xor_b32_e32 v3, v3, v2
	v_sub_nc_u32_e32 v2, v3, v2
.LBB158_562:
	s_or_b32 exec_lo, exec_lo, s0
	s_mov_b32 s0, 0
	s_branch .LBB158_568
.LBB158_563:
	s_mov_b32 s22, -1
                                        ; implicit-def: $vgpr2
	s_branch .LBB158_574
.LBB158_564:
	s_or_saveexec_b32 s0, s0
	v_mov_b32_e32 v2, s25
	s_xor_b32 exec_lo, exec_lo, s0
	s_cbranch_execz .LBB158_549
.LBB158_565:
	v_cmp_ne_u16_e32 vcc_lo, 0, v3
	v_mov_b32_e32 v2, 0
	s_and_not1_b32 s22, s22, exec_lo
	s_and_b32 s25, vcc_lo, exec_lo
	s_delay_alu instid0(SALU_CYCLE_1)
	s_or_b32 s22, s22, s25
	s_or_b32 exec_lo, exec_lo, s0
	s_and_saveexec_b32 s0, s22
	s_cbranch_execnz .LBB158_550
	s_branch .LBB158_551
.LBB158_566:
	s_mov_b32 s0, -1
                                        ; implicit-def: $vgpr2
	s_branch .LBB158_571
.LBB158_567:
	s_mov_b32 s0, -1
                                        ; implicit-def: $vgpr2
.LBB158_568:
	s_delay_alu instid0(SALU_CYCLE_1)
	s_and_b32 vcc_lo, exec_lo, s0
	s_cbranch_vccz .LBB158_570
; %bb.569:
	global_load_u8 v2, v[0:1], off
	s_waitcnt vmcnt(0)
	v_lshlrev_b32_e32 v2, 24, v2
	s_delay_alu instid0(VALU_DEP_1) | instskip(NEXT) | instid1(VALU_DEP_1)
	v_and_b32_e32 v3, 0x7f000000, v2
	v_clz_i32_u32_e32 v6, v3
	v_cmp_ne_u32_e32 vcc_lo, 0, v3
	v_add_nc_u32_e32 v9, 0x1000000, v3
	s_delay_alu instid0(VALU_DEP_3) | instskip(NEXT) | instid1(VALU_DEP_1)
	v_min_u32_e32 v6, 32, v6
	v_sub_nc_u32_e64 v6, v6, 4 clamp
	s_delay_alu instid0(VALU_DEP_1) | instskip(SKIP_1) | instid1(VALU_DEP_2)
	v_lshlrev_b32_e32 v8, v6, v3
	v_lshlrev_b32_e32 v6, 23, v6
	v_lshrrev_b32_e32 v8, 4, v8
	s_delay_alu instid0(VALU_DEP_1) | instskip(SKIP_1) | instid1(VALU_DEP_2)
	v_sub_nc_u32_e32 v6, v8, v6
	v_ashrrev_i32_e32 v8, 8, v9
	v_add_nc_u32_e32 v6, 0x3c000000, v6
	s_delay_alu instid0(VALU_DEP_1) | instskip(NEXT) | instid1(VALU_DEP_1)
	v_and_or_b32 v6, 0x7f800000, v8, v6
	v_cndmask_b32_e32 v3, 0, v6, vcc_lo
	s_delay_alu instid0(VALU_DEP_1) | instskip(NEXT) | instid1(VALU_DEP_1)
	v_and_or_b32 v2, 0x80000000, v2, v3
	v_trunc_f32_e32 v2, v2
	s_delay_alu instid0(VALU_DEP_1) | instskip(NEXT) | instid1(VALU_DEP_1)
	v_mul_f32_e64 v3, 0x2f800000, |v2|
	v_floor_f32_e32 v3, v3
	s_delay_alu instid0(VALU_DEP_1) | instskip(SKIP_1) | instid1(VALU_DEP_2)
	v_fma_f32 v3, 0xcf800000, v3, |v2|
	v_ashrrev_i32_e32 v2, 31, v2
	v_cvt_u32_f32_e32 v3, v3
	s_delay_alu instid0(VALU_DEP_1) | instskip(NEXT) | instid1(VALU_DEP_1)
	v_xor_b32_e32 v3, v3, v2
	v_sub_nc_u32_e32 v2, v3, v2
.LBB158_570:
	s_mov_b32 s0, 0
.LBB158_571:
	s_delay_alu instid0(SALU_CYCLE_1)
	s_and_not1_b32 vcc_lo, exec_lo, s0
	s_cbranch_vccnz .LBB158_573
; %bb.572:
	global_load_u8 v2, v[0:1], off
	s_waitcnt vmcnt(0)
	v_lshlrev_b32_e32 v3, 25, v2
	v_lshlrev_b16 v2, 8, v2
	s_delay_alu instid0(VALU_DEP_1) | instskip(SKIP_1) | instid1(VALU_DEP_2)
	v_and_or_b32 v8, 0x7f00, v2, 0.5
	v_bfe_i32 v2, v2, 0, 16
	v_add_f32_e32 v8, -0.5, v8
	v_lshrrev_b32_e32 v6, 4, v3
	v_cmp_gt_u32_e32 vcc_lo, 0x8000000, v3
	s_delay_alu instid0(VALU_DEP_2) | instskip(NEXT) | instid1(VALU_DEP_1)
	v_or_b32_e32 v6, 0x70000000, v6
	v_mul_f32_e32 v6, 0x7800000, v6
	s_delay_alu instid0(VALU_DEP_1) | instskip(NEXT) | instid1(VALU_DEP_1)
	v_cndmask_b32_e32 v3, v6, v8, vcc_lo
	v_and_or_b32 v2, 0x80000000, v2, v3
	s_delay_alu instid0(VALU_DEP_1) | instskip(NEXT) | instid1(VALU_DEP_1)
	v_trunc_f32_e32 v2, v2
	v_mul_f32_e64 v3, 0x2f800000, |v2|
	s_delay_alu instid0(VALU_DEP_1) | instskip(NEXT) | instid1(VALU_DEP_1)
	v_floor_f32_e32 v3, v3
	v_fma_f32 v3, 0xcf800000, v3, |v2|
	v_ashrrev_i32_e32 v2, 31, v2
	s_delay_alu instid0(VALU_DEP_2) | instskip(NEXT) | instid1(VALU_DEP_1)
	v_cvt_u32_f32_e32 v3, v3
	v_xor_b32_e32 v3, v3, v2
	s_delay_alu instid0(VALU_DEP_1)
	v_sub_nc_u32_e32 v2, v3, v2
.LBB158_573:
	s_mov_b32 s22, 0
	s_mov_b32 s0, -1
.LBB158_574:
	s_and_not1_b32 vcc_lo, exec_lo, s22
	s_cbranch_vccnz .LBB158_587
; %bb.575:
	v_cmp_lt_i16_e32 vcc_lo, 14, v5
	s_cbranch_vccz .LBB158_578
; %bb.576:
	v_cmp_eq_u16_e32 vcc_lo, 15, v5
	s_cbranch_vccz .LBB158_581
; %bb.577:
	global_load_u16 v2, v[0:1], off
	s_mov_b32 s0, -1
	s_mov_b32 s23, 0
	s_waitcnt vmcnt(0)
	v_lshlrev_b32_e32 v2, 16, v2
	s_delay_alu instid0(VALU_DEP_1) | instskip(NEXT) | instid1(VALU_DEP_1)
	v_trunc_f32_e32 v2, v2
	v_mul_f32_e64 v3, 0x2f800000, |v2|
	s_delay_alu instid0(VALU_DEP_1) | instskip(NEXT) | instid1(VALU_DEP_1)
	v_floor_f32_e32 v3, v3
	v_fma_f32 v3, 0xcf800000, v3, |v2|
	v_ashrrev_i32_e32 v2, 31, v2
	s_delay_alu instid0(VALU_DEP_2) | instskip(NEXT) | instid1(VALU_DEP_1)
	v_cvt_u32_f32_e32 v3, v3
	v_xor_b32_e32 v3, v3, v2
	s_delay_alu instid0(VALU_DEP_1)
	v_sub_nc_u32_e32 v2, v3, v2
	s_branch .LBB158_582
.LBB158_578:
	s_mov_b32 s22, -1
                                        ; implicit-def: $vgpr2
	s_branch .LBB158_583
.LBB158_579:
	s_or_saveexec_b32 s0, s0
	v_mov_b32_e32 v2, s25
	s_xor_b32 exec_lo, exec_lo, s0
	s_cbranch_execz .LBB158_560
.LBB158_580:
	v_cmp_ne_u16_e32 vcc_lo, 0, v3
	v_mov_b32_e32 v2, 0
	s_and_not1_b32 s22, s22, exec_lo
	s_and_b32 s25, vcc_lo, exec_lo
	s_delay_alu instid0(SALU_CYCLE_1)
	s_or_b32 s22, s22, s25
	s_or_b32 exec_lo, exec_lo, s0
	s_and_saveexec_b32 s0, s22
	s_cbranch_execnz .LBB158_561
	s_branch .LBB158_562
.LBB158_581:
	s_mov_b32 s23, -1
                                        ; implicit-def: $vgpr2
.LBB158_582:
	s_mov_b32 s22, 0
.LBB158_583:
	s_delay_alu instid0(SALU_CYCLE_1)
	s_and_b32 vcc_lo, exec_lo, s22
	s_cbranch_vccz .LBB158_587
; %bb.584:
	v_cmp_eq_u16_e32 vcc_lo, 11, v5
	s_cbranch_vccz .LBB158_586
; %bb.585:
	global_load_u8 v2, v[0:1], off
	s_mov_b32 s23, 0
	s_mov_b32 s0, -1
	s_waitcnt vmcnt(0)
	v_cmp_ne_u16_e32 vcc_lo, 0, v2
	v_cndmask_b32_e64 v2, 0, 1, vcc_lo
	s_branch .LBB158_587
.LBB158_586:
	s_mov_b32 s23, -1
                                        ; implicit-def: $vgpr2
.LBB158_587:
	s_mov_b32 s22, 0
.LBB158_588:
	s_delay_alu instid0(SALU_CYCLE_1)
	s_and_b32 vcc_lo, exec_lo, s22
	s_cbranch_vccz .LBB158_637
; %bb.589:
	v_cmp_gt_i16_e32 vcc_lo, 5, v5
	s_cbranch_vccnz .LBB158_594
; %bb.590:
	v_cmp_gt_i16_e32 vcc_lo, 8, v5
	s_cbranch_vccnz .LBB158_595
	;; [unrolled: 3-line block ×3, first 2 shown]
; %bb.592:
	v_cmp_lt_i16_e32 vcc_lo, 9, v5
	s_cbranch_vccz .LBB158_597
; %bb.593:
	global_load_b64 v[2:3], v[0:1], off
	s_mov_b32 s0, 0
	s_waitcnt vmcnt(0)
	v_trunc_f64_e32 v[2:3], v[2:3]
	s_delay_alu instid0(VALU_DEP_1) | instskip(NEXT) | instid1(VALU_DEP_1)
	v_ldexp_f64 v[8:9], v[2:3], 0xffffffe0
	v_floor_f64_e32 v[8:9], v[8:9]
	s_delay_alu instid0(VALU_DEP_1) | instskip(NEXT) | instid1(VALU_DEP_1)
	v_fma_f64 v[2:3], 0xc1f00000, v[8:9], v[2:3]
	v_cvt_u32_f64_e32 v2, v[2:3]
	s_branch .LBB158_598
.LBB158_594:
	s_mov_b32 s0, -1
                                        ; implicit-def: $vgpr2
	s_branch .LBB158_616
.LBB158_595:
	s_mov_b32 s0, -1
                                        ; implicit-def: $vgpr2
	s_branch .LBB158_604
.LBB158_596:
	s_mov_b32 s0, -1
                                        ; implicit-def: $vgpr2
	s_branch .LBB158_601
.LBB158_597:
	s_mov_b32 s0, -1
                                        ; implicit-def: $vgpr2
.LBB158_598:
	s_delay_alu instid0(SALU_CYCLE_1)
	s_and_not1_b32 vcc_lo, exec_lo, s0
	s_cbranch_vccnz .LBB158_600
; %bb.599:
	global_load_b32 v2, v[0:1], off
	s_waitcnt vmcnt(0)
	v_trunc_f32_e32 v2, v2
	s_delay_alu instid0(VALU_DEP_1) | instskip(NEXT) | instid1(VALU_DEP_1)
	v_mul_f32_e64 v3, 0x2f800000, |v2|
	v_floor_f32_e32 v3, v3
	s_delay_alu instid0(VALU_DEP_1) | instskip(SKIP_1) | instid1(VALU_DEP_2)
	v_fma_f32 v3, 0xcf800000, v3, |v2|
	v_ashrrev_i32_e32 v2, 31, v2
	v_cvt_u32_f32_e32 v3, v3
	s_delay_alu instid0(VALU_DEP_1) | instskip(NEXT) | instid1(VALU_DEP_1)
	v_xor_b32_e32 v3, v3, v2
	v_sub_nc_u32_e32 v2, v3, v2
.LBB158_600:
	s_mov_b32 s0, 0
.LBB158_601:
	s_delay_alu instid0(SALU_CYCLE_1)
	s_and_not1_b32 vcc_lo, exec_lo, s0
	s_cbranch_vccnz .LBB158_603
; %bb.602:
	global_load_b32 v2, v[0:1], off
	s_waitcnt vmcnt(0)
	v_cvt_f32_f16_e32 v2, v2
	s_delay_alu instid0(VALU_DEP_1)
	v_cvt_i32_f32_e32 v2, v2
.LBB158_603:
	s_mov_b32 s0, 0
.LBB158_604:
	s_delay_alu instid0(SALU_CYCLE_1)
	s_and_not1_b32 vcc_lo, exec_lo, s0
	s_cbranch_vccnz .LBB158_615
; %bb.605:
	v_cmp_gt_i16_e32 vcc_lo, 6, v5
	s_cbranch_vccnz .LBB158_608
; %bb.606:
	v_cmp_lt_i16_e32 vcc_lo, 6, v5
	s_cbranch_vccz .LBB158_609
; %bb.607:
	global_load_b64 v[2:3], v[0:1], off
	s_mov_b32 s0, 0
	s_waitcnt vmcnt(0)
	v_trunc_f64_e32 v[2:3], v[2:3]
	s_delay_alu instid0(VALU_DEP_1) | instskip(NEXT) | instid1(VALU_DEP_1)
	v_ldexp_f64 v[8:9], v[2:3], 0xffffffe0
	v_floor_f64_e32 v[8:9], v[8:9]
	s_delay_alu instid0(VALU_DEP_1) | instskip(NEXT) | instid1(VALU_DEP_1)
	v_fma_f64 v[2:3], 0xc1f00000, v[8:9], v[2:3]
	v_cvt_u32_f64_e32 v2, v[2:3]
	s_branch .LBB158_610
.LBB158_608:
	s_mov_b32 s0, -1
                                        ; implicit-def: $vgpr2
	s_branch .LBB158_613
.LBB158_609:
	s_mov_b32 s0, -1
                                        ; implicit-def: $vgpr2
.LBB158_610:
	s_delay_alu instid0(SALU_CYCLE_1)
	s_and_not1_b32 vcc_lo, exec_lo, s0
	s_cbranch_vccnz .LBB158_612
; %bb.611:
	global_load_b32 v2, v[0:1], off
	s_waitcnt vmcnt(0)
	v_trunc_f32_e32 v2, v2
	s_delay_alu instid0(VALU_DEP_1) | instskip(NEXT) | instid1(VALU_DEP_1)
	v_mul_f32_e64 v3, 0x2f800000, |v2|
	v_floor_f32_e32 v3, v3
	s_delay_alu instid0(VALU_DEP_1) | instskip(SKIP_1) | instid1(VALU_DEP_2)
	v_fma_f32 v3, 0xcf800000, v3, |v2|
	v_ashrrev_i32_e32 v2, 31, v2
	v_cvt_u32_f32_e32 v3, v3
	s_delay_alu instid0(VALU_DEP_1) | instskip(NEXT) | instid1(VALU_DEP_1)
	v_xor_b32_e32 v3, v3, v2
	v_sub_nc_u32_e32 v2, v3, v2
.LBB158_612:
	s_mov_b32 s0, 0
.LBB158_613:
	s_delay_alu instid0(SALU_CYCLE_1)
	s_and_not1_b32 vcc_lo, exec_lo, s0
	s_cbranch_vccnz .LBB158_615
; %bb.614:
	global_load_u16 v2, v[0:1], off
	s_waitcnt vmcnt(0)
	v_cvt_f32_f16_e32 v2, v2
	s_delay_alu instid0(VALU_DEP_1)
	v_cvt_i32_f32_e32 v2, v2
.LBB158_615:
	s_mov_b32 s0, 0
.LBB158_616:
	s_delay_alu instid0(SALU_CYCLE_1)
	s_and_not1_b32 vcc_lo, exec_lo, s0
	s_cbranch_vccnz .LBB158_636
; %bb.617:
	v_cmp_gt_i16_e32 vcc_lo, 2, v5
	s_cbranch_vccnz .LBB158_621
; %bb.618:
	v_cmp_gt_i16_e32 vcc_lo, 3, v5
	s_cbranch_vccnz .LBB158_622
; %bb.619:
	v_cmp_lt_i16_e32 vcc_lo, 3, v5
	s_cbranch_vccz .LBB158_623
; %bb.620:
	global_load_b64 v[2:3], v[0:1], off
	s_mov_b32 s0, 0
	s_branch .LBB158_624
.LBB158_621:
	s_mov_b32 s0, -1
                                        ; implicit-def: $vgpr2
	s_branch .LBB158_630
.LBB158_622:
	s_mov_b32 s0, -1
                                        ; implicit-def: $vgpr2
	s_branch .LBB158_627
.LBB158_623:
	s_mov_b32 s0, -1
                                        ; implicit-def: $vgpr2
.LBB158_624:
	s_delay_alu instid0(SALU_CYCLE_1)
	s_and_not1_b32 vcc_lo, exec_lo, s0
	s_cbranch_vccnz .LBB158_626
; %bb.625:
	global_load_b32 v2, v[0:1], off
.LBB158_626:
	s_mov_b32 s0, 0
.LBB158_627:
	s_delay_alu instid0(SALU_CYCLE_1)
	s_and_not1_b32 vcc_lo, exec_lo, s0
	s_cbranch_vccnz .LBB158_629
; %bb.628:
	global_load_u16 v2, v[0:1], off
.LBB158_629:
	s_mov_b32 s0, 0
.LBB158_630:
	s_delay_alu instid0(SALU_CYCLE_1)
	s_and_not1_b32 vcc_lo, exec_lo, s0
	s_cbranch_vccnz .LBB158_636
; %bb.631:
	v_cmp_lt_i16_e32 vcc_lo, 0, v5
	s_mov_b32 s0, 0
	s_cbranch_vccz .LBB158_633
; %bb.632:
	global_load_u8 v2, v[0:1], off
	s_branch .LBB158_634
.LBB158_633:
	s_mov_b32 s0, -1
                                        ; implicit-def: $vgpr2
.LBB158_634:
	s_delay_alu instid0(SALU_CYCLE_1)
	s_and_not1_b32 vcc_lo, exec_lo, s0
	s_cbranch_vccnz .LBB158_636
; %bb.635:
	global_load_u8 v2, v[0:1], off
.LBB158_636:
	s_mov_b32 s0, -1
.LBB158_637:
	s_delay_alu instid0(SALU_CYCLE_1)
	s_and_not1_b32 vcc_lo, exec_lo, s0
	s_cbranch_vccnz .LBB158_645
; %bb.638:
	v_mul_lo_u32 v1, v7, s8
	s_waitcnt vmcnt(0)
	s_delay_alu instid0(VALU_DEP_2) | instskip(SKIP_1) | instid1(VALU_DEP_2)
	v_cvt_f32_ubyte0_e32 v0, v2
	v_and_b32_e64 v5, 0xff, s12
	v_mul_f32_e32 v0, v4, v0
	s_delay_alu instid0(VALU_DEP_2) | instskip(SKIP_1) | instid1(VALU_DEP_3)
	v_cmp_gt_i16_e32 vcc_lo, 11, v5
	v_ashrrev_i32_e32 v3, 31, v1
	v_mul_f32_e32 v2, s11, v0
	v_add_co_u32 v0, s0, s4, v1
	s_delay_alu instid0(VALU_DEP_1)
	v_add_co_ci_u32_e64 v1, s0, s5, v3, s0
	s_cbranch_vccnz .LBB158_646
; %bb.639:
	v_cmp_lt_i16_e32 vcc_lo, 25, v5
	s_cbranch_vccz .LBB158_647
; %bb.640:
	v_cmp_lt_i16_e32 vcc_lo, 28, v5
	s_cbranch_vccz .LBB158_648
	;; [unrolled: 3-line block ×4, first 2 shown]
; %bb.643:
	v_cmp_eq_u16_e32 vcc_lo, 46, v5
	s_mov_b32 s25, 0
	s_mov_b32 s0, -1
	s_mov_b32 s22, 0
	s_cbranch_vccz .LBB158_651
; %bb.644:
	v_bfe_u32 v3, v2, 16, 1
	v_cmp_o_f32_e32 vcc_lo, v2, v2
	s_mov_b32 s22, -1
	s_mov_b32 s0, 0
	s_delay_alu instid0(VALU_DEP_2) | instskip(NEXT) | instid1(VALU_DEP_1)
	v_add3_u32 v3, v2, v3, 0x7fff
	v_lshrrev_b32_e32 v3, 16, v3
	s_delay_alu instid0(VALU_DEP_1)
	v_cndmask_b32_e32 v3, 0x7fc0, v3, vcc_lo
	global_store_b32 v[0:1], v3, off
	s_branch .LBB158_651
.LBB158_645:
	s_mov_b32 s25, 0
	s_mov_b32 s0, s16
	s_branch .LBB158_762
.LBB158_646:
	s_mov_b32 s25, -1
	s_mov_b32 s22, 0
	s_mov_b32 s0, s16
	s_branch .LBB158_720
.LBB158_647:
	s_mov_b32 s25, -1
	s_mov_b32 s22, 0
	s_mov_b32 s0, s16
	s_branch .LBB158_678
.LBB158_648:
	s_mov_b32 s25, -1
	s_mov_b32 s22, 0
	s_mov_b32 s0, s16
	s_branch .LBB158_661
.LBB158_649:
	s_mov_b32 s25, -1
	s_mov_b32 s22, 0
	s_mov_b32 s0, s16
	s_branch .LBB158_657
.LBB158_650:
	s_mov_b32 s25, -1
	s_mov_b32 s22, 0
	s_mov_b32 s0, s16
.LBB158_651:
	s_and_b32 vcc_lo, exec_lo, s25
	s_cbranch_vccz .LBB158_656
; %bb.652:
	v_cmp_eq_u16_e32 vcc_lo, 44, v5
	s_mov_b32 s0, -1
	s_cbranch_vccz .LBB158_656
; %bb.653:
	v_bfe_u32 v4, v2, 23, 8
	v_mov_b32_e32 v3, 0xff
	s_mov_b32 s22, exec_lo
	s_delay_alu instid0(VALU_DEP_2)
	v_cmpx_ne_u32_e32 0xff, v4
; %bb.654:
	v_and_b32_e32 v3, 0x400000, v2
	v_and_or_b32 v4, 0x3fffff, v2, v4
	s_delay_alu instid0(VALU_DEP_2) | instskip(NEXT) | instid1(VALU_DEP_2)
	v_cmp_ne_u32_e32 vcc_lo, 0, v3
	v_cmp_ne_u32_e64 s0, 0, v4
	v_lshrrev_b32_e32 v3, 23, v2
	s_delay_alu instid0(VALU_DEP_2) | instskip(NEXT) | instid1(SALU_CYCLE_1)
	s_and_b32 s0, vcc_lo, s0
	v_cndmask_b32_e64 v4, 0, 1, s0
	s_delay_alu instid0(VALU_DEP_1)
	v_add_nc_u32_e32 v3, v3, v4
; %bb.655:
	s_or_b32 exec_lo, exec_lo, s22
	s_mov_b32 s22, -1
	s_mov_b32 s0, 0
	global_store_b8 v[0:1], v3, off
.LBB158_656:
	s_mov_b32 s25, 0
.LBB158_657:
	s_delay_alu instid0(SALU_CYCLE_1)
	s_and_b32 vcc_lo, exec_lo, s25
	s_cbranch_vccz .LBB158_660
; %bb.658:
	v_cmp_eq_u16_e32 vcc_lo, 29, v5
	s_mov_b32 s0, -1
	s_cbranch_vccz .LBB158_660
; %bb.659:
	v_trunc_f32_e32 v3, v2
	s_mov_b32 s22, -1
	s_mov_b32 s0, 0
	s_mov_b32 s25, 0
	s_delay_alu instid0(VALU_DEP_1) | instskip(NEXT) | instid1(VALU_DEP_1)
	v_mul_f32_e32 v4, 0x2f800000, v3
	v_floor_f32_e32 v4, v4
	s_delay_alu instid0(VALU_DEP_1) | instskip(SKIP_1) | instid1(VALU_DEP_2)
	v_fmamk_f32 v3, v4, 0xcf800000, v3
	v_cvt_u32_f32_e32 v4, v4
	v_cvt_u32_f32_e32 v3, v3
	global_store_b64 v[0:1], v[3:4], off
	s_branch .LBB158_661
.LBB158_660:
	s_mov_b32 s25, 0
.LBB158_661:
	s_delay_alu instid0(SALU_CYCLE_1)
	s_and_b32 vcc_lo, exec_lo, s25
	s_cbranch_vccz .LBB158_677
; %bb.662:
	v_cmp_gt_i16_e32 vcc_lo, 27, v5
	s_mov_b32 s22, -1
	s_cbranch_vccnz .LBB158_668
; %bb.663:
	v_cmp_lt_i16_e32 vcc_lo, 27, v5
	s_cbranch_vccz .LBB158_665
; %bb.664:
	v_cvt_u32_f32_e32 v3, v2
	s_mov_b32 s22, 0
	global_store_b32 v[0:1], v3, off
.LBB158_665:
	s_and_not1_b32 vcc_lo, exec_lo, s22
	s_cbranch_vccnz .LBB158_667
; %bb.666:
	v_cvt_u32_f32_e32 v3, v2
	global_store_b16 v[0:1], v3, off
.LBB158_667:
	s_mov_b32 s22, 0
.LBB158_668:
	s_delay_alu instid0(SALU_CYCLE_1)
	s_and_not1_b32 vcc_lo, exec_lo, s22
	s_cbranch_vccnz .LBB158_676
; %bb.669:
	v_and_b32_e32 v3, 0x7fffffff, v2
	v_mov_b32_e32 v4, 0x80
	s_mov_b32 s22, exec_lo
	s_delay_alu instid0(VALU_DEP_2)
	v_cmpx_gt_u32_e32 0x43800000, v3
	s_cbranch_execz .LBB158_675
; %bb.670:
	v_cmp_lt_u32_e32 vcc_lo, 0x3bffffff, v3
	s_mov_b32 s25, 0
                                        ; implicit-def: $vgpr3
	s_and_saveexec_b32 s26, vcc_lo
	s_delay_alu instid0(SALU_CYCLE_1)
	s_xor_b32 s26, exec_lo, s26
	s_cbranch_execz .LBB158_778
; %bb.671:
	v_bfe_u32 v3, v2, 20, 1
	s_mov_b32 s25, exec_lo
	s_delay_alu instid0(VALU_DEP_1) | instskip(NEXT) | instid1(VALU_DEP_1)
	v_add3_u32 v3, v2, v3, 0x487ffff
	v_lshrrev_b32_e32 v3, 20, v3
	s_or_saveexec_b32 s26, s26
                                        ; implicit-def: $sgpr27
	s_delay_alu instid0(SALU_CYCLE_1)
	s_xor_b32 exec_lo, exec_lo, s26
	s_cbranch_execnz .LBB158_779
.LBB158_672:
	s_or_b32 exec_lo, exec_lo, s26
	v_mov_b32_e32 v4, s27
	s_and_saveexec_b32 s26, s25
.LBB158_673:
	v_lshrrev_b32_e32 v4, 24, v2
	s_delay_alu instid0(VALU_DEP_1)
	v_and_or_b32 v4, 0x80, v4, v3
.LBB158_674:
	s_or_b32 exec_lo, exec_lo, s26
.LBB158_675:
	s_delay_alu instid0(SALU_CYCLE_1)
	s_or_b32 exec_lo, exec_lo, s22
	global_store_b8 v[0:1], v4, off
.LBB158_676:
	s_mov_b32 s22, -1
.LBB158_677:
	s_mov_b32 s25, 0
.LBB158_678:
	s_delay_alu instid0(SALU_CYCLE_1)
	s_and_b32 vcc_lo, exec_lo, s25
	s_cbranch_vccz .LBB158_719
; %bb.679:
	v_cmp_lt_i16_e32 vcc_lo, 22, v5
	s_mov_b32 s25, -1
	s_cbranch_vccz .LBB158_711
; %bb.680:
	v_cmp_gt_i16_e32 vcc_lo, 24, v5
	s_mov_b32 s22, -1
	s_cbranch_vccnz .LBB158_700
; %bb.681:
	v_cmp_lt_i16_e32 vcc_lo, 24, v5
	s_cbranch_vccz .LBB158_689
; %bb.682:
	v_and_b32_e32 v3, 0x7fffffff, v2
	v_mov_b32_e32 v4, 0x80
	s_mov_b32 s22, exec_lo
	s_delay_alu instid0(VALU_DEP_2)
	v_cmpx_gt_u32_e32 0x47800000, v3
	s_cbranch_execz .LBB158_688
; %bb.683:
	v_cmp_lt_u32_e32 vcc_lo, 0x37ffffff, v3
	s_mov_b32 s25, 0
                                        ; implicit-def: $vgpr3
	s_and_saveexec_b32 s26, vcc_lo
	s_delay_alu instid0(SALU_CYCLE_1)
	s_xor_b32 s26, exec_lo, s26
	s_cbranch_execz .LBB158_910
; %bb.684:
	v_bfe_u32 v3, v2, 21, 1
	s_mov_b32 s25, exec_lo
	s_delay_alu instid0(VALU_DEP_1) | instskip(NEXT) | instid1(VALU_DEP_1)
	v_add3_u32 v3, v2, v3, 0x88fffff
	v_lshrrev_b32_e32 v3, 21, v3
	s_or_saveexec_b32 s26, s26
                                        ; implicit-def: $sgpr27
	s_delay_alu instid0(SALU_CYCLE_1)
	s_xor_b32 exec_lo, exec_lo, s26
	s_cbranch_execnz .LBB158_911
.LBB158_685:
	s_or_b32 exec_lo, exec_lo, s26
	v_mov_b32_e32 v4, s27
	s_and_saveexec_b32 s26, s25
.LBB158_686:
	v_lshrrev_b32_e32 v4, 24, v2
	s_delay_alu instid0(VALU_DEP_1)
	v_and_or_b32 v4, 0x80, v4, v3
.LBB158_687:
	s_or_b32 exec_lo, exec_lo, s26
.LBB158_688:
	s_delay_alu instid0(SALU_CYCLE_1)
	s_or_b32 exec_lo, exec_lo, s22
	s_mov_b32 s22, 0
	global_store_b8 v[0:1], v4, off
.LBB158_689:
	s_and_b32 vcc_lo, exec_lo, s22
	s_cbranch_vccz .LBB158_699
; %bb.690:
	v_and_b32_e32 v4, 0x7fffffff, v2
	s_mov_b32 s22, exec_lo
                                        ; implicit-def: $vgpr3
	s_delay_alu instid0(VALU_DEP_1)
	v_cmpx_gt_u32_e32 0x43f00000, v4
	s_xor_b32 s22, exec_lo, s22
	s_cbranch_execz .LBB158_696
; %bb.691:
	s_mov_b32 s25, exec_lo
                                        ; implicit-def: $vgpr3
	v_cmpx_lt_u32_e32 0x3c7fffff, v4
	s_xor_b32 s25, exec_lo, s25
; %bb.692:
	v_bfe_u32 v3, v2, 20, 1
	s_delay_alu instid0(VALU_DEP_1) | instskip(NEXT) | instid1(VALU_DEP_1)
	v_add3_u32 v3, v2, v3, 0x407ffff
	v_and_b32_e32 v4, 0xff00000, v3
	v_lshrrev_b32_e32 v3, 20, v3
	s_delay_alu instid0(VALU_DEP_2) | instskip(NEXT) | instid1(VALU_DEP_2)
	v_cmp_ne_u32_e32 vcc_lo, 0x7f00000, v4
	v_cndmask_b32_e32 v3, 0x7e, v3, vcc_lo
; %bb.693:
	s_and_not1_saveexec_b32 s25, s25
; %bb.694:
	v_add_f32_e64 v3, 0x46800000, |v2|
; %bb.695:
	s_or_b32 exec_lo, exec_lo, s25
                                        ; implicit-def: $vgpr4
.LBB158_696:
	s_and_not1_saveexec_b32 s22, s22
; %bb.697:
	v_mov_b32_e32 v3, 0x7f
	v_cmp_lt_u32_e32 vcc_lo, 0x7f800000, v4
	s_delay_alu instid0(VALU_DEP_2)
	v_cndmask_b32_e32 v3, 0x7e, v3, vcc_lo
; %bb.698:
	s_or_b32 exec_lo, exec_lo, s22
	v_lshrrev_b32_e32 v4, 24, v2
	s_delay_alu instid0(VALU_DEP_1)
	v_and_or_b32 v3, 0x80, v4, v3
	global_store_b8 v[0:1], v3, off
.LBB158_699:
	s_mov_b32 s22, 0
.LBB158_700:
	s_delay_alu instid0(SALU_CYCLE_1)
	s_and_not1_b32 vcc_lo, exec_lo, s22
	s_cbranch_vccnz .LBB158_710
; %bb.701:
	v_and_b32_e32 v4, 0x7fffffff, v2
	s_mov_b32 s22, exec_lo
                                        ; implicit-def: $vgpr3
	s_delay_alu instid0(VALU_DEP_1)
	v_cmpx_gt_u32_e32 0x47800000, v4
	s_xor_b32 s22, exec_lo, s22
	s_cbranch_execz .LBB158_707
; %bb.702:
	s_mov_b32 s25, exec_lo
                                        ; implicit-def: $vgpr3
	v_cmpx_lt_u32_e32 0x387fffff, v4
	s_xor_b32 s25, exec_lo, s25
; %bb.703:
	v_bfe_u32 v3, v2, 21, 1
	s_delay_alu instid0(VALU_DEP_1) | instskip(NEXT) | instid1(VALU_DEP_1)
	v_add3_u32 v3, v2, v3, 0x80fffff
	v_lshrrev_b32_e32 v3, 21, v3
; %bb.704:
	s_and_not1_saveexec_b32 s25, s25
; %bb.705:
	v_add_f32_e64 v3, 0x43000000, |v2|
; %bb.706:
	s_or_b32 exec_lo, exec_lo, s25
                                        ; implicit-def: $vgpr4
.LBB158_707:
	s_and_not1_saveexec_b32 s22, s22
; %bb.708:
	v_mov_b32_e32 v3, 0x7f
	v_cmp_lt_u32_e32 vcc_lo, 0x7f800000, v4
	s_delay_alu instid0(VALU_DEP_2)
	v_cndmask_b32_e32 v3, 0x7c, v3, vcc_lo
; %bb.709:
	s_or_b32 exec_lo, exec_lo, s22
	v_lshrrev_b32_e32 v4, 24, v2
	s_delay_alu instid0(VALU_DEP_1)
	v_and_or_b32 v3, 0x80, v4, v3
	global_store_b8 v[0:1], v3, off
.LBB158_710:
	s_mov_b32 s25, 0
	s_mov_b32 s22, -1
.LBB158_711:
	s_and_not1_b32 vcc_lo, exec_lo, s25
	s_cbranch_vccnz .LBB158_719
; %bb.712:
	v_cmp_lt_i16_e32 vcc_lo, 14, v5
	s_mov_b32 s25, -1
	s_cbranch_vccz .LBB158_716
; %bb.713:
	v_cmp_eq_u16_e32 vcc_lo, 15, v5
	s_mov_b32 s0, -1
	s_cbranch_vccz .LBB158_715
; %bb.714:
	v_bfe_u32 v3, v2, 16, 1
	v_cmp_o_f32_e32 vcc_lo, v2, v2
	s_mov_b32 s22, -1
	s_mov_b32 s0, 0
	s_delay_alu instid0(VALU_DEP_2) | instskip(NEXT) | instid1(VALU_DEP_1)
	v_add3_u32 v3, v2, v3, 0x7fff
	v_lshrrev_b32_e32 v3, 16, v3
	s_delay_alu instid0(VALU_DEP_1)
	v_cndmask_b32_e32 v3, 0x7fc0, v3, vcc_lo
	global_store_b16 v[0:1], v3, off
.LBB158_715:
	s_mov_b32 s25, 0
.LBB158_716:
	s_delay_alu instid0(SALU_CYCLE_1)
	s_and_b32 vcc_lo, exec_lo, s25
	s_cbranch_vccz .LBB158_719
; %bb.717:
	v_cmp_eq_u16_e32 vcc_lo, 11, v5
	s_mov_b32 s0, -1
	s_cbranch_vccz .LBB158_719
; %bb.718:
	v_cmp_neq_f32_e32 vcc_lo, 0, v2
	s_mov_b32 s0, 0
	s_mov_b32 s22, -1
	v_cndmask_b32_e64 v3, 0, 1, vcc_lo
	global_store_b8 v[0:1], v3, off
.LBB158_719:
	s_mov_b32 s25, 0
.LBB158_720:
	s_delay_alu instid0(SALU_CYCLE_1)
	s_and_b32 vcc_lo, exec_lo, s25
	s_cbranch_vccz .LBB158_759
; %bb.721:
	v_cmp_gt_i16_e32 vcc_lo, 5, v5
	s_mov_b32 s22, -1
	s_cbranch_vccnz .LBB158_742
; %bb.722:
	v_cmp_gt_i16_e32 vcc_lo, 8, v5
	s_cbranch_vccnz .LBB158_732
; %bb.723:
	v_cmp_gt_i16_e32 vcc_lo, 9, v5
	s_cbranch_vccnz .LBB158_729
; %bb.724:
	v_cmp_lt_i16_e32 vcc_lo, 9, v5
	s_cbranch_vccz .LBB158_726
; %bb.725:
	v_cvt_f64_f32_e32 v[8:9], v2
	v_mov_b32_e32 v10, 0
	s_mov_b32 s22, 0
	s_delay_alu instid0(VALU_DEP_1)
	v_mov_b32_e32 v11, v10
	global_store_b128 v[0:1], v[8:11], off
.LBB158_726:
	s_and_not1_b32 vcc_lo, exec_lo, s22
	s_cbranch_vccnz .LBB158_728
; %bb.727:
	v_mov_b32_e32 v3, 0
	global_store_b64 v[0:1], v[2:3], off
.LBB158_728:
	s_mov_b32 s22, 0
.LBB158_729:
	s_delay_alu instid0(SALU_CYCLE_1)
	s_and_not1_b32 vcc_lo, exec_lo, s22
	s_cbranch_vccnz .LBB158_731
; %bb.730:
	v_cvt_f16_f32_e32 v3, v2
	s_delay_alu instid0(VALU_DEP_1)
	v_and_b32_e32 v3, 0xffff, v3
	global_store_b32 v[0:1], v3, off
.LBB158_731:
	s_mov_b32 s22, 0
.LBB158_732:
	s_delay_alu instid0(SALU_CYCLE_1)
	s_and_not1_b32 vcc_lo, exec_lo, s22
	s_cbranch_vccnz .LBB158_741
; %bb.733:
	v_cmp_gt_i16_e32 vcc_lo, 6, v5
	s_mov_b32 s22, -1
	s_cbranch_vccnz .LBB158_739
; %bb.734:
	v_cmp_lt_i16_e32 vcc_lo, 6, v5
	s_cbranch_vccz .LBB158_736
; %bb.735:
	v_cvt_f64_f32_e32 v[3:4], v2
	s_mov_b32 s22, 0
	global_store_b64 v[0:1], v[3:4], off
.LBB158_736:
	s_and_not1_b32 vcc_lo, exec_lo, s22
	s_cbranch_vccnz .LBB158_738
; %bb.737:
	global_store_b32 v[0:1], v2, off
.LBB158_738:
	s_mov_b32 s22, 0
.LBB158_739:
	s_delay_alu instid0(SALU_CYCLE_1)
	s_and_not1_b32 vcc_lo, exec_lo, s22
	s_cbranch_vccnz .LBB158_741
; %bb.740:
	v_cvt_f16_f32_e32 v3, v2
	global_store_b16 v[0:1], v3, off
.LBB158_741:
	s_mov_b32 s22, 0
.LBB158_742:
	s_delay_alu instid0(SALU_CYCLE_1)
	s_and_not1_b32 vcc_lo, exec_lo, s22
	s_cbranch_vccnz .LBB158_758
; %bb.743:
	v_cmp_gt_i16_e32 vcc_lo, 2, v5
	s_mov_b32 s22, -1
	s_cbranch_vccnz .LBB158_753
; %bb.744:
	v_cmp_gt_i16_e32 vcc_lo, 3, v5
	s_cbranch_vccnz .LBB158_750
; %bb.745:
	v_cmp_lt_i16_e32 vcc_lo, 3, v5
	s_cbranch_vccz .LBB158_747
; %bb.746:
	v_trunc_f32_e32 v3, v2
	s_mov_b32 s22, 0
	s_delay_alu instid0(VALU_DEP_1) | instskip(SKIP_1) | instid1(VALU_DEP_2)
	v_mul_f32_e64 v4, 0x2f800000, |v3|
	v_ashrrev_i32_e32 v8, 31, v3
	v_floor_f32_e32 v4, v4
	s_delay_alu instid0(VALU_DEP_1) | instskip(SKIP_1) | instid1(VALU_DEP_2)
	v_fma_f32 v6, 0xcf800000, v4, |v3|
	v_cvt_u32_f32_e32 v4, v4
	v_cvt_u32_f32_e32 v3, v6
	s_delay_alu instid0(VALU_DEP_2) | instskip(NEXT) | instid1(VALU_DEP_2)
	v_xor_b32_e32 v4, v4, v8
	v_xor_b32_e32 v3, v3, v8
	s_delay_alu instid0(VALU_DEP_1) | instskip(NEXT) | instid1(VALU_DEP_3)
	v_sub_co_u32 v3, vcc_lo, v3, v8
	v_sub_co_ci_u32_e32 v4, vcc_lo, v4, v8, vcc_lo
	global_store_b64 v[0:1], v[3:4], off
.LBB158_747:
	s_and_not1_b32 vcc_lo, exec_lo, s22
	s_cbranch_vccnz .LBB158_749
; %bb.748:
	v_cvt_i32_f32_e32 v3, v2
	global_store_b32 v[0:1], v3, off
.LBB158_749:
	s_mov_b32 s22, 0
.LBB158_750:
	s_delay_alu instid0(SALU_CYCLE_1)
	s_and_not1_b32 vcc_lo, exec_lo, s22
	s_cbranch_vccnz .LBB158_752
; %bb.751:
	v_cvt_i32_f32_e32 v3, v2
	global_store_b16 v[0:1], v3, off
.LBB158_752:
	s_mov_b32 s22, 0
.LBB158_753:
	s_delay_alu instid0(SALU_CYCLE_1)
	s_and_not1_b32 vcc_lo, exec_lo, s22
	s_cbranch_vccnz .LBB158_758
; %bb.754:
	v_cmp_lt_i16_e32 vcc_lo, 0, v5
	s_mov_b32 s22, -1
	s_cbranch_vccz .LBB158_756
; %bb.755:
	v_cvt_i32_f32_e32 v3, v2
	s_mov_b32 s22, 0
	global_store_b8 v[0:1], v3, off
.LBB158_756:
	s_and_not1_b32 vcc_lo, exec_lo, s22
	s_cbranch_vccnz .LBB158_758
; %bb.757:
	v_trunc_f32_e32 v2, v2
	s_delay_alu instid0(VALU_DEP_1) | instskip(NEXT) | instid1(VALU_DEP_1)
	v_mul_f32_e64 v3, 0x2f800000, |v2|
	v_floor_f32_e32 v3, v3
	s_delay_alu instid0(VALU_DEP_1) | instskip(SKIP_1) | instid1(VALU_DEP_2)
	v_fma_f32 v3, 0xcf800000, v3, |v2|
	v_ashrrev_i32_e32 v2, 31, v2
	v_cvt_u32_f32_e32 v3, v3
	s_delay_alu instid0(VALU_DEP_1) | instskip(NEXT) | instid1(VALU_DEP_1)
	v_xor_b32_e32 v3, v3, v2
	v_sub_nc_u32_e32 v2, v3, v2
	global_store_b8 v[0:1], v2, off
.LBB158_758:
	s_mov_b32 s22, -1
.LBB158_759:
	s_delay_alu instid0(SALU_CYCLE_1)
	s_and_not1_b32 vcc_lo, exec_lo, s22
	s_cbranch_vccnz .LBB158_761
; %bb.760:
	v_add_nc_u32_e32 v7, 0x80, v7
	s_mov_b32 s25, -1
	s_branch .LBB158_763
.LBB158_761:
	s_mov_b32 s25, 0
.LBB158_762:
                                        ; implicit-def: $vgpr7
.LBB158_763:
	s_and_not1_b32 s22, s16, exec_lo
	s_and_b32 s0, s0, exec_lo
	s_and_b32 s23, s23, exec_lo
	s_or_b32 s22, s22, s0
	s_and_not1_b32 s0, s18, exec_lo
	s_and_not1_b32 s26, s19, exec_lo
	s_and_b32 s21, s21, exec_lo
	s_or_b32 s23, s0, s23
	s_or_b32 s21, s26, s21
	s_or_not1_b32 s26, s25, exec_lo
.LBB158_764:
	s_or_b32 exec_lo, exec_lo, s24
	s_mov_b32 s25, 0
	s_mov_b32 s27, 0
	;; [unrolled: 1-line block ×3, first 2 shown]
                                        ; implicit-def: $vgpr2
                                        ; implicit-def: $vgpr0_vgpr1
                                        ; implicit-def: $vgpr5
	s_and_saveexec_b32 s24, s26
	s_cbranch_execz .LBB158_1235
; %bb.765:
	s_mov_b32 s31, -1
	s_mov_b32 s26, s21
	s_mov_b32 s27, s23
	;; [unrolled: 1-line block ×3, first 2 shown]
	s_mov_b32 s25, exec_lo
	v_cmpx_gt_i32_e64 s17, v7
	s_cbranch_execz .LBB158_1151
; %bb.766:
	v_mul_lo_u32 v0, v7, s9
	s_waitcnt vmcnt(0)
	v_and_b32_e64 v2, 0xff, s14
	s_delay_alu instid0(VALU_DEP_1) | instskip(NEXT) | instid1(VALU_DEP_3)
	v_cmp_gt_i16_e32 vcc_lo, 11, v2
	v_ashrrev_i32_e32 v1, 31, v0
	v_add_co_u32 v0, s0, s6, v0
	s_delay_alu instid0(VALU_DEP_1)
	v_add_co_ci_u32_e64 v1, s0, s7, v1, s0
	s_cbranch_vccnz .LBB158_773
; %bb.767:
	v_cmp_lt_i16_e32 vcc_lo, 25, v2
	s_cbranch_vccz .LBB158_774
; %bb.768:
	v_cmp_lt_i16_e32 vcc_lo, 28, v2
	s_cbranch_vccz .LBB158_775
	;; [unrolled: 3-line block ×4, first 2 shown]
; %bb.771:
	v_cmp_eq_u16_e32 vcc_lo, 46, v2
	s_mov_b32 s27, 0
	s_cbranch_vccz .LBB158_780
; %bb.772:
	global_load_b32 v3, v[0:1], off
	s_mov_b32 s0, -1
	s_mov_b32 s26, 0
	s_waitcnt vmcnt(0)
	v_lshlrev_b32_e32 v4, 16, v3
	s_branch .LBB158_782
.LBB158_773:
	s_mov_b32 s27, -1
	s_mov_b32 s0, 0
	s_mov_b32 s26, s21
                                        ; implicit-def: $vgpr4
	s_branch .LBB158_847
.LBB158_774:
	s_mov_b32 s27, -1
	s_mov_b32 s0, 0
	s_mov_b32 s26, s21
                                        ; implicit-def: $vgpr4
	s_branch .LBB158_811
.LBB158_775:
	s_mov_b32 s27, -1
	s_mov_b32 s0, 0
	s_mov_b32 s26, s21
                                        ; implicit-def: $vgpr4
	s_branch .LBB158_792
.LBB158_776:
	s_mov_b32 s27, -1
	s_mov_b32 s0, 0
	s_mov_b32 s26, s21
                                        ; implicit-def: $vgpr4
	s_branch .LBB158_787
.LBB158_777:
	s_mov_b32 s27, -1
	s_mov_b32 s0, 0
	s_mov_b32 s26, s21
	s_branch .LBB158_781
.LBB158_778:
	s_or_saveexec_b32 s26, s26
                                        ; implicit-def: $sgpr27
	s_delay_alu instid0(SALU_CYCLE_1)
	s_xor_b32 exec_lo, exec_lo, s26
	s_cbranch_execz .LBB158_672
.LBB158_779:
	v_add_f32_e64 v3, 0x46000000, |v2|
	s_and_not1_b32 s25, s25, exec_lo
	s_mov_b32 s27, 0
	s_delay_alu instid0(VALU_DEP_1) | instskip(NEXT) | instid1(VALU_DEP_1)
	v_and_b32_e32 v3, 0xff, v3
	v_cmp_ne_u32_e32 vcc_lo, 0, v3
	s_and_b32 s28, vcc_lo, exec_lo
	s_delay_alu instid0(SALU_CYCLE_1)
	s_or_b32 s25, s25, s28
	s_or_b32 exec_lo, exec_lo, s26
	v_mov_b32_e32 v4, s27
	s_and_saveexec_b32 s26, s25
	s_cbranch_execnz .LBB158_673
	s_branch .LBB158_674
.LBB158_780:
	s_mov_b32 s26, -1
	s_mov_b32 s0, 0
.LBB158_781:
                                        ; implicit-def: $vgpr4
.LBB158_782:
	s_and_b32 vcc_lo, exec_lo, s27
	s_cbranch_vccz .LBB158_786
; %bb.783:
	v_cmp_eq_u16_e32 vcc_lo, 44, v2
	s_cbranch_vccz .LBB158_785
; %bb.784:
	global_load_u8 v3, v[0:1], off
	s_mov_b32 s26, 0
	s_mov_b32 s0, -1
	s_waitcnt vmcnt(0)
	v_lshlrev_b32_e32 v4, 23, v3
	v_cmp_ne_u32_e32 vcc_lo, 0xff, v3
	s_delay_alu instid0(VALU_DEP_2) | instskip(SKIP_1) | instid1(VALU_DEP_2)
	v_cndmask_b32_e32 v4, 0x7f800001, v4, vcc_lo
	v_cmp_ne_u32_e32 vcc_lo, 0, v3
	v_cndmask_b32_e32 v4, 0x400000, v4, vcc_lo
	s_branch .LBB158_786
.LBB158_785:
	s_mov_b32 s26, -1
                                        ; implicit-def: $vgpr4
.LBB158_786:
	s_mov_b32 s27, 0
.LBB158_787:
	s_delay_alu instid0(SALU_CYCLE_1)
	s_and_b32 vcc_lo, exec_lo, s27
	s_cbranch_vccz .LBB158_791
; %bb.788:
	v_cmp_eq_u16_e32 vcc_lo, 29, v2
	s_cbranch_vccz .LBB158_790
; %bb.789:
	global_load_b64 v[3:4], v[0:1], off
	s_mov_b32 s0, -1
	s_mov_b32 s26, 0
	s_mov_b32 s27, 0
	s_waitcnt vmcnt(0)
	v_clz_i32_u32_e32 v5, v4
	s_delay_alu instid0(VALU_DEP_1) | instskip(NEXT) | instid1(VALU_DEP_1)
	v_min_u32_e32 v5, 32, v5
	v_lshlrev_b64 v[3:4], v5, v[3:4]
	s_delay_alu instid0(VALU_DEP_1) | instskip(NEXT) | instid1(VALU_DEP_1)
	v_min_u32_e32 v3, 1, v3
	v_or_b32_e32 v3, v4, v3
	v_sub_nc_u32_e32 v4, 32, v5
	s_delay_alu instid0(VALU_DEP_2) | instskip(NEXT) | instid1(VALU_DEP_1)
	v_cvt_f32_u32_e32 v3, v3
	v_ldexp_f32 v4, v3, v4
	s_branch .LBB158_792
.LBB158_790:
	s_mov_b32 s26, -1
                                        ; implicit-def: $vgpr4
.LBB158_791:
	s_mov_b32 s27, 0
.LBB158_792:
	s_delay_alu instid0(SALU_CYCLE_1)
	s_and_b32 vcc_lo, exec_lo, s27
	s_cbranch_vccz .LBB158_810
; %bb.793:
	v_cmp_gt_i16_e32 vcc_lo, 27, v2
	s_cbranch_vccnz .LBB158_796
; %bb.794:
	v_cmp_lt_i16_e32 vcc_lo, 27, v2
	s_cbranch_vccz .LBB158_797
; %bb.795:
	global_load_b32 v3, v[0:1], off
	s_mov_b32 s0, 0
	s_waitcnt vmcnt(0)
	v_cvt_f32_u32_e32 v4, v3
	s_branch .LBB158_798
.LBB158_796:
	s_mov_b32 s0, -1
                                        ; implicit-def: $vgpr4
	s_branch .LBB158_801
.LBB158_797:
	s_mov_b32 s0, -1
                                        ; implicit-def: $vgpr4
.LBB158_798:
	s_delay_alu instid0(SALU_CYCLE_1)
	s_and_not1_b32 vcc_lo, exec_lo, s0
	s_cbranch_vccnz .LBB158_800
; %bb.799:
	global_load_u16 v3, v[0:1], off
	s_waitcnt vmcnt(0)
	v_cvt_f32_u32_e32 v4, v3
.LBB158_800:
	s_mov_b32 s0, 0
.LBB158_801:
	s_delay_alu instid0(SALU_CYCLE_1)
	s_and_not1_b32 vcc_lo, exec_lo, s0
	s_cbranch_vccnz .LBB158_809
; %bb.802:
	global_load_u8 v3, v[0:1], off
	s_mov_b32 s0, 0
	s_mov_b32 s28, exec_lo
                                        ; implicit-def: $sgpr27
	s_waitcnt vmcnt(0)
	v_cmpx_lt_i16_e32 0x7f, v3
	s_xor_b32 s28, exec_lo, s28
	s_cbranch_execz .LBB158_823
; %bb.803:
	s_mov_b32 s0, -1
	s_mov_b32 s29, exec_lo
                                        ; implicit-def: $sgpr27
	v_cmpx_eq_u16_e32 0x80, v3
; %bb.804:
	s_mov_b32 s27, 0x7f800001
	s_xor_b32 s0, exec_lo, -1
; %bb.805:
	s_or_b32 exec_lo, exec_lo, s29
	s_delay_alu instid0(SALU_CYCLE_1)
	s_and_b32 s0, s0, exec_lo
	s_or_saveexec_b32 s28, s28
	v_mov_b32_e32 v4, s27
	s_xor_b32 exec_lo, exec_lo, s28
	s_cbranch_execnz .LBB158_824
.LBB158_806:
	s_or_b32 exec_lo, exec_lo, s28
	s_and_saveexec_b32 s27, s0
	s_cbranch_execz .LBB158_808
.LBB158_807:
	v_and_b32_e32 v4, 0xffff, v3
	v_lshlrev_b32_e32 v3, 24, v3
	s_delay_alu instid0(VALU_DEP_2) | instskip(NEXT) | instid1(VALU_DEP_2)
	v_and_b32_e32 v5, 7, v4
	v_and_b32_e32 v3, 0x80000000, v3
	s_delay_alu instid0(VALU_DEP_2) | instskip(NEXT) | instid1(VALU_DEP_1)
	v_clz_i32_u32_e32 v6, v5
	v_min_u32_e32 v6, 32, v6
	s_delay_alu instid0(VALU_DEP_1) | instskip(SKIP_1) | instid1(VALU_DEP_2)
	v_subrev_nc_u32_e32 v8, 28, v6
	v_sub_nc_u32_e32 v6, 29, v6
	v_lshlrev_b32_e32 v8, v8, v4
	v_bfe_u32 v4, v4, 3, 4
	s_delay_alu instid0(VALU_DEP_2) | instskip(NEXT) | instid1(VALU_DEP_2)
	v_and_b32_e32 v8, 7, v8
	v_cmp_eq_u32_e32 vcc_lo, 0, v4
	s_delay_alu instid0(VALU_DEP_2) | instskip(NEXT) | instid1(VALU_DEP_1)
	v_dual_cndmask_b32 v4, v4, v6 :: v_dual_cndmask_b32 v5, v5, v8
	v_lshl_add_u32 v4, v4, 23, 0x3b800000
	s_delay_alu instid0(VALU_DEP_2) | instskip(NEXT) | instid1(VALU_DEP_1)
	v_lshlrev_b32_e32 v5, 20, v5
	v_or3_b32 v4, v3, v4, v5
.LBB158_808:
	s_or_b32 exec_lo, exec_lo, s27
.LBB158_809:
	s_mov_b32 s0, -1
.LBB158_810:
	s_mov_b32 s27, 0
.LBB158_811:
	s_delay_alu instid0(SALU_CYCLE_1)
	s_and_b32 vcc_lo, exec_lo, s27
	s_cbranch_vccz .LBB158_846
; %bb.812:
	v_cmp_lt_i16_e32 vcc_lo, 22, v2
	s_cbranch_vccz .LBB158_822
; %bb.813:
	v_cmp_gt_i16_e32 vcc_lo, 24, v2
	s_cbranch_vccnz .LBB158_825
; %bb.814:
	v_cmp_lt_i16_e32 vcc_lo, 24, v2
	s_cbranch_vccz .LBB158_826
; %bb.815:
	global_load_u8 v3, v[0:1], off
	s_mov_b32 s0, 0
	s_mov_b32 s28, exec_lo
                                        ; implicit-def: $sgpr27
	s_waitcnt vmcnt(0)
	v_cmpx_lt_i16_e32 0x7f, v3
	s_xor_b32 s28, exec_lo, s28
	s_cbranch_execz .LBB158_838
; %bb.816:
	s_mov_b32 s0, -1
	s_mov_b32 s29, exec_lo
                                        ; implicit-def: $sgpr27
	v_cmpx_eq_u16_e32 0x80, v3
; %bb.817:
	s_mov_b32 s27, 0x7f800001
	s_xor_b32 s0, exec_lo, -1
; %bb.818:
	s_or_b32 exec_lo, exec_lo, s29
	s_delay_alu instid0(SALU_CYCLE_1)
	s_and_b32 s0, s0, exec_lo
	s_or_saveexec_b32 s28, s28
	v_mov_b32_e32 v4, s27
	s_xor_b32 exec_lo, exec_lo, s28
	s_cbranch_execnz .LBB158_839
.LBB158_819:
	s_or_b32 exec_lo, exec_lo, s28
	s_and_saveexec_b32 s27, s0
	s_cbranch_execz .LBB158_821
.LBB158_820:
	v_and_b32_e32 v4, 0xffff, v3
	v_lshlrev_b32_e32 v3, 24, v3
	s_delay_alu instid0(VALU_DEP_2) | instskip(NEXT) | instid1(VALU_DEP_2)
	v_and_b32_e32 v5, 3, v4
	v_and_b32_e32 v3, 0x80000000, v3
	s_delay_alu instid0(VALU_DEP_2) | instskip(NEXT) | instid1(VALU_DEP_1)
	v_clz_i32_u32_e32 v6, v5
	v_min_u32_e32 v6, 32, v6
	s_delay_alu instid0(VALU_DEP_1) | instskip(SKIP_1) | instid1(VALU_DEP_2)
	v_subrev_nc_u32_e32 v8, 29, v6
	v_sub_nc_u32_e32 v6, 30, v6
	v_lshlrev_b32_e32 v8, v8, v4
	v_bfe_u32 v4, v4, 2, 5
	s_delay_alu instid0(VALU_DEP_2) | instskip(NEXT) | instid1(VALU_DEP_2)
	v_and_b32_e32 v8, 3, v8
	v_cmp_eq_u32_e32 vcc_lo, 0, v4
	s_delay_alu instid0(VALU_DEP_2) | instskip(NEXT) | instid1(VALU_DEP_1)
	v_dual_cndmask_b32 v4, v4, v6 :: v_dual_cndmask_b32 v5, v5, v8
	v_lshl_add_u32 v4, v4, 23, 0x37800000
	s_delay_alu instid0(VALU_DEP_2) | instskip(NEXT) | instid1(VALU_DEP_1)
	v_lshlrev_b32_e32 v5, 21, v5
	v_or3_b32 v4, v3, v4, v5
.LBB158_821:
	s_or_b32 exec_lo, exec_lo, s27
	s_mov_b32 s0, 0
	s_branch .LBB158_827
.LBB158_822:
	s_mov_b32 s27, -1
                                        ; implicit-def: $vgpr4
	s_branch .LBB158_833
.LBB158_823:
	s_or_saveexec_b32 s28, s28
	v_mov_b32_e32 v4, s27
	s_xor_b32 exec_lo, exec_lo, s28
	s_cbranch_execz .LBB158_806
.LBB158_824:
	v_cmp_ne_u16_e32 vcc_lo, 0, v3
	v_mov_b32_e32 v4, 0
	s_and_not1_b32 s0, s0, exec_lo
	s_and_b32 s27, vcc_lo, exec_lo
	s_delay_alu instid0(SALU_CYCLE_1)
	s_or_b32 s0, s0, s27
	s_or_b32 exec_lo, exec_lo, s28
	s_and_saveexec_b32 s27, s0
	s_cbranch_execnz .LBB158_807
	s_branch .LBB158_808
.LBB158_825:
	s_mov_b32 s0, -1
                                        ; implicit-def: $vgpr4
	s_branch .LBB158_830
.LBB158_826:
	s_mov_b32 s0, -1
                                        ; implicit-def: $vgpr4
.LBB158_827:
	s_delay_alu instid0(SALU_CYCLE_1)
	s_and_b32 vcc_lo, exec_lo, s0
	s_cbranch_vccz .LBB158_829
; %bb.828:
	global_load_u8 v3, v[0:1], off
	s_waitcnt vmcnt(0)
	v_lshlrev_b32_e32 v3, 24, v3
	s_delay_alu instid0(VALU_DEP_1) | instskip(NEXT) | instid1(VALU_DEP_1)
	v_and_b32_e32 v4, 0x7f000000, v3
	v_clz_i32_u32_e32 v5, v4
	v_add_nc_u32_e32 v8, 0x1000000, v4
	v_cmp_ne_u32_e32 vcc_lo, 0, v4
	s_delay_alu instid0(VALU_DEP_3) | instskip(NEXT) | instid1(VALU_DEP_1)
	v_min_u32_e32 v5, 32, v5
	v_sub_nc_u32_e64 v5, v5, 4 clamp
	s_delay_alu instid0(VALU_DEP_1) | instskip(SKIP_1) | instid1(VALU_DEP_2)
	v_lshlrev_b32_e32 v6, v5, v4
	v_lshlrev_b32_e32 v5, 23, v5
	v_lshrrev_b32_e32 v6, 4, v6
	s_delay_alu instid0(VALU_DEP_1) | instskip(SKIP_1) | instid1(VALU_DEP_2)
	v_sub_nc_u32_e32 v5, v6, v5
	v_ashrrev_i32_e32 v6, 8, v8
	v_add_nc_u32_e32 v5, 0x3c000000, v5
	s_delay_alu instid0(VALU_DEP_1) | instskip(NEXT) | instid1(VALU_DEP_1)
	v_and_or_b32 v5, 0x7f800000, v6, v5
	v_cndmask_b32_e32 v4, 0, v5, vcc_lo
	s_delay_alu instid0(VALU_DEP_1)
	v_and_or_b32 v4, 0x80000000, v3, v4
.LBB158_829:
	s_mov_b32 s0, 0
.LBB158_830:
	s_delay_alu instid0(SALU_CYCLE_1)
	s_and_not1_b32 vcc_lo, exec_lo, s0
	s_cbranch_vccnz .LBB158_832
; %bb.831:
	global_load_u8 v3, v[0:1], off
	s_waitcnt vmcnt(0)
	v_lshlrev_b32_e32 v4, 25, v3
	v_lshlrev_b16 v3, 8, v3
	s_delay_alu instid0(VALU_DEP_2) | instskip(NEXT) | instid1(VALU_DEP_2)
	v_lshrrev_b32_e32 v5, 4, v4
	v_and_or_b32 v6, 0x7f00, v3, 0.5
	v_bfe_i32 v3, v3, 0, 16
	s_delay_alu instid0(VALU_DEP_3) | instskip(NEXT) | instid1(VALU_DEP_1)
	v_or_b32_e32 v5, 0x70000000, v5
	v_dual_add_f32 v6, -0.5, v6 :: v_dual_mul_f32 v5, 0x7800000, v5
	v_cmp_gt_u32_e32 vcc_lo, 0x8000000, v4
	s_delay_alu instid0(VALU_DEP_2) | instskip(NEXT) | instid1(VALU_DEP_1)
	v_cndmask_b32_e32 v4, v5, v6, vcc_lo
	v_and_or_b32 v4, 0x80000000, v3, v4
.LBB158_832:
	s_mov_b32 s27, 0
	s_mov_b32 s0, -1
.LBB158_833:
	s_and_not1_b32 vcc_lo, exec_lo, s27
	s_cbranch_vccnz .LBB158_846
; %bb.834:
	v_cmp_lt_i16_e32 vcc_lo, 14, v2
	s_cbranch_vccz .LBB158_837
; %bb.835:
	v_cmp_eq_u16_e32 vcc_lo, 15, v2
	s_cbranch_vccz .LBB158_840
; %bb.836:
	global_load_u16 v3, v[0:1], off
	s_mov_b32 s0, -1
	s_mov_b32 s26, 0
	s_waitcnt vmcnt(0)
	v_lshlrev_b32_e32 v4, 16, v3
	s_branch .LBB158_841
.LBB158_837:
	s_mov_b32 s27, -1
                                        ; implicit-def: $vgpr4
	s_branch .LBB158_842
.LBB158_838:
	s_or_saveexec_b32 s28, s28
	v_mov_b32_e32 v4, s27
	s_xor_b32 exec_lo, exec_lo, s28
	s_cbranch_execz .LBB158_819
.LBB158_839:
	v_cmp_ne_u16_e32 vcc_lo, 0, v3
	v_mov_b32_e32 v4, 0
	s_and_not1_b32 s0, s0, exec_lo
	s_and_b32 s27, vcc_lo, exec_lo
	s_delay_alu instid0(SALU_CYCLE_1)
	s_or_b32 s0, s0, s27
	s_or_b32 exec_lo, exec_lo, s28
	s_and_saveexec_b32 s27, s0
	s_cbranch_execnz .LBB158_820
	s_branch .LBB158_821
.LBB158_840:
	s_mov_b32 s26, -1
                                        ; implicit-def: $vgpr4
.LBB158_841:
	s_mov_b32 s27, 0
.LBB158_842:
	s_delay_alu instid0(SALU_CYCLE_1)
	s_and_b32 vcc_lo, exec_lo, s27
	s_cbranch_vccz .LBB158_846
; %bb.843:
	v_cmp_eq_u16_e32 vcc_lo, 11, v2
	s_cbranch_vccz .LBB158_845
; %bb.844:
	global_load_u8 v3, v[0:1], off
	s_mov_b32 s26, 0
	s_mov_b32 s0, -1
	s_waitcnt vmcnt(0)
	v_cmp_ne_u16_e32 vcc_lo, 0, v3
	v_cndmask_b32_e64 v4, 0, 1.0, vcc_lo
	s_branch .LBB158_846
.LBB158_845:
	s_mov_b32 s26, -1
                                        ; implicit-def: $vgpr4
.LBB158_846:
	s_mov_b32 s27, 0
.LBB158_847:
	s_delay_alu instid0(SALU_CYCLE_1)
	s_and_b32 vcc_lo, exec_lo, s27
	s_cbranch_vccz .LBB158_896
; %bb.848:
	v_cmp_gt_i16_e32 vcc_lo, 5, v2
	s_cbranch_vccnz .LBB158_853
; %bb.849:
	v_cmp_gt_i16_e32 vcc_lo, 8, v2
	s_cbranch_vccnz .LBB158_854
	;; [unrolled: 3-line block ×3, first 2 shown]
; %bb.851:
	v_cmp_lt_i16_e32 vcc_lo, 9, v2
	s_cbranch_vccz .LBB158_856
; %bb.852:
	global_load_b64 v[3:4], v[0:1], off
	s_mov_b32 s0, 0
	s_waitcnt vmcnt(0)
	v_cvt_f32_f64_e32 v4, v[3:4]
	s_branch .LBB158_857
.LBB158_853:
	s_mov_b32 s0, -1
                                        ; implicit-def: $vgpr4
	s_branch .LBB158_875
.LBB158_854:
	s_mov_b32 s0, -1
                                        ; implicit-def: $vgpr4
	s_branch .LBB158_863
.LBB158_855:
	s_mov_b32 s0, -1
                                        ; implicit-def: $vgpr4
	s_branch .LBB158_860
.LBB158_856:
	s_mov_b32 s0, -1
                                        ; implicit-def: $vgpr4
.LBB158_857:
	s_delay_alu instid0(SALU_CYCLE_1)
	s_and_not1_b32 vcc_lo, exec_lo, s0
	s_cbranch_vccnz .LBB158_859
; %bb.858:
	global_load_b32 v4, v[0:1], off
.LBB158_859:
	s_mov_b32 s0, 0
.LBB158_860:
	s_delay_alu instid0(SALU_CYCLE_1)
	s_and_not1_b32 vcc_lo, exec_lo, s0
	s_cbranch_vccnz .LBB158_862
; %bb.861:
	global_load_b32 v3, v[0:1], off
	s_waitcnt vmcnt(0)
	v_cvt_f32_f16_e32 v4, v3
.LBB158_862:
	s_mov_b32 s0, 0
.LBB158_863:
	s_delay_alu instid0(SALU_CYCLE_1)
	s_and_not1_b32 vcc_lo, exec_lo, s0
	s_cbranch_vccnz .LBB158_874
; %bb.864:
	v_cmp_gt_i16_e32 vcc_lo, 6, v2
	s_cbranch_vccnz .LBB158_867
; %bb.865:
	v_cmp_lt_i16_e32 vcc_lo, 6, v2
	s_cbranch_vccz .LBB158_868
; %bb.866:
	global_load_b64 v[3:4], v[0:1], off
	s_mov_b32 s0, 0
	s_waitcnt vmcnt(0)
	v_cvt_f32_f64_e32 v4, v[3:4]
	s_branch .LBB158_869
.LBB158_867:
	s_mov_b32 s0, -1
                                        ; implicit-def: $vgpr4
	s_branch .LBB158_872
.LBB158_868:
	s_mov_b32 s0, -1
                                        ; implicit-def: $vgpr4
.LBB158_869:
	s_delay_alu instid0(SALU_CYCLE_1)
	s_and_not1_b32 vcc_lo, exec_lo, s0
	s_cbranch_vccnz .LBB158_871
; %bb.870:
	global_load_b32 v4, v[0:1], off
.LBB158_871:
	s_mov_b32 s0, 0
.LBB158_872:
	s_delay_alu instid0(SALU_CYCLE_1)
	s_and_not1_b32 vcc_lo, exec_lo, s0
	s_cbranch_vccnz .LBB158_874
; %bb.873:
	global_load_u16 v3, v[0:1], off
	s_waitcnt vmcnt(0)
	v_cvt_f32_f16_e32 v4, v3
.LBB158_874:
	s_mov_b32 s0, 0
.LBB158_875:
	s_delay_alu instid0(SALU_CYCLE_1)
	s_and_not1_b32 vcc_lo, exec_lo, s0
	s_cbranch_vccnz .LBB158_895
; %bb.876:
	v_cmp_gt_i16_e32 vcc_lo, 2, v2
	s_cbranch_vccnz .LBB158_880
; %bb.877:
	v_cmp_gt_i16_e32 vcc_lo, 3, v2
	s_cbranch_vccnz .LBB158_881
; %bb.878:
	v_cmp_lt_i16_e32 vcc_lo, 3, v2
	s_cbranch_vccz .LBB158_882
; %bb.879:
	global_load_b64 v[3:4], v[0:1], off
	s_mov_b32 s0, 0
	s_waitcnt vmcnt(0)
	v_xor_b32_e32 v5, v3, v4
	v_cls_i32_e32 v6, v4
	s_delay_alu instid0(VALU_DEP_2) | instskip(NEXT) | instid1(VALU_DEP_2)
	v_ashrrev_i32_e32 v5, 31, v5
	v_add_nc_u32_e32 v6, -1, v6
	s_delay_alu instid0(VALU_DEP_2) | instskip(NEXT) | instid1(VALU_DEP_1)
	v_add_nc_u32_e32 v5, 32, v5
	v_min_u32_e32 v5, v6, v5
	s_delay_alu instid0(VALU_DEP_1) | instskip(NEXT) | instid1(VALU_DEP_1)
	v_lshlrev_b64 v[3:4], v5, v[3:4]
	v_min_u32_e32 v3, 1, v3
	s_delay_alu instid0(VALU_DEP_1) | instskip(SKIP_1) | instid1(VALU_DEP_2)
	v_or_b32_e32 v3, v4, v3
	v_sub_nc_u32_e32 v4, 32, v5
	v_cvt_f32_i32_e32 v3, v3
	s_delay_alu instid0(VALU_DEP_1)
	v_ldexp_f32 v4, v3, v4
	s_branch .LBB158_883
.LBB158_880:
	s_mov_b32 s0, -1
                                        ; implicit-def: $vgpr4
	s_branch .LBB158_889
.LBB158_881:
	s_mov_b32 s0, -1
                                        ; implicit-def: $vgpr4
	s_branch .LBB158_886
.LBB158_882:
	s_mov_b32 s0, -1
                                        ; implicit-def: $vgpr4
.LBB158_883:
	s_delay_alu instid0(SALU_CYCLE_1)
	s_and_not1_b32 vcc_lo, exec_lo, s0
	s_cbranch_vccnz .LBB158_885
; %bb.884:
	global_load_b32 v3, v[0:1], off
	s_waitcnt vmcnt(0)
	v_cvt_f32_i32_e32 v4, v3
.LBB158_885:
	s_mov_b32 s0, 0
.LBB158_886:
	s_delay_alu instid0(SALU_CYCLE_1)
	s_and_not1_b32 vcc_lo, exec_lo, s0
	s_cbranch_vccnz .LBB158_888
; %bb.887:
	global_load_i16 v3, v[0:1], off
	s_waitcnt vmcnt(0)
	v_cvt_f32_i32_e32 v4, v3
.LBB158_888:
	s_mov_b32 s0, 0
.LBB158_889:
	s_delay_alu instid0(SALU_CYCLE_1)
	s_and_not1_b32 vcc_lo, exec_lo, s0
	s_cbranch_vccnz .LBB158_895
; %bb.890:
	v_cmp_lt_i16_e32 vcc_lo, 0, v2
	s_mov_b32 s0, 0
	s_cbranch_vccz .LBB158_892
; %bb.891:
	global_load_i8 v2, v[0:1], off
	s_waitcnt vmcnt(0)
	v_cvt_f32_i32_e32 v4, v2
	s_branch .LBB158_893
.LBB158_892:
	s_mov_b32 s0, -1
                                        ; implicit-def: $vgpr4
.LBB158_893:
	s_delay_alu instid0(SALU_CYCLE_1)
	s_and_not1_b32 vcc_lo, exec_lo, s0
	s_cbranch_vccnz .LBB158_895
; %bb.894:
	global_load_u8 v0, v[0:1], off
	s_waitcnt vmcnt(0)
	v_cvt_f32_ubyte0_e32 v4, v0
.LBB158_895:
	s_mov_b32 s0, -1
.LBB158_896:
	s_delay_alu instid0(SALU_CYCLE_1)
	s_and_not1_b32 vcc_lo, exec_lo, s0
	s_cbranch_vccnz .LBB158_904
; %bb.897:
	v_mul_lo_u32 v0, v7, s10
	v_and_b32_e64 v5, 0xff, s1
	s_delay_alu instid0(VALU_DEP_1) | instskip(NEXT) | instid1(VALU_DEP_3)
	v_cmp_gt_i16_e32 vcc_lo, 11, v5
	v_ashrrev_i32_e32 v1, 31, v0
	v_add_co_u32 v0, s0, s2, v0
	s_delay_alu instid0(VALU_DEP_1)
	v_add_co_ci_u32_e64 v1, s0, s3, v1, s0
	s_cbranch_vccnz .LBB158_905
; %bb.898:
	v_cmp_lt_i16_e32 vcc_lo, 25, v5
	s_cbranch_vccz .LBB158_906
; %bb.899:
	v_cmp_lt_i16_e32 vcc_lo, 28, v5
	s_cbranch_vccz .LBB158_907
	;; [unrolled: 3-line block ×4, first 2 shown]
; %bb.902:
	v_cmp_eq_u16_e32 vcc_lo, 46, v5
	s_mov_b32 s28, 0
	s_cbranch_vccz .LBB158_912
; %bb.903:
	global_load_b32 v2, v[0:1], off
	s_mov_b32 s0, -1
	s_mov_b32 s27, 0
	s_waitcnt vmcnt(0)
	v_lshlrev_b32_e32 v2, 16, v2
	s_delay_alu instid0(VALU_DEP_1) | instskip(NEXT) | instid1(VALU_DEP_1)
	v_trunc_f32_e32 v2, v2
	v_mul_f32_e64 v3, 0x2f800000, |v2|
	s_delay_alu instid0(VALU_DEP_1) | instskip(NEXT) | instid1(VALU_DEP_1)
	v_floor_f32_e32 v3, v3
	v_fma_f32 v3, 0xcf800000, v3, |v2|
	v_ashrrev_i32_e32 v2, 31, v2
	s_delay_alu instid0(VALU_DEP_2) | instskip(NEXT) | instid1(VALU_DEP_1)
	v_cvt_u32_f32_e32 v3, v3
	v_xor_b32_e32 v3, v3, v2
	s_delay_alu instid0(VALU_DEP_1)
	v_sub_nc_u32_e32 v2, v3, v2
	s_branch .LBB158_914
.LBB158_904:
	s_mov_b32 s29, 0
	s_mov_b32 s0, s22
	;; [unrolled: 1-line block ×3, first 2 shown]
	s_branch .LBB158_1149
.LBB158_905:
	s_mov_b32 s28, -1
	s_mov_b32 s0, 0
	s_mov_b32 s27, s23
                                        ; implicit-def: $vgpr2
	s_branch .LBB158_975
.LBB158_906:
	s_mov_b32 s28, -1
	s_mov_b32 s0, 0
	s_mov_b32 s27, s23
                                        ; implicit-def: $vgpr2
	s_branch .LBB158_941
.LBB158_907:
	s_mov_b32 s28, -1
	s_mov_b32 s0, 0
	s_mov_b32 s27, s23
                                        ; implicit-def: $vgpr2
	s_branch .LBB158_924
.LBB158_908:
	s_mov_b32 s28, -1
	s_mov_b32 s0, 0
	s_mov_b32 s27, s23
                                        ; implicit-def: $vgpr2
	s_branch .LBB158_919
.LBB158_909:
	s_mov_b32 s28, -1
	s_mov_b32 s0, 0
	s_mov_b32 s27, s23
	s_branch .LBB158_913
.LBB158_910:
	s_or_saveexec_b32 s26, s26
                                        ; implicit-def: $sgpr27
	s_delay_alu instid0(SALU_CYCLE_1)
	s_xor_b32 exec_lo, exec_lo, s26
	s_cbranch_execz .LBB158_685
.LBB158_911:
	v_add_f32_e64 v3, 0x42800000, |v2|
	s_and_not1_b32 s25, s25, exec_lo
	s_mov_b32 s27, 0
	s_delay_alu instid0(VALU_DEP_1) | instskip(NEXT) | instid1(VALU_DEP_1)
	v_and_b32_e32 v3, 0xff, v3
	v_cmp_ne_u32_e32 vcc_lo, 0, v3
	s_and_b32 s28, vcc_lo, exec_lo
	s_delay_alu instid0(SALU_CYCLE_1)
	s_or_b32 s25, s25, s28
	s_or_b32 exec_lo, exec_lo, s26
	v_mov_b32_e32 v4, s27
	s_and_saveexec_b32 s26, s25
	s_cbranch_execnz .LBB158_686
	s_branch .LBB158_687
.LBB158_912:
	s_mov_b32 s27, -1
	s_mov_b32 s0, 0
.LBB158_913:
                                        ; implicit-def: $vgpr2
.LBB158_914:
	s_and_b32 vcc_lo, exec_lo, s28
	s_cbranch_vccz .LBB158_918
; %bb.915:
	v_cmp_eq_u16_e32 vcc_lo, 44, v5
	s_cbranch_vccz .LBB158_917
; %bb.916:
	global_load_u8 v2, v[0:1], off
	s_mov_b32 s27, 0
	s_mov_b32 s0, -1
	s_waitcnt vmcnt(0)
	v_lshlrev_b32_e32 v3, 23, v2
	v_cmp_ne_u32_e32 vcc_lo, 0, v2
	s_delay_alu instid0(VALU_DEP_2) | instskip(NEXT) | instid1(VALU_DEP_1)
	v_trunc_f32_e32 v3, v3
	v_mul_f32_e64 v6, 0x2f800000, |v3|
	s_delay_alu instid0(VALU_DEP_1) | instskip(NEXT) | instid1(VALU_DEP_1)
	v_floor_f32_e32 v6, v6
	v_fma_f32 v6, 0xcf800000, v6, |v3|
	v_ashrrev_i32_e32 v3, 31, v3
	s_delay_alu instid0(VALU_DEP_2) | instskip(NEXT) | instid1(VALU_DEP_1)
	v_cvt_u32_f32_e32 v6, v6
	v_xor_b32_e32 v6, v6, v3
	s_delay_alu instid0(VALU_DEP_1) | instskip(NEXT) | instid1(VALU_DEP_1)
	v_sub_nc_u32_e32 v3, v6, v3
	v_cndmask_b32_e32 v2, 0, v3, vcc_lo
	s_branch .LBB158_918
.LBB158_917:
	s_mov_b32 s27, -1
                                        ; implicit-def: $vgpr2
.LBB158_918:
	s_mov_b32 s28, 0
.LBB158_919:
	s_delay_alu instid0(SALU_CYCLE_1)
	s_and_b32 vcc_lo, exec_lo, s28
	s_cbranch_vccz .LBB158_923
; %bb.920:
	v_cmp_eq_u16_e32 vcc_lo, 29, v5
	s_cbranch_vccz .LBB158_922
; %bb.921:
	global_load_b64 v[2:3], v[0:1], off
	s_mov_b32 s0, -1
	s_mov_b32 s27, 0
	s_branch .LBB158_923
.LBB158_922:
	s_mov_b32 s27, -1
                                        ; implicit-def: $vgpr2
.LBB158_923:
	s_mov_b32 s28, 0
.LBB158_924:
	s_delay_alu instid0(SALU_CYCLE_1)
	s_and_b32 vcc_lo, exec_lo, s28
	s_cbranch_vccz .LBB158_940
; %bb.925:
	v_cmp_gt_i16_e32 vcc_lo, 27, v5
	s_cbranch_vccnz .LBB158_928
; %bb.926:
	v_cmp_lt_i16_e32 vcc_lo, 27, v5
	s_cbranch_vccz .LBB158_929
; %bb.927:
	global_load_b32 v2, v[0:1], off
	s_mov_b32 s0, 0
	s_branch .LBB158_930
.LBB158_928:
	s_mov_b32 s0, -1
                                        ; implicit-def: $vgpr2
	s_branch .LBB158_933
.LBB158_929:
	s_mov_b32 s0, -1
                                        ; implicit-def: $vgpr2
.LBB158_930:
	s_delay_alu instid0(SALU_CYCLE_1)
	s_and_not1_b32 vcc_lo, exec_lo, s0
	s_cbranch_vccnz .LBB158_932
; %bb.931:
	global_load_u16 v2, v[0:1], off
.LBB158_932:
	s_mov_b32 s0, 0
.LBB158_933:
	s_delay_alu instid0(SALU_CYCLE_1)
	s_and_not1_b32 vcc_lo, exec_lo, s0
	s_cbranch_vccnz .LBB158_939
; %bb.934:
	global_load_u8 v3, v[0:1], off
	s_mov_b32 s28, 0
	s_mov_b32 s0, exec_lo
                                        ; implicit-def: $sgpr29
	s_waitcnt vmcnt(0)
	v_cmpx_lt_i16_e32 0x7f, v3
	s_xor_b32 s0, exec_lo, s0
	s_cbranch_execz .LBB158_951
; %bb.935:
	v_cmp_ne_u16_e32 vcc_lo, 0x80, v3
	s_mov_b32 s29, 0
	s_and_b32 s28, vcc_lo, exec_lo
	s_or_saveexec_b32 s0, s0
	v_mov_b32_e32 v2, s29
	s_xor_b32 exec_lo, exec_lo, s0
	s_cbranch_execnz .LBB158_952
.LBB158_936:
	s_or_b32 exec_lo, exec_lo, s0
	s_and_saveexec_b32 s0, s28
	s_cbranch_execz .LBB158_938
.LBB158_937:
	v_and_b32_e32 v2, 0xffff, v3
	s_delay_alu instid0(VALU_DEP_1) | instskip(NEXT) | instid1(VALU_DEP_1)
	v_and_b32_e32 v6, 7, v2
	v_clz_i32_u32_e32 v8, v6
	s_delay_alu instid0(VALU_DEP_1) | instskip(NEXT) | instid1(VALU_DEP_1)
	v_min_u32_e32 v8, 32, v8
	v_subrev_nc_u32_e32 v9, 28, v8
	v_sub_nc_u32_e32 v8, 29, v8
	s_delay_alu instid0(VALU_DEP_2) | instskip(SKIP_1) | instid1(VALU_DEP_1)
	v_lshlrev_b32_e32 v9, v9, v2
	v_bfe_u32 v2, v2, 3, 4
	v_cmp_eq_u32_e32 vcc_lo, 0, v2
	s_delay_alu instid0(VALU_DEP_3) | instskip(SKIP_1) | instid1(VALU_DEP_2)
	v_dual_cndmask_b32 v2, v2, v8 :: v_dual_and_b32 v9, 7, v9
	v_lshlrev_b32_e32 v3, 24, v3
	v_lshl_add_u32 v2, v2, 23, 0x3b800000
	s_delay_alu instid0(VALU_DEP_2) | instskip(NEXT) | instid1(VALU_DEP_1)
	v_dual_cndmask_b32 v6, v6, v9 :: v_dual_and_b32 v3, 0x80000000, v3
	v_lshlrev_b32_e32 v6, 20, v6
	s_delay_alu instid0(VALU_DEP_1) | instskip(NEXT) | instid1(VALU_DEP_1)
	v_or3_b32 v2, v3, v2, v6
	v_trunc_f32_e32 v2, v2
	s_delay_alu instid0(VALU_DEP_1) | instskip(NEXT) | instid1(VALU_DEP_1)
	v_mul_f32_e64 v3, 0x2f800000, |v2|
	v_floor_f32_e32 v3, v3
	s_delay_alu instid0(VALU_DEP_1) | instskip(SKIP_1) | instid1(VALU_DEP_2)
	v_fma_f32 v3, 0xcf800000, v3, |v2|
	v_ashrrev_i32_e32 v2, 31, v2
	v_cvt_u32_f32_e32 v3, v3
	s_delay_alu instid0(VALU_DEP_1) | instskip(NEXT) | instid1(VALU_DEP_1)
	v_xor_b32_e32 v3, v3, v2
	v_sub_nc_u32_e32 v2, v3, v2
.LBB158_938:
	s_or_b32 exec_lo, exec_lo, s0
.LBB158_939:
	s_mov_b32 s0, -1
.LBB158_940:
	s_mov_b32 s28, 0
.LBB158_941:
	s_delay_alu instid0(SALU_CYCLE_1)
	s_and_b32 vcc_lo, exec_lo, s28
	s_cbranch_vccz .LBB158_974
; %bb.942:
	v_cmp_lt_i16_e32 vcc_lo, 22, v5
	s_cbranch_vccz .LBB158_950
; %bb.943:
	v_cmp_gt_i16_e32 vcc_lo, 24, v5
	s_cbranch_vccnz .LBB158_953
; %bb.944:
	v_cmp_lt_i16_e32 vcc_lo, 24, v5
	s_cbranch_vccz .LBB158_954
; %bb.945:
	global_load_u8 v3, v[0:1], off
	s_mov_b32 s28, 0
	s_mov_b32 s0, exec_lo
                                        ; implicit-def: $sgpr29
	s_waitcnt vmcnt(0)
	v_cmpx_lt_i16_e32 0x7f, v3
	s_xor_b32 s0, exec_lo, s0
	s_cbranch_execz .LBB158_966
; %bb.946:
	v_cmp_ne_u16_e32 vcc_lo, 0x80, v3
	s_mov_b32 s29, 0
	s_and_b32 s28, vcc_lo, exec_lo
	s_or_saveexec_b32 s0, s0
	v_mov_b32_e32 v2, s29
	s_xor_b32 exec_lo, exec_lo, s0
	s_cbranch_execnz .LBB158_967
.LBB158_947:
	s_or_b32 exec_lo, exec_lo, s0
	s_and_saveexec_b32 s0, s28
	s_cbranch_execz .LBB158_949
.LBB158_948:
	v_and_b32_e32 v2, 0xffff, v3
	s_delay_alu instid0(VALU_DEP_1) | instskip(NEXT) | instid1(VALU_DEP_1)
	v_and_b32_e32 v6, 3, v2
	v_clz_i32_u32_e32 v8, v6
	s_delay_alu instid0(VALU_DEP_1) | instskip(NEXT) | instid1(VALU_DEP_1)
	v_min_u32_e32 v8, 32, v8
	v_subrev_nc_u32_e32 v9, 29, v8
	v_sub_nc_u32_e32 v8, 30, v8
	s_delay_alu instid0(VALU_DEP_2) | instskip(SKIP_1) | instid1(VALU_DEP_1)
	v_lshlrev_b32_e32 v9, v9, v2
	v_bfe_u32 v2, v2, 2, 5
	v_cmp_eq_u32_e32 vcc_lo, 0, v2
	s_delay_alu instid0(VALU_DEP_3) | instskip(SKIP_1) | instid1(VALU_DEP_2)
	v_dual_cndmask_b32 v2, v2, v8 :: v_dual_and_b32 v9, 3, v9
	v_lshlrev_b32_e32 v3, 24, v3
	v_lshl_add_u32 v2, v2, 23, 0x37800000
	s_delay_alu instid0(VALU_DEP_2) | instskip(NEXT) | instid1(VALU_DEP_1)
	v_dual_cndmask_b32 v6, v6, v9 :: v_dual_and_b32 v3, 0x80000000, v3
	v_lshlrev_b32_e32 v6, 21, v6
	s_delay_alu instid0(VALU_DEP_1) | instskip(NEXT) | instid1(VALU_DEP_1)
	v_or3_b32 v2, v3, v2, v6
	v_trunc_f32_e32 v2, v2
	s_delay_alu instid0(VALU_DEP_1) | instskip(NEXT) | instid1(VALU_DEP_1)
	v_mul_f32_e64 v3, 0x2f800000, |v2|
	v_floor_f32_e32 v3, v3
	s_delay_alu instid0(VALU_DEP_1) | instskip(SKIP_1) | instid1(VALU_DEP_2)
	v_fma_f32 v3, 0xcf800000, v3, |v2|
	v_ashrrev_i32_e32 v2, 31, v2
	v_cvt_u32_f32_e32 v3, v3
	s_delay_alu instid0(VALU_DEP_1) | instskip(NEXT) | instid1(VALU_DEP_1)
	v_xor_b32_e32 v3, v3, v2
	v_sub_nc_u32_e32 v2, v3, v2
.LBB158_949:
	s_or_b32 exec_lo, exec_lo, s0
	s_mov_b32 s0, 0
	s_branch .LBB158_955
.LBB158_950:
	s_mov_b32 s28, -1
                                        ; implicit-def: $vgpr2
	s_branch .LBB158_961
.LBB158_951:
	s_or_saveexec_b32 s0, s0
	v_mov_b32_e32 v2, s29
	s_xor_b32 exec_lo, exec_lo, s0
	s_cbranch_execz .LBB158_936
.LBB158_952:
	v_cmp_ne_u16_e32 vcc_lo, 0, v3
	v_mov_b32_e32 v2, 0
	s_and_not1_b32 s28, s28, exec_lo
	s_and_b32 s29, vcc_lo, exec_lo
	s_delay_alu instid0(SALU_CYCLE_1)
	s_or_b32 s28, s28, s29
	s_or_b32 exec_lo, exec_lo, s0
	s_and_saveexec_b32 s0, s28
	s_cbranch_execnz .LBB158_937
	s_branch .LBB158_938
.LBB158_953:
	s_mov_b32 s0, -1
                                        ; implicit-def: $vgpr2
	s_branch .LBB158_958
.LBB158_954:
	s_mov_b32 s0, -1
                                        ; implicit-def: $vgpr2
.LBB158_955:
	s_delay_alu instid0(SALU_CYCLE_1)
	s_and_b32 vcc_lo, exec_lo, s0
	s_cbranch_vccz .LBB158_957
; %bb.956:
	global_load_u8 v2, v[0:1], off
	s_waitcnt vmcnt(0)
	v_lshlrev_b32_e32 v2, 24, v2
	s_delay_alu instid0(VALU_DEP_1) | instskip(NEXT) | instid1(VALU_DEP_1)
	v_and_b32_e32 v3, 0x7f000000, v2
	v_clz_i32_u32_e32 v6, v3
	v_cmp_ne_u32_e32 vcc_lo, 0, v3
	v_add_nc_u32_e32 v9, 0x1000000, v3
	s_delay_alu instid0(VALU_DEP_3) | instskip(NEXT) | instid1(VALU_DEP_1)
	v_min_u32_e32 v6, 32, v6
	v_sub_nc_u32_e64 v6, v6, 4 clamp
	s_delay_alu instid0(VALU_DEP_1) | instskip(SKIP_1) | instid1(VALU_DEP_2)
	v_lshlrev_b32_e32 v8, v6, v3
	v_lshlrev_b32_e32 v6, 23, v6
	v_lshrrev_b32_e32 v8, 4, v8
	s_delay_alu instid0(VALU_DEP_1) | instskip(SKIP_1) | instid1(VALU_DEP_2)
	v_sub_nc_u32_e32 v6, v8, v6
	v_ashrrev_i32_e32 v8, 8, v9
	v_add_nc_u32_e32 v6, 0x3c000000, v6
	s_delay_alu instid0(VALU_DEP_1) | instskip(NEXT) | instid1(VALU_DEP_1)
	v_and_or_b32 v6, 0x7f800000, v8, v6
	v_cndmask_b32_e32 v3, 0, v6, vcc_lo
	s_delay_alu instid0(VALU_DEP_1) | instskip(NEXT) | instid1(VALU_DEP_1)
	v_and_or_b32 v2, 0x80000000, v2, v3
	v_trunc_f32_e32 v2, v2
	s_delay_alu instid0(VALU_DEP_1) | instskip(NEXT) | instid1(VALU_DEP_1)
	v_mul_f32_e64 v3, 0x2f800000, |v2|
	v_floor_f32_e32 v3, v3
	s_delay_alu instid0(VALU_DEP_1) | instskip(SKIP_1) | instid1(VALU_DEP_2)
	v_fma_f32 v3, 0xcf800000, v3, |v2|
	v_ashrrev_i32_e32 v2, 31, v2
	v_cvt_u32_f32_e32 v3, v3
	s_delay_alu instid0(VALU_DEP_1) | instskip(NEXT) | instid1(VALU_DEP_1)
	v_xor_b32_e32 v3, v3, v2
	v_sub_nc_u32_e32 v2, v3, v2
.LBB158_957:
	s_mov_b32 s0, 0
.LBB158_958:
	s_delay_alu instid0(SALU_CYCLE_1)
	s_and_not1_b32 vcc_lo, exec_lo, s0
	s_cbranch_vccnz .LBB158_960
; %bb.959:
	global_load_u8 v2, v[0:1], off
	s_waitcnt vmcnt(0)
	v_lshlrev_b32_e32 v3, 25, v2
	v_lshlrev_b16 v2, 8, v2
	s_delay_alu instid0(VALU_DEP_1) | instskip(SKIP_1) | instid1(VALU_DEP_2)
	v_and_or_b32 v8, 0x7f00, v2, 0.5
	v_bfe_i32 v2, v2, 0, 16
	v_add_f32_e32 v8, -0.5, v8
	v_lshrrev_b32_e32 v6, 4, v3
	v_cmp_gt_u32_e32 vcc_lo, 0x8000000, v3
	s_delay_alu instid0(VALU_DEP_2) | instskip(NEXT) | instid1(VALU_DEP_1)
	v_or_b32_e32 v6, 0x70000000, v6
	v_mul_f32_e32 v6, 0x7800000, v6
	s_delay_alu instid0(VALU_DEP_1) | instskip(NEXT) | instid1(VALU_DEP_1)
	v_cndmask_b32_e32 v3, v6, v8, vcc_lo
	v_and_or_b32 v2, 0x80000000, v2, v3
	s_delay_alu instid0(VALU_DEP_1) | instskip(NEXT) | instid1(VALU_DEP_1)
	v_trunc_f32_e32 v2, v2
	v_mul_f32_e64 v3, 0x2f800000, |v2|
	s_delay_alu instid0(VALU_DEP_1) | instskip(NEXT) | instid1(VALU_DEP_1)
	v_floor_f32_e32 v3, v3
	v_fma_f32 v3, 0xcf800000, v3, |v2|
	v_ashrrev_i32_e32 v2, 31, v2
	s_delay_alu instid0(VALU_DEP_2) | instskip(NEXT) | instid1(VALU_DEP_1)
	v_cvt_u32_f32_e32 v3, v3
	v_xor_b32_e32 v3, v3, v2
	s_delay_alu instid0(VALU_DEP_1)
	v_sub_nc_u32_e32 v2, v3, v2
.LBB158_960:
	s_mov_b32 s28, 0
	s_mov_b32 s0, -1
.LBB158_961:
	s_and_not1_b32 vcc_lo, exec_lo, s28
	s_cbranch_vccnz .LBB158_974
; %bb.962:
	v_cmp_lt_i16_e32 vcc_lo, 14, v5
	s_cbranch_vccz .LBB158_965
; %bb.963:
	v_cmp_eq_u16_e32 vcc_lo, 15, v5
	s_cbranch_vccz .LBB158_968
; %bb.964:
	global_load_u16 v2, v[0:1], off
	s_mov_b32 s0, -1
	s_mov_b32 s27, 0
	s_waitcnt vmcnt(0)
	v_lshlrev_b32_e32 v2, 16, v2
	s_delay_alu instid0(VALU_DEP_1) | instskip(NEXT) | instid1(VALU_DEP_1)
	v_trunc_f32_e32 v2, v2
	v_mul_f32_e64 v3, 0x2f800000, |v2|
	s_delay_alu instid0(VALU_DEP_1) | instskip(NEXT) | instid1(VALU_DEP_1)
	v_floor_f32_e32 v3, v3
	v_fma_f32 v3, 0xcf800000, v3, |v2|
	v_ashrrev_i32_e32 v2, 31, v2
	s_delay_alu instid0(VALU_DEP_2) | instskip(NEXT) | instid1(VALU_DEP_1)
	v_cvt_u32_f32_e32 v3, v3
	v_xor_b32_e32 v3, v3, v2
	s_delay_alu instid0(VALU_DEP_1)
	v_sub_nc_u32_e32 v2, v3, v2
	s_branch .LBB158_969
.LBB158_965:
	s_mov_b32 s28, -1
                                        ; implicit-def: $vgpr2
	s_branch .LBB158_970
.LBB158_966:
	s_or_saveexec_b32 s0, s0
	v_mov_b32_e32 v2, s29
	s_xor_b32 exec_lo, exec_lo, s0
	s_cbranch_execz .LBB158_947
.LBB158_967:
	v_cmp_ne_u16_e32 vcc_lo, 0, v3
	v_mov_b32_e32 v2, 0
	s_and_not1_b32 s28, s28, exec_lo
	s_and_b32 s29, vcc_lo, exec_lo
	s_delay_alu instid0(SALU_CYCLE_1)
	s_or_b32 s28, s28, s29
	s_or_b32 exec_lo, exec_lo, s0
	s_and_saveexec_b32 s0, s28
	s_cbranch_execnz .LBB158_948
	s_branch .LBB158_949
.LBB158_968:
	s_mov_b32 s27, -1
                                        ; implicit-def: $vgpr2
.LBB158_969:
	s_mov_b32 s28, 0
.LBB158_970:
	s_delay_alu instid0(SALU_CYCLE_1)
	s_and_b32 vcc_lo, exec_lo, s28
	s_cbranch_vccz .LBB158_974
; %bb.971:
	v_cmp_eq_u16_e32 vcc_lo, 11, v5
	s_cbranch_vccz .LBB158_973
; %bb.972:
	global_load_u8 v2, v[0:1], off
	s_mov_b32 s27, 0
	s_mov_b32 s0, -1
	s_waitcnt vmcnt(0)
	v_cmp_ne_u16_e32 vcc_lo, 0, v2
	v_cndmask_b32_e64 v2, 0, 1, vcc_lo
	s_branch .LBB158_974
.LBB158_973:
	s_mov_b32 s27, -1
                                        ; implicit-def: $vgpr2
.LBB158_974:
	s_mov_b32 s28, 0
.LBB158_975:
	s_delay_alu instid0(SALU_CYCLE_1)
	s_and_b32 vcc_lo, exec_lo, s28
	s_cbranch_vccz .LBB158_1024
; %bb.976:
	v_cmp_gt_i16_e32 vcc_lo, 5, v5
	s_cbranch_vccnz .LBB158_981
; %bb.977:
	v_cmp_gt_i16_e32 vcc_lo, 8, v5
	s_cbranch_vccnz .LBB158_982
	;; [unrolled: 3-line block ×3, first 2 shown]
; %bb.979:
	v_cmp_lt_i16_e32 vcc_lo, 9, v5
	s_cbranch_vccz .LBB158_984
; %bb.980:
	global_load_b64 v[2:3], v[0:1], off
	s_mov_b32 s0, 0
	s_waitcnt vmcnt(0)
	v_trunc_f64_e32 v[2:3], v[2:3]
	s_delay_alu instid0(VALU_DEP_1) | instskip(NEXT) | instid1(VALU_DEP_1)
	v_ldexp_f64 v[8:9], v[2:3], 0xffffffe0
	v_floor_f64_e32 v[8:9], v[8:9]
	s_delay_alu instid0(VALU_DEP_1) | instskip(NEXT) | instid1(VALU_DEP_1)
	v_fma_f64 v[2:3], 0xc1f00000, v[8:9], v[2:3]
	v_cvt_u32_f64_e32 v2, v[2:3]
	s_branch .LBB158_985
.LBB158_981:
	s_mov_b32 s0, -1
                                        ; implicit-def: $vgpr2
	s_branch .LBB158_1003
.LBB158_982:
	s_mov_b32 s0, -1
                                        ; implicit-def: $vgpr2
	s_branch .LBB158_991
.LBB158_983:
	s_mov_b32 s0, -1
                                        ; implicit-def: $vgpr2
	s_branch .LBB158_988
.LBB158_984:
	s_mov_b32 s0, -1
                                        ; implicit-def: $vgpr2
.LBB158_985:
	s_delay_alu instid0(SALU_CYCLE_1)
	s_and_not1_b32 vcc_lo, exec_lo, s0
	s_cbranch_vccnz .LBB158_987
; %bb.986:
	global_load_b32 v2, v[0:1], off
	s_waitcnt vmcnt(0)
	v_trunc_f32_e32 v2, v2
	s_delay_alu instid0(VALU_DEP_1) | instskip(NEXT) | instid1(VALU_DEP_1)
	v_mul_f32_e64 v3, 0x2f800000, |v2|
	v_floor_f32_e32 v3, v3
	s_delay_alu instid0(VALU_DEP_1) | instskip(SKIP_1) | instid1(VALU_DEP_2)
	v_fma_f32 v3, 0xcf800000, v3, |v2|
	v_ashrrev_i32_e32 v2, 31, v2
	v_cvt_u32_f32_e32 v3, v3
	s_delay_alu instid0(VALU_DEP_1) | instskip(NEXT) | instid1(VALU_DEP_1)
	v_xor_b32_e32 v3, v3, v2
	v_sub_nc_u32_e32 v2, v3, v2
.LBB158_987:
	s_mov_b32 s0, 0
.LBB158_988:
	s_delay_alu instid0(SALU_CYCLE_1)
	s_and_not1_b32 vcc_lo, exec_lo, s0
	s_cbranch_vccnz .LBB158_990
; %bb.989:
	global_load_b32 v2, v[0:1], off
	s_waitcnt vmcnt(0)
	v_cvt_f32_f16_e32 v2, v2
	s_delay_alu instid0(VALU_DEP_1)
	v_cvt_i32_f32_e32 v2, v2
.LBB158_990:
	s_mov_b32 s0, 0
.LBB158_991:
	s_delay_alu instid0(SALU_CYCLE_1)
	s_and_not1_b32 vcc_lo, exec_lo, s0
	s_cbranch_vccnz .LBB158_1002
; %bb.992:
	v_cmp_gt_i16_e32 vcc_lo, 6, v5
	s_cbranch_vccnz .LBB158_995
; %bb.993:
	v_cmp_lt_i16_e32 vcc_lo, 6, v5
	s_cbranch_vccz .LBB158_996
; %bb.994:
	global_load_b64 v[2:3], v[0:1], off
	s_mov_b32 s0, 0
	s_waitcnt vmcnt(0)
	v_trunc_f64_e32 v[2:3], v[2:3]
	s_delay_alu instid0(VALU_DEP_1) | instskip(NEXT) | instid1(VALU_DEP_1)
	v_ldexp_f64 v[8:9], v[2:3], 0xffffffe0
	v_floor_f64_e32 v[8:9], v[8:9]
	s_delay_alu instid0(VALU_DEP_1) | instskip(NEXT) | instid1(VALU_DEP_1)
	v_fma_f64 v[2:3], 0xc1f00000, v[8:9], v[2:3]
	v_cvt_u32_f64_e32 v2, v[2:3]
	s_branch .LBB158_997
.LBB158_995:
	s_mov_b32 s0, -1
                                        ; implicit-def: $vgpr2
	s_branch .LBB158_1000
.LBB158_996:
	s_mov_b32 s0, -1
                                        ; implicit-def: $vgpr2
.LBB158_997:
	s_delay_alu instid0(SALU_CYCLE_1)
	s_and_not1_b32 vcc_lo, exec_lo, s0
	s_cbranch_vccnz .LBB158_999
; %bb.998:
	global_load_b32 v2, v[0:1], off
	s_waitcnt vmcnt(0)
	v_trunc_f32_e32 v2, v2
	s_delay_alu instid0(VALU_DEP_1) | instskip(NEXT) | instid1(VALU_DEP_1)
	v_mul_f32_e64 v3, 0x2f800000, |v2|
	v_floor_f32_e32 v3, v3
	s_delay_alu instid0(VALU_DEP_1) | instskip(SKIP_1) | instid1(VALU_DEP_2)
	v_fma_f32 v3, 0xcf800000, v3, |v2|
	v_ashrrev_i32_e32 v2, 31, v2
	v_cvt_u32_f32_e32 v3, v3
	s_delay_alu instid0(VALU_DEP_1) | instskip(NEXT) | instid1(VALU_DEP_1)
	v_xor_b32_e32 v3, v3, v2
	v_sub_nc_u32_e32 v2, v3, v2
.LBB158_999:
	s_mov_b32 s0, 0
.LBB158_1000:
	s_delay_alu instid0(SALU_CYCLE_1)
	s_and_not1_b32 vcc_lo, exec_lo, s0
	s_cbranch_vccnz .LBB158_1002
; %bb.1001:
	global_load_u16 v2, v[0:1], off
	s_waitcnt vmcnt(0)
	v_cvt_f32_f16_e32 v2, v2
	s_delay_alu instid0(VALU_DEP_1)
	v_cvt_i32_f32_e32 v2, v2
.LBB158_1002:
	s_mov_b32 s0, 0
.LBB158_1003:
	s_delay_alu instid0(SALU_CYCLE_1)
	s_and_not1_b32 vcc_lo, exec_lo, s0
	s_cbranch_vccnz .LBB158_1023
; %bb.1004:
	v_cmp_gt_i16_e32 vcc_lo, 2, v5
	s_cbranch_vccnz .LBB158_1008
; %bb.1005:
	v_cmp_gt_i16_e32 vcc_lo, 3, v5
	s_cbranch_vccnz .LBB158_1009
; %bb.1006:
	v_cmp_lt_i16_e32 vcc_lo, 3, v5
	s_cbranch_vccz .LBB158_1010
; %bb.1007:
	global_load_b64 v[2:3], v[0:1], off
	s_mov_b32 s0, 0
	s_branch .LBB158_1011
.LBB158_1008:
	s_mov_b32 s0, -1
                                        ; implicit-def: $vgpr2
	s_branch .LBB158_1017
.LBB158_1009:
	s_mov_b32 s0, -1
                                        ; implicit-def: $vgpr2
	s_branch .LBB158_1014
.LBB158_1010:
	s_mov_b32 s0, -1
                                        ; implicit-def: $vgpr2
.LBB158_1011:
	s_delay_alu instid0(SALU_CYCLE_1)
	s_and_not1_b32 vcc_lo, exec_lo, s0
	s_cbranch_vccnz .LBB158_1013
; %bb.1012:
	global_load_b32 v2, v[0:1], off
.LBB158_1013:
	s_mov_b32 s0, 0
.LBB158_1014:
	s_delay_alu instid0(SALU_CYCLE_1)
	s_and_not1_b32 vcc_lo, exec_lo, s0
	s_cbranch_vccnz .LBB158_1016
; %bb.1015:
	global_load_u16 v2, v[0:1], off
.LBB158_1016:
	s_mov_b32 s0, 0
.LBB158_1017:
	s_delay_alu instid0(SALU_CYCLE_1)
	s_and_not1_b32 vcc_lo, exec_lo, s0
	s_cbranch_vccnz .LBB158_1023
; %bb.1018:
	v_cmp_lt_i16_e32 vcc_lo, 0, v5
	s_mov_b32 s0, 0
	s_cbranch_vccz .LBB158_1020
; %bb.1019:
	global_load_u8 v2, v[0:1], off
	s_branch .LBB158_1021
.LBB158_1020:
	s_mov_b32 s0, -1
                                        ; implicit-def: $vgpr2
.LBB158_1021:
	s_delay_alu instid0(SALU_CYCLE_1)
	s_and_not1_b32 vcc_lo, exec_lo, s0
	s_cbranch_vccnz .LBB158_1023
; %bb.1022:
	global_load_u8 v2, v[0:1], off
.LBB158_1023:
	s_mov_b32 s0, -1
.LBB158_1024:
	s_delay_alu instid0(SALU_CYCLE_1)
	s_and_not1_b32 vcc_lo, exec_lo, s0
	s_cbranch_vccnz .LBB158_1032
; %bb.1025:
	v_mul_lo_u32 v1, v7, s8
	s_waitcnt vmcnt(0)
	s_delay_alu instid0(VALU_DEP_2) | instskip(SKIP_1) | instid1(VALU_DEP_2)
	v_cvt_f32_ubyte0_e32 v0, v2
	v_and_b32_e64 v5, 0xff, s12
	v_mul_f32_e32 v0, v4, v0
	s_delay_alu instid0(VALU_DEP_2) | instskip(SKIP_1) | instid1(VALU_DEP_3)
	v_cmp_gt_i16_e32 vcc_lo, 11, v5
	v_ashrrev_i32_e32 v3, 31, v1
	v_mul_f32_e32 v2, s11, v0
	v_add_co_u32 v0, s0, s4, v1
	s_delay_alu instid0(VALU_DEP_1)
	v_add_co_ci_u32_e64 v1, s0, s5, v3, s0
	s_cbranch_vccnz .LBB158_1033
; %bb.1026:
	v_cmp_lt_i16_e32 vcc_lo, 25, v5
	s_cbranch_vccz .LBB158_1034
; %bb.1027:
	v_cmp_lt_i16_e32 vcc_lo, 28, v5
	s_cbranch_vccz .LBB158_1035
; %bb.1028:
	v_cmp_lt_i16_e32 vcc_lo, 43, v5
	s_cbranch_vccz .LBB158_1036
; %bb.1029:
	v_cmp_lt_i16_e32 vcc_lo, 45, v5
	s_cbranch_vccz .LBB158_1037
; %bb.1030:
	v_cmp_eq_u16_e32 vcc_lo, 46, v5
	s_mov_b32 s29, 0
	s_mov_b32 s0, -1
	s_mov_b32 s28, 0
	s_cbranch_vccz .LBB158_1038
; %bb.1031:
	v_bfe_u32 v3, v2, 16, 1
	v_cmp_o_f32_e32 vcc_lo, v2, v2
	s_mov_b32 s28, -1
	s_mov_b32 s0, 0
	s_delay_alu instid0(VALU_DEP_2) | instskip(NEXT) | instid1(VALU_DEP_1)
	v_add3_u32 v3, v2, v3, 0x7fff
	v_lshrrev_b32_e32 v3, 16, v3
	s_delay_alu instid0(VALU_DEP_1)
	v_cndmask_b32_e32 v3, 0x7fc0, v3, vcc_lo
	global_store_b32 v[0:1], v3, off
	s_branch .LBB158_1038
.LBB158_1032:
	s_mov_b32 s29, 0
	s_mov_b32 s0, s22
	s_branch .LBB158_1149
.LBB158_1033:
	s_mov_b32 s29, -1
	s_mov_b32 s28, 0
	s_mov_b32 s0, s22
	s_branch .LBB158_1107
.LBB158_1034:
	s_mov_b32 s29, -1
	s_mov_b32 s28, 0
	s_mov_b32 s0, s22
	s_branch .LBB158_1065
.LBB158_1035:
	s_mov_b32 s29, -1
	s_mov_b32 s28, 0
	s_mov_b32 s0, s22
	s_branch .LBB158_1048
.LBB158_1036:
	s_mov_b32 s29, -1
	s_mov_b32 s28, 0
	s_mov_b32 s0, s22
	s_branch .LBB158_1044
.LBB158_1037:
	s_mov_b32 s29, -1
	s_mov_b32 s28, 0
	s_mov_b32 s0, s22
.LBB158_1038:
	s_and_b32 vcc_lo, exec_lo, s29
	s_cbranch_vccz .LBB158_1043
; %bb.1039:
	v_cmp_eq_u16_e32 vcc_lo, 44, v5
	s_mov_b32 s0, -1
	s_cbranch_vccz .LBB158_1043
; %bb.1040:
	v_bfe_u32 v4, v2, 23, 8
	v_mov_b32_e32 v3, 0xff
	s_mov_b32 s28, exec_lo
	s_delay_alu instid0(VALU_DEP_2)
	v_cmpx_ne_u32_e32 0xff, v4
; %bb.1041:
	v_and_b32_e32 v3, 0x400000, v2
	v_and_or_b32 v4, 0x3fffff, v2, v4
	s_delay_alu instid0(VALU_DEP_2) | instskip(NEXT) | instid1(VALU_DEP_2)
	v_cmp_ne_u32_e32 vcc_lo, 0, v3
	v_cmp_ne_u32_e64 s0, 0, v4
	v_lshrrev_b32_e32 v3, 23, v2
	s_delay_alu instid0(VALU_DEP_2) | instskip(NEXT) | instid1(SALU_CYCLE_1)
	s_and_b32 s0, vcc_lo, s0
	v_cndmask_b32_e64 v4, 0, 1, s0
	s_delay_alu instid0(VALU_DEP_1)
	v_add_nc_u32_e32 v3, v3, v4
; %bb.1042:
	s_or_b32 exec_lo, exec_lo, s28
	s_mov_b32 s28, -1
	s_mov_b32 s0, 0
	global_store_b8 v[0:1], v3, off
.LBB158_1043:
	s_mov_b32 s29, 0
.LBB158_1044:
	s_delay_alu instid0(SALU_CYCLE_1)
	s_and_b32 vcc_lo, exec_lo, s29
	s_cbranch_vccz .LBB158_1047
; %bb.1045:
	v_cmp_eq_u16_e32 vcc_lo, 29, v5
	s_mov_b32 s0, -1
	s_cbranch_vccz .LBB158_1047
; %bb.1046:
	v_trunc_f32_e32 v3, v2
	s_mov_b32 s28, -1
	s_mov_b32 s0, 0
	s_mov_b32 s29, 0
	s_delay_alu instid0(VALU_DEP_1) | instskip(NEXT) | instid1(VALU_DEP_1)
	v_mul_f32_e32 v4, 0x2f800000, v3
	v_floor_f32_e32 v4, v4
	s_delay_alu instid0(VALU_DEP_1) | instskip(SKIP_1) | instid1(VALU_DEP_2)
	v_fmamk_f32 v3, v4, 0xcf800000, v3
	v_cvt_u32_f32_e32 v4, v4
	v_cvt_u32_f32_e32 v3, v3
	global_store_b64 v[0:1], v[3:4], off
	s_branch .LBB158_1048
.LBB158_1047:
	s_mov_b32 s29, 0
.LBB158_1048:
	s_delay_alu instid0(SALU_CYCLE_1)
	s_and_b32 vcc_lo, exec_lo, s29
	s_cbranch_vccz .LBB158_1064
; %bb.1049:
	v_cmp_gt_i16_e32 vcc_lo, 27, v5
	s_mov_b32 s28, -1
	s_cbranch_vccnz .LBB158_1055
; %bb.1050:
	v_cmp_lt_i16_e32 vcc_lo, 27, v5
	v_cvt_u32_f32_e32 v3, v2
	s_cbranch_vccz .LBB158_1052
; %bb.1051:
	s_mov_b32 s28, 0
	global_store_b32 v[0:1], v3, off
.LBB158_1052:
	s_and_not1_b32 vcc_lo, exec_lo, s28
	s_cbranch_vccnz .LBB158_1054
; %bb.1053:
	global_store_b16 v[0:1], v3, off
.LBB158_1054:
	s_mov_b32 s28, 0
.LBB158_1055:
	s_delay_alu instid0(SALU_CYCLE_1)
	s_and_not1_b32 vcc_lo, exec_lo, s28
	s_cbranch_vccnz .LBB158_1063
; %bb.1056:
	v_and_b32_e32 v3, 0x7fffffff, v2
	v_mov_b32_e32 v4, 0x80
	s_mov_b32 s28, exec_lo
	s_delay_alu instid0(VALU_DEP_2)
	v_cmpx_gt_u32_e32 0x43800000, v3
	s_cbranch_execz .LBB158_1062
; %bb.1057:
	v_cmp_lt_u32_e32 vcc_lo, 0x3bffffff, v3
	s_mov_b32 s29, 0
                                        ; implicit-def: $vgpr3
	s_and_saveexec_b32 s30, vcc_lo
	s_delay_alu instid0(SALU_CYCLE_1)
	s_xor_b32 s30, exec_lo, s30
	s_cbranch_execz .LBB158_1165
; %bb.1058:
	v_bfe_u32 v3, v2, 20, 1
	s_mov_b32 s29, exec_lo
	s_delay_alu instid0(VALU_DEP_1) | instskip(NEXT) | instid1(VALU_DEP_1)
	v_add3_u32 v3, v2, v3, 0x487ffff
	v_lshrrev_b32_e32 v3, 20, v3
	s_or_saveexec_b32 s30, s30
                                        ; implicit-def: $sgpr31
	s_delay_alu instid0(SALU_CYCLE_1)
	s_xor_b32 exec_lo, exec_lo, s30
	s_cbranch_execnz .LBB158_1166
.LBB158_1059:
	s_or_b32 exec_lo, exec_lo, s30
	v_mov_b32_e32 v4, s31
	s_and_saveexec_b32 s30, s29
.LBB158_1060:
	v_lshrrev_b32_e32 v4, 24, v2
	s_delay_alu instid0(VALU_DEP_1)
	v_and_or_b32 v4, 0x80, v4, v3
.LBB158_1061:
	s_or_b32 exec_lo, exec_lo, s30
.LBB158_1062:
	s_delay_alu instid0(SALU_CYCLE_1)
	s_or_b32 exec_lo, exec_lo, s28
	global_store_b8 v[0:1], v4, off
.LBB158_1063:
	s_mov_b32 s28, -1
.LBB158_1064:
	s_mov_b32 s29, 0
.LBB158_1065:
	s_delay_alu instid0(SALU_CYCLE_1)
	s_and_b32 vcc_lo, exec_lo, s29
	s_cbranch_vccz .LBB158_1106
; %bb.1066:
	v_cmp_lt_i16_e32 vcc_lo, 22, v5
	s_mov_b32 s29, -1
	s_cbranch_vccz .LBB158_1098
; %bb.1067:
	v_cmp_gt_i16_e32 vcc_lo, 24, v5
	s_mov_b32 s28, -1
	s_cbranch_vccnz .LBB158_1087
; %bb.1068:
	v_cmp_lt_i16_e32 vcc_lo, 24, v5
	s_cbranch_vccz .LBB158_1076
; %bb.1069:
	v_and_b32_e32 v3, 0x7fffffff, v2
	v_mov_b32_e32 v4, 0x80
	s_mov_b32 s28, exec_lo
	s_delay_alu instid0(VALU_DEP_2)
	v_cmpx_gt_u32_e32 0x47800000, v3
	s_cbranch_execz .LBB158_1075
; %bb.1070:
	v_cmp_lt_u32_e32 vcc_lo, 0x37ffffff, v3
	s_mov_b32 s29, 0
                                        ; implicit-def: $vgpr3
	s_and_saveexec_b32 s30, vcc_lo
	s_delay_alu instid0(SALU_CYCLE_1)
	s_xor_b32 s30, exec_lo, s30
	s_cbranch_execz .LBB158_2208
; %bb.1071:
	v_bfe_u32 v3, v2, 21, 1
	s_mov_b32 s29, exec_lo
	s_delay_alu instid0(VALU_DEP_1) | instskip(NEXT) | instid1(VALU_DEP_1)
	v_add3_u32 v3, v2, v3, 0x88fffff
	v_lshrrev_b32_e32 v3, 21, v3
	s_or_saveexec_b32 s30, s30
                                        ; implicit-def: $sgpr31
	s_delay_alu instid0(SALU_CYCLE_1)
	s_xor_b32 exec_lo, exec_lo, s30
	s_cbranch_execnz .LBB158_2209
.LBB158_1072:
	s_or_b32 exec_lo, exec_lo, s30
	v_mov_b32_e32 v4, s31
	s_and_saveexec_b32 s30, s29
.LBB158_1073:
	v_lshrrev_b32_e32 v4, 24, v2
	s_delay_alu instid0(VALU_DEP_1)
	v_and_or_b32 v4, 0x80, v4, v3
.LBB158_1074:
	s_or_b32 exec_lo, exec_lo, s30
.LBB158_1075:
	s_delay_alu instid0(SALU_CYCLE_1)
	s_or_b32 exec_lo, exec_lo, s28
	s_mov_b32 s28, 0
	global_store_b8 v[0:1], v4, off
.LBB158_1076:
	s_and_b32 vcc_lo, exec_lo, s28
	s_cbranch_vccz .LBB158_1086
; %bb.1077:
	v_and_b32_e32 v4, 0x7fffffff, v2
	s_mov_b32 s28, exec_lo
                                        ; implicit-def: $vgpr3
	s_delay_alu instid0(VALU_DEP_1)
	v_cmpx_gt_u32_e32 0x43f00000, v4
	s_xor_b32 s28, exec_lo, s28
	s_cbranch_execz .LBB158_1083
; %bb.1078:
	s_mov_b32 s29, exec_lo
                                        ; implicit-def: $vgpr3
	v_cmpx_lt_u32_e32 0x3c7fffff, v4
	s_xor_b32 s29, exec_lo, s29
; %bb.1079:
	v_bfe_u32 v3, v2, 20, 1
	s_delay_alu instid0(VALU_DEP_1) | instskip(NEXT) | instid1(VALU_DEP_1)
	v_add3_u32 v3, v2, v3, 0x407ffff
	v_and_b32_e32 v4, 0xff00000, v3
	v_lshrrev_b32_e32 v3, 20, v3
	s_delay_alu instid0(VALU_DEP_2) | instskip(NEXT) | instid1(VALU_DEP_2)
	v_cmp_ne_u32_e32 vcc_lo, 0x7f00000, v4
	v_cndmask_b32_e32 v3, 0x7e, v3, vcc_lo
; %bb.1080:
	s_and_not1_saveexec_b32 s29, s29
; %bb.1081:
	v_add_f32_e64 v3, 0x46800000, |v2|
; %bb.1082:
	s_or_b32 exec_lo, exec_lo, s29
                                        ; implicit-def: $vgpr4
.LBB158_1083:
	s_and_not1_saveexec_b32 s28, s28
; %bb.1084:
	v_mov_b32_e32 v3, 0x7f
	v_cmp_lt_u32_e32 vcc_lo, 0x7f800000, v4
	s_delay_alu instid0(VALU_DEP_2)
	v_cndmask_b32_e32 v3, 0x7e, v3, vcc_lo
; %bb.1085:
	s_or_b32 exec_lo, exec_lo, s28
	v_lshrrev_b32_e32 v4, 24, v2
	s_delay_alu instid0(VALU_DEP_1)
	v_and_or_b32 v3, 0x80, v4, v3
	global_store_b8 v[0:1], v3, off
.LBB158_1086:
	s_mov_b32 s28, 0
.LBB158_1087:
	s_delay_alu instid0(SALU_CYCLE_1)
	s_and_not1_b32 vcc_lo, exec_lo, s28
	s_cbranch_vccnz .LBB158_1097
; %bb.1088:
	v_and_b32_e32 v4, 0x7fffffff, v2
	s_mov_b32 s28, exec_lo
                                        ; implicit-def: $vgpr3
	s_delay_alu instid0(VALU_DEP_1)
	v_cmpx_gt_u32_e32 0x47800000, v4
	s_xor_b32 s28, exec_lo, s28
	s_cbranch_execz .LBB158_1094
; %bb.1089:
	s_mov_b32 s29, exec_lo
                                        ; implicit-def: $vgpr3
	v_cmpx_lt_u32_e32 0x387fffff, v4
	s_xor_b32 s29, exec_lo, s29
; %bb.1090:
	v_bfe_u32 v3, v2, 21, 1
	s_delay_alu instid0(VALU_DEP_1) | instskip(NEXT) | instid1(VALU_DEP_1)
	v_add3_u32 v3, v2, v3, 0x80fffff
	v_lshrrev_b32_e32 v3, 21, v3
; %bb.1091:
	s_and_not1_saveexec_b32 s29, s29
; %bb.1092:
	v_add_f32_e64 v3, 0x43000000, |v2|
; %bb.1093:
	s_or_b32 exec_lo, exec_lo, s29
                                        ; implicit-def: $vgpr4
.LBB158_1094:
	s_and_not1_saveexec_b32 s28, s28
; %bb.1095:
	v_mov_b32_e32 v3, 0x7f
	v_cmp_lt_u32_e32 vcc_lo, 0x7f800000, v4
	s_delay_alu instid0(VALU_DEP_2)
	v_cndmask_b32_e32 v3, 0x7c, v3, vcc_lo
; %bb.1096:
	s_or_b32 exec_lo, exec_lo, s28
	v_lshrrev_b32_e32 v4, 24, v2
	s_delay_alu instid0(VALU_DEP_1)
	v_and_or_b32 v3, 0x80, v4, v3
	global_store_b8 v[0:1], v3, off
.LBB158_1097:
	s_mov_b32 s29, 0
	s_mov_b32 s28, -1
.LBB158_1098:
	s_and_not1_b32 vcc_lo, exec_lo, s29
	s_cbranch_vccnz .LBB158_1106
; %bb.1099:
	v_cmp_lt_i16_e32 vcc_lo, 14, v5
	s_mov_b32 s29, -1
	s_cbranch_vccz .LBB158_1103
; %bb.1100:
	v_cmp_eq_u16_e32 vcc_lo, 15, v5
	s_mov_b32 s0, -1
	s_cbranch_vccz .LBB158_1102
; %bb.1101:
	v_bfe_u32 v3, v2, 16, 1
	v_cmp_o_f32_e32 vcc_lo, v2, v2
	s_mov_b32 s28, -1
	s_mov_b32 s0, 0
	s_delay_alu instid0(VALU_DEP_2) | instskip(NEXT) | instid1(VALU_DEP_1)
	v_add3_u32 v3, v2, v3, 0x7fff
	v_lshrrev_b32_e32 v3, 16, v3
	s_delay_alu instid0(VALU_DEP_1)
	v_cndmask_b32_e32 v3, 0x7fc0, v3, vcc_lo
	global_store_b16 v[0:1], v3, off
.LBB158_1102:
	s_mov_b32 s29, 0
.LBB158_1103:
	s_delay_alu instid0(SALU_CYCLE_1)
	s_and_b32 vcc_lo, exec_lo, s29
	s_cbranch_vccz .LBB158_1106
; %bb.1104:
	v_cmp_eq_u16_e32 vcc_lo, 11, v5
	s_mov_b32 s0, -1
	s_cbranch_vccz .LBB158_1106
; %bb.1105:
	v_cmp_neq_f32_e32 vcc_lo, 0, v2
	s_mov_b32 s0, 0
	s_mov_b32 s28, -1
	v_cndmask_b32_e64 v3, 0, 1, vcc_lo
	global_store_b8 v[0:1], v3, off
.LBB158_1106:
	s_mov_b32 s29, 0
.LBB158_1107:
	s_delay_alu instid0(SALU_CYCLE_1)
	s_and_b32 vcc_lo, exec_lo, s29
	s_cbranch_vccz .LBB158_1146
; %bb.1108:
	v_cmp_gt_i16_e32 vcc_lo, 5, v5
	s_mov_b32 s28, -1
	s_cbranch_vccnz .LBB158_1129
; %bb.1109:
	v_cmp_gt_i16_e32 vcc_lo, 8, v5
	s_cbranch_vccnz .LBB158_1119
; %bb.1110:
	v_cmp_gt_i16_e32 vcc_lo, 9, v5
	s_cbranch_vccnz .LBB158_1116
; %bb.1111:
	v_cmp_lt_i16_e32 vcc_lo, 9, v5
	s_cbranch_vccz .LBB158_1113
; %bb.1112:
	v_cvt_f64_f32_e32 v[8:9], v2
	v_mov_b32_e32 v10, 0
	s_mov_b32 s28, 0
	s_delay_alu instid0(VALU_DEP_1)
	v_mov_b32_e32 v11, v10
	global_store_b128 v[0:1], v[8:11], off
.LBB158_1113:
	s_and_not1_b32 vcc_lo, exec_lo, s28
	s_cbranch_vccnz .LBB158_1115
; %bb.1114:
	v_mov_b32_e32 v3, 0
	global_store_b64 v[0:1], v[2:3], off
.LBB158_1115:
	s_mov_b32 s28, 0
.LBB158_1116:
	s_delay_alu instid0(SALU_CYCLE_1)
	s_and_not1_b32 vcc_lo, exec_lo, s28
	s_cbranch_vccnz .LBB158_1118
; %bb.1117:
	v_cvt_f16_f32_e32 v3, v2
	s_delay_alu instid0(VALU_DEP_1)
	v_and_b32_e32 v3, 0xffff, v3
	global_store_b32 v[0:1], v3, off
.LBB158_1118:
	s_mov_b32 s28, 0
.LBB158_1119:
	s_delay_alu instid0(SALU_CYCLE_1)
	s_and_not1_b32 vcc_lo, exec_lo, s28
	s_cbranch_vccnz .LBB158_1128
; %bb.1120:
	v_cmp_gt_i16_e32 vcc_lo, 6, v5
	s_mov_b32 s28, -1
	s_cbranch_vccnz .LBB158_1126
; %bb.1121:
	v_cmp_lt_i16_e32 vcc_lo, 6, v5
	s_cbranch_vccz .LBB158_1123
; %bb.1122:
	v_cvt_f64_f32_e32 v[3:4], v2
	s_mov_b32 s28, 0
	global_store_b64 v[0:1], v[3:4], off
.LBB158_1123:
	s_and_not1_b32 vcc_lo, exec_lo, s28
	s_cbranch_vccnz .LBB158_1125
; %bb.1124:
	global_store_b32 v[0:1], v2, off
.LBB158_1125:
	s_mov_b32 s28, 0
.LBB158_1126:
	s_delay_alu instid0(SALU_CYCLE_1)
	s_and_not1_b32 vcc_lo, exec_lo, s28
	s_cbranch_vccnz .LBB158_1128
; %bb.1127:
	v_cvt_f16_f32_e32 v3, v2
	global_store_b16 v[0:1], v3, off
.LBB158_1128:
	s_mov_b32 s28, 0
.LBB158_1129:
	s_delay_alu instid0(SALU_CYCLE_1)
	s_and_not1_b32 vcc_lo, exec_lo, s28
	s_cbranch_vccnz .LBB158_1145
; %bb.1130:
	v_cmp_gt_i16_e32 vcc_lo, 2, v5
	s_mov_b32 s28, -1
	s_cbranch_vccnz .LBB158_1140
; %bb.1131:
	v_cmp_gt_i16_e32 vcc_lo, 3, v5
	s_cbranch_vccnz .LBB158_1137
; %bb.1132:
	v_cmp_lt_i16_e32 vcc_lo, 3, v5
	s_cbranch_vccz .LBB158_1134
; %bb.1133:
	v_trunc_f32_e32 v3, v2
	s_mov_b32 s28, 0
	s_delay_alu instid0(VALU_DEP_1) | instskip(SKIP_1) | instid1(VALU_DEP_2)
	v_mul_f32_e64 v4, 0x2f800000, |v3|
	v_ashrrev_i32_e32 v8, 31, v3
	v_floor_f32_e32 v4, v4
	s_delay_alu instid0(VALU_DEP_1) | instskip(SKIP_1) | instid1(VALU_DEP_2)
	v_fma_f32 v6, 0xcf800000, v4, |v3|
	v_cvt_u32_f32_e32 v4, v4
	v_cvt_u32_f32_e32 v3, v6
	s_delay_alu instid0(VALU_DEP_2) | instskip(NEXT) | instid1(VALU_DEP_2)
	v_xor_b32_e32 v4, v4, v8
	v_xor_b32_e32 v3, v3, v8
	s_delay_alu instid0(VALU_DEP_1) | instskip(NEXT) | instid1(VALU_DEP_3)
	v_sub_co_u32 v3, vcc_lo, v3, v8
	v_sub_co_ci_u32_e32 v4, vcc_lo, v4, v8, vcc_lo
	global_store_b64 v[0:1], v[3:4], off
.LBB158_1134:
	s_and_not1_b32 vcc_lo, exec_lo, s28
	s_cbranch_vccnz .LBB158_1136
; %bb.1135:
	v_cvt_i32_f32_e32 v3, v2
	global_store_b32 v[0:1], v3, off
.LBB158_1136:
	s_mov_b32 s28, 0
.LBB158_1137:
	s_delay_alu instid0(SALU_CYCLE_1)
	s_and_not1_b32 vcc_lo, exec_lo, s28
	s_cbranch_vccnz .LBB158_1139
; %bb.1138:
	v_cvt_i32_f32_e32 v3, v2
	global_store_b16 v[0:1], v3, off
.LBB158_1139:
	s_mov_b32 s28, 0
.LBB158_1140:
	s_delay_alu instid0(SALU_CYCLE_1)
	s_and_not1_b32 vcc_lo, exec_lo, s28
	s_cbranch_vccnz .LBB158_1145
; %bb.1141:
	v_cmp_lt_i16_e32 vcc_lo, 0, v5
	s_mov_b32 s28, -1
	s_cbranch_vccz .LBB158_1143
; %bb.1142:
	v_cvt_i32_f32_e32 v3, v2
	s_mov_b32 s28, 0
	global_store_b8 v[0:1], v3, off
.LBB158_1143:
	s_and_not1_b32 vcc_lo, exec_lo, s28
	s_cbranch_vccnz .LBB158_1145
; %bb.1144:
	v_trunc_f32_e32 v2, v2
	s_delay_alu instid0(VALU_DEP_1) | instskip(NEXT) | instid1(VALU_DEP_1)
	v_mul_f32_e64 v3, 0x2f800000, |v2|
	v_floor_f32_e32 v3, v3
	s_delay_alu instid0(VALU_DEP_1) | instskip(SKIP_1) | instid1(VALU_DEP_2)
	v_fma_f32 v3, 0xcf800000, v3, |v2|
	v_ashrrev_i32_e32 v2, 31, v2
	v_cvt_u32_f32_e32 v3, v3
	s_delay_alu instid0(VALU_DEP_1) | instskip(NEXT) | instid1(VALU_DEP_1)
	v_xor_b32_e32 v3, v3, v2
	v_sub_nc_u32_e32 v2, v3, v2
	global_store_b8 v[0:1], v2, off
.LBB158_1145:
	s_mov_b32 s28, -1
.LBB158_1146:
	s_delay_alu instid0(SALU_CYCLE_1)
	s_and_not1_b32 vcc_lo, exec_lo, s28
	s_cbranch_vccnz .LBB158_1148
; %bb.1147:
	v_add_nc_u32_e32 v7, 0x80, v7
	s_mov_b32 s29, -1
	s_branch .LBB158_1150
.LBB158_1148:
	s_mov_b32 s29, 0
.LBB158_1149:
                                        ; implicit-def: $vgpr7
.LBB158_1150:
	s_and_not1_b32 s28, s22, exec_lo
	s_and_b32 s0, s0, exec_lo
	s_and_b32 s27, s27, exec_lo
	s_or_b32 s28, s28, s0
	s_and_not1_b32 s0, s23, exec_lo
	s_and_not1_b32 s30, s21, exec_lo
	s_and_b32 s26, s26, exec_lo
	s_or_b32 s27, s0, s27
	s_or_b32 s26, s30, s26
	s_or_not1_b32 s31, s29, exec_lo
.LBB158_1151:
	s_or_b32 exec_lo, exec_lo, s25
	s_mov_b32 s29, 0
	s_mov_b32 s30, 0
	;; [unrolled: 1-line block ×3, first 2 shown]
                                        ; implicit-def: $vgpr2
                                        ; implicit-def: $vgpr0_vgpr1
                                        ; implicit-def: $vgpr5
	s_and_saveexec_b32 s25, s31
	s_cbranch_execz .LBB158_1234
; %bb.1152:
	v_cmp_gt_i32_e32 vcc_lo, s17, v7
	s_mov_b32 s31, s26
	s_mov_b32 s33, 0
                                        ; implicit-def: $vgpr2
                                        ; implicit-def: $vgpr0_vgpr1
                                        ; implicit-def: $vgpr5
	s_and_saveexec_b32 s17, vcc_lo
	s_cbranch_execz .LBB158_1233
; %bb.1153:
	v_mul_lo_u32 v0, v7, s9
	s_waitcnt vmcnt(0)
	v_and_b32_e64 v2, 0xff, s14
	s_delay_alu instid0(VALU_DEP_1) | instskip(NEXT) | instid1(VALU_DEP_3)
	v_cmp_gt_i16_e32 vcc_lo, 11, v2
	v_ashrrev_i32_e32 v1, 31, v0
	v_add_co_u32 v0, s0, s6, v0
	s_delay_alu instid0(VALU_DEP_1)
	v_add_co_ci_u32_e64 v1, s0, s7, v1, s0
	s_cbranch_vccnz .LBB158_1160
; %bb.1154:
	v_cmp_lt_i16_e32 vcc_lo, 25, v2
	s_cbranch_vccz .LBB158_1161
; %bb.1155:
	v_cmp_lt_i16_e32 vcc_lo, 28, v2
	s_cbranch_vccz .LBB158_1162
	;; [unrolled: 3-line block ×4, first 2 shown]
; %bb.1158:
	v_cmp_eq_u16_e32 vcc_lo, 46, v2
	s_mov_b32 s31, 0
	s_cbranch_vccz .LBB158_1167
; %bb.1159:
	global_load_b32 v3, v[0:1], off
	s_mov_b32 s0, 0
	s_mov_b32 s30, -1
	s_waitcnt vmcnt(0)
	v_lshlrev_b32_e32 v5, 16, v3
	s_branch .LBB158_1169
.LBB158_1160:
	s_mov_b32 s31, -1
	s_mov_b32 s0, s26
                                        ; implicit-def: $vgpr5
	s_branch .LBB158_1232
.LBB158_1161:
	s_mov_b32 s31, -1
	s_mov_b32 s0, s26
                                        ; implicit-def: $vgpr5
	s_branch .LBB158_1198
.LBB158_1162:
	s_mov_b32 s31, -1
	s_mov_b32 s0, s26
                                        ; implicit-def: $vgpr5
	s_branch .LBB158_1179
.LBB158_1163:
	s_mov_b32 s31, -1
	s_mov_b32 s0, s26
                                        ; implicit-def: $vgpr5
	s_branch .LBB158_1174
.LBB158_1164:
	s_mov_b32 s31, -1
	s_mov_b32 s0, s26
	s_branch .LBB158_1168
.LBB158_1165:
	s_or_saveexec_b32 s30, s30
                                        ; implicit-def: $sgpr31
	s_delay_alu instid0(SALU_CYCLE_1)
	s_xor_b32 exec_lo, exec_lo, s30
	s_cbranch_execz .LBB158_1059
.LBB158_1166:
	v_add_f32_e64 v3, 0x46000000, |v2|
	s_and_not1_b32 s29, s29, exec_lo
	s_mov_b32 s31, 0
	s_delay_alu instid0(VALU_DEP_1) | instskip(NEXT) | instid1(VALU_DEP_1)
	v_and_b32_e32 v3, 0xff, v3
	v_cmp_ne_u32_e32 vcc_lo, 0, v3
	s_and_b32 s33, vcc_lo, exec_lo
	s_delay_alu instid0(SALU_CYCLE_1)
	s_or_b32 s29, s29, s33
	s_or_b32 exec_lo, exec_lo, s30
	v_mov_b32_e32 v4, s31
	s_and_saveexec_b32 s30, s29
	s_cbranch_execnz .LBB158_1060
	s_branch .LBB158_1061
.LBB158_1167:
	s_mov_b32 s0, -1
.LBB158_1168:
                                        ; implicit-def: $vgpr5
.LBB158_1169:
	s_and_b32 vcc_lo, exec_lo, s31
	s_cbranch_vccz .LBB158_1173
; %bb.1170:
	v_cmp_eq_u16_e32 vcc_lo, 44, v2
	s_cbranch_vccz .LBB158_1172
; %bb.1171:
	global_load_u8 v3, v[0:1], off
	s_mov_b32 s0, 0
	s_mov_b32 s30, -1
	s_waitcnt vmcnt(0)
	v_lshlrev_b32_e32 v4, 23, v3
	v_cmp_ne_u32_e32 vcc_lo, 0xff, v3
	s_delay_alu instid0(VALU_DEP_2) | instskip(SKIP_1) | instid1(VALU_DEP_2)
	v_cndmask_b32_e32 v4, 0x7f800001, v4, vcc_lo
	v_cmp_ne_u32_e32 vcc_lo, 0, v3
	v_cndmask_b32_e32 v5, 0x400000, v4, vcc_lo
	s_branch .LBB158_1173
.LBB158_1172:
	s_mov_b32 s0, -1
                                        ; implicit-def: $vgpr5
.LBB158_1173:
	s_mov_b32 s31, 0
.LBB158_1174:
	s_delay_alu instid0(SALU_CYCLE_1)
	s_and_b32 vcc_lo, exec_lo, s31
	s_cbranch_vccz .LBB158_1178
; %bb.1175:
	v_cmp_eq_u16_e32 vcc_lo, 29, v2
	s_cbranch_vccz .LBB158_1177
; %bb.1176:
	global_load_b64 v[3:4], v[0:1], off
	s_mov_b32 s0, 0
	s_mov_b32 s30, -1
	s_mov_b32 s31, 0
	s_waitcnt vmcnt(0)
	v_clz_i32_u32_e32 v5, v4
	s_delay_alu instid0(VALU_DEP_1) | instskip(NEXT) | instid1(VALU_DEP_1)
	v_min_u32_e32 v5, 32, v5
	v_lshlrev_b64 v[3:4], v5, v[3:4]
	s_delay_alu instid0(VALU_DEP_1) | instskip(NEXT) | instid1(VALU_DEP_1)
	v_min_u32_e32 v3, 1, v3
	v_or_b32_e32 v3, v4, v3
	v_sub_nc_u32_e32 v4, 32, v5
	s_delay_alu instid0(VALU_DEP_2) | instskip(NEXT) | instid1(VALU_DEP_1)
	v_cvt_f32_u32_e32 v3, v3
	v_ldexp_f32 v5, v3, v4
	s_branch .LBB158_1179
.LBB158_1177:
	s_mov_b32 s0, -1
                                        ; implicit-def: $vgpr5
.LBB158_1178:
	s_mov_b32 s31, 0
.LBB158_1179:
	s_delay_alu instid0(SALU_CYCLE_1)
	s_and_b32 vcc_lo, exec_lo, s31
	s_cbranch_vccz .LBB158_1197
; %bb.1180:
	v_cmp_gt_i16_e32 vcc_lo, 27, v2
	s_cbranch_vccnz .LBB158_1183
; %bb.1181:
	v_cmp_lt_i16_e32 vcc_lo, 27, v2
	s_cbranch_vccz .LBB158_1184
; %bb.1182:
	global_load_b32 v3, v[0:1], off
	s_mov_b32 s30, 0
	s_waitcnt vmcnt(0)
	v_cvt_f32_u32_e32 v5, v3
	s_branch .LBB158_1185
.LBB158_1183:
	s_mov_b32 s30, -1
                                        ; implicit-def: $vgpr5
	s_branch .LBB158_1188
.LBB158_1184:
	s_mov_b32 s30, -1
                                        ; implicit-def: $vgpr5
.LBB158_1185:
	s_delay_alu instid0(SALU_CYCLE_1)
	s_and_not1_b32 vcc_lo, exec_lo, s30
	s_cbranch_vccnz .LBB158_1187
; %bb.1186:
	global_load_u16 v3, v[0:1], off
	s_waitcnt vmcnt(0)
	v_cvt_f32_u32_e32 v5, v3
.LBB158_1187:
	s_mov_b32 s30, 0
.LBB158_1188:
	s_delay_alu instid0(SALU_CYCLE_1)
	s_and_not1_b32 vcc_lo, exec_lo, s30
	s_cbranch_vccnz .LBB158_1196
; %bb.1189:
	global_load_u8 v3, v[0:1], off
	s_mov_b32 s30, 0
	s_mov_b32 s33, exec_lo
                                        ; implicit-def: $sgpr31
	s_waitcnt vmcnt(0)
	v_cmpx_lt_i16_e32 0x7f, v3
	s_xor_b32 s33, exec_lo, s33
	s_cbranch_execz .LBB158_1210
; %bb.1190:
	s_mov_b32 s30, -1
	s_mov_b32 s34, exec_lo
                                        ; implicit-def: $sgpr31
	v_cmpx_eq_u16_e32 0x80, v3
; %bb.1191:
	s_mov_b32 s31, 0x7f800001
	s_xor_b32 s30, exec_lo, -1
; %bb.1192:
	s_or_b32 exec_lo, exec_lo, s34
	s_delay_alu instid0(SALU_CYCLE_1)
	s_and_b32 s30, s30, exec_lo
	s_or_saveexec_b32 s33, s33
	v_mov_b32_e32 v5, s31
	s_xor_b32 exec_lo, exec_lo, s33
	s_cbranch_execnz .LBB158_1211
.LBB158_1193:
	s_or_b32 exec_lo, exec_lo, s33
	s_and_saveexec_b32 s31, s30
	s_cbranch_execz .LBB158_1195
.LBB158_1194:
	v_and_b32_e32 v4, 0xffff, v3
	v_lshlrev_b32_e32 v3, 24, v3
	s_delay_alu instid0(VALU_DEP_2) | instskip(NEXT) | instid1(VALU_DEP_2)
	v_and_b32_e32 v5, 7, v4
	v_and_b32_e32 v3, 0x80000000, v3
	s_delay_alu instid0(VALU_DEP_2) | instskip(NEXT) | instid1(VALU_DEP_1)
	v_clz_i32_u32_e32 v6, v5
	v_min_u32_e32 v6, 32, v6
	s_delay_alu instid0(VALU_DEP_1) | instskip(SKIP_1) | instid1(VALU_DEP_2)
	v_subrev_nc_u32_e32 v8, 28, v6
	v_sub_nc_u32_e32 v6, 29, v6
	v_lshlrev_b32_e32 v8, v8, v4
	v_bfe_u32 v4, v4, 3, 4
	s_delay_alu instid0(VALU_DEP_2) | instskip(NEXT) | instid1(VALU_DEP_2)
	v_and_b32_e32 v8, 7, v8
	v_cmp_eq_u32_e32 vcc_lo, 0, v4
	s_delay_alu instid0(VALU_DEP_2) | instskip(NEXT) | instid1(VALU_DEP_1)
	v_dual_cndmask_b32 v4, v4, v6 :: v_dual_cndmask_b32 v5, v5, v8
	v_lshl_add_u32 v4, v4, 23, 0x3b800000
	s_delay_alu instid0(VALU_DEP_2) | instskip(NEXT) | instid1(VALU_DEP_1)
	v_lshlrev_b32_e32 v5, 20, v5
	v_or3_b32 v5, v3, v4, v5
.LBB158_1195:
	s_or_b32 exec_lo, exec_lo, s31
.LBB158_1196:
	s_mov_b32 s30, -1
.LBB158_1197:
	s_mov_b32 s31, 0
.LBB158_1198:
	s_delay_alu instid0(SALU_CYCLE_1)
	s_and_b32 vcc_lo, exec_lo, s31
	s_cbranch_vccz .LBB158_1231
; %bb.1199:
	v_cmp_lt_i16_e32 vcc_lo, 22, v2
	s_cbranch_vccz .LBB158_1209
; %bb.1200:
	v_cmp_gt_i16_e32 vcc_lo, 24, v2
	s_cbranch_vccnz .LBB158_1212
; %bb.1201:
	v_cmp_lt_i16_e32 vcc_lo, 24, v2
	s_cbranch_vccz .LBB158_1213
; %bb.1202:
	global_load_u8 v3, v[0:1], off
	s_mov_b32 s31, exec_lo
                                        ; implicit-def: $sgpr30
	s_waitcnt vmcnt(0)
	v_cmpx_lt_i16_e32 0x7f, v3
	s_xor_b32 s31, exec_lo, s31
	s_cbranch_execz .LBB158_1225
; %bb.1203:
	s_mov_b32 s29, -1
	s_mov_b32 s33, exec_lo
                                        ; implicit-def: $sgpr30
	v_cmpx_eq_u16_e32 0x80, v3
; %bb.1204:
	s_mov_b32 s30, 0x7f800001
	s_xor_b32 s29, exec_lo, -1
; %bb.1205:
	s_or_b32 exec_lo, exec_lo, s33
	s_delay_alu instid0(SALU_CYCLE_1)
	s_and_b32 s29, s29, exec_lo
	s_or_saveexec_b32 s31, s31
	v_mov_b32_e32 v5, s30
	s_xor_b32 exec_lo, exec_lo, s31
	s_cbranch_execnz .LBB158_1226
.LBB158_1206:
	s_or_b32 exec_lo, exec_lo, s31
	s_and_saveexec_b32 s30, s29
	s_cbranch_execz .LBB158_1208
.LBB158_1207:
	v_and_b32_e32 v4, 0xffff, v3
	v_lshlrev_b32_e32 v3, 24, v3
	s_delay_alu instid0(VALU_DEP_2) | instskip(NEXT) | instid1(VALU_DEP_2)
	v_and_b32_e32 v5, 3, v4
	v_and_b32_e32 v3, 0x80000000, v3
	s_delay_alu instid0(VALU_DEP_2) | instskip(NEXT) | instid1(VALU_DEP_1)
	v_clz_i32_u32_e32 v6, v5
	v_min_u32_e32 v6, 32, v6
	s_delay_alu instid0(VALU_DEP_1) | instskip(SKIP_1) | instid1(VALU_DEP_2)
	v_subrev_nc_u32_e32 v8, 29, v6
	v_sub_nc_u32_e32 v6, 30, v6
	v_lshlrev_b32_e32 v8, v8, v4
	v_bfe_u32 v4, v4, 2, 5
	s_delay_alu instid0(VALU_DEP_2) | instskip(NEXT) | instid1(VALU_DEP_2)
	v_and_b32_e32 v8, 3, v8
	v_cmp_eq_u32_e32 vcc_lo, 0, v4
	s_delay_alu instid0(VALU_DEP_2) | instskip(NEXT) | instid1(VALU_DEP_1)
	v_dual_cndmask_b32 v4, v4, v6 :: v_dual_cndmask_b32 v5, v5, v8
	v_lshl_add_u32 v4, v4, 23, 0x37800000
	s_delay_alu instid0(VALU_DEP_2) | instskip(NEXT) | instid1(VALU_DEP_1)
	v_lshlrev_b32_e32 v5, 21, v5
	v_or3_b32 v5, v3, v4, v5
.LBB158_1208:
	s_or_b32 exec_lo, exec_lo, s30
	s_mov_b32 s29, 0
	s_branch .LBB158_1214
.LBB158_1209:
	s_mov_b32 s29, -1
                                        ; implicit-def: $vgpr5
	s_branch .LBB158_1220
.LBB158_1210:
	s_or_saveexec_b32 s33, s33
	v_mov_b32_e32 v5, s31
	s_xor_b32 exec_lo, exec_lo, s33
	s_cbranch_execz .LBB158_1193
.LBB158_1211:
	v_cmp_ne_u16_e32 vcc_lo, 0, v3
	v_mov_b32_e32 v5, 0
	s_and_not1_b32 s30, s30, exec_lo
	s_and_b32 s31, vcc_lo, exec_lo
	s_delay_alu instid0(SALU_CYCLE_1)
	s_or_b32 s30, s30, s31
	s_or_b32 exec_lo, exec_lo, s33
	s_and_saveexec_b32 s31, s30
	s_cbranch_execnz .LBB158_1194
	s_branch .LBB158_1195
.LBB158_1212:
	s_mov_b32 s29, -1
                                        ; implicit-def: $vgpr5
	s_branch .LBB158_1217
.LBB158_1213:
	s_mov_b32 s29, -1
                                        ; implicit-def: $vgpr5
.LBB158_1214:
	s_delay_alu instid0(SALU_CYCLE_1)
	s_and_b32 vcc_lo, exec_lo, s29
	s_cbranch_vccz .LBB158_1216
; %bb.1215:
	global_load_u8 v3, v[0:1], off
	s_waitcnt vmcnt(0)
	v_lshlrev_b32_e32 v3, 24, v3
	s_delay_alu instid0(VALU_DEP_1) | instskip(NEXT) | instid1(VALU_DEP_1)
	v_and_b32_e32 v4, 0x7f000000, v3
	v_clz_i32_u32_e32 v5, v4
	v_add_nc_u32_e32 v8, 0x1000000, v4
	v_cmp_ne_u32_e32 vcc_lo, 0, v4
	s_delay_alu instid0(VALU_DEP_3) | instskip(NEXT) | instid1(VALU_DEP_1)
	v_min_u32_e32 v5, 32, v5
	v_sub_nc_u32_e64 v5, v5, 4 clamp
	s_delay_alu instid0(VALU_DEP_1) | instskip(SKIP_1) | instid1(VALU_DEP_2)
	v_lshlrev_b32_e32 v6, v5, v4
	v_lshlrev_b32_e32 v5, 23, v5
	v_lshrrev_b32_e32 v6, 4, v6
	s_delay_alu instid0(VALU_DEP_1) | instskip(SKIP_1) | instid1(VALU_DEP_2)
	v_sub_nc_u32_e32 v5, v6, v5
	v_ashrrev_i32_e32 v6, 8, v8
	v_add_nc_u32_e32 v5, 0x3c000000, v5
	s_delay_alu instid0(VALU_DEP_1) | instskip(NEXT) | instid1(VALU_DEP_1)
	v_and_or_b32 v5, 0x7f800000, v6, v5
	v_cndmask_b32_e32 v4, 0, v5, vcc_lo
	s_delay_alu instid0(VALU_DEP_1)
	v_and_or_b32 v5, 0x80000000, v3, v4
.LBB158_1216:
	s_mov_b32 s29, 0
.LBB158_1217:
	s_delay_alu instid0(SALU_CYCLE_1)
	s_and_not1_b32 vcc_lo, exec_lo, s29
	s_cbranch_vccnz .LBB158_1219
; %bb.1218:
	global_load_u8 v3, v[0:1], off
	s_waitcnt vmcnt(0)
	v_lshlrev_b32_e32 v4, 25, v3
	v_lshlrev_b16 v3, 8, v3
	s_delay_alu instid0(VALU_DEP_2) | instskip(NEXT) | instid1(VALU_DEP_2)
	v_lshrrev_b32_e32 v5, 4, v4
	v_and_or_b32 v6, 0x7f00, v3, 0.5
	v_bfe_i32 v3, v3, 0, 16
	s_delay_alu instid0(VALU_DEP_3) | instskip(NEXT) | instid1(VALU_DEP_1)
	v_or_b32_e32 v5, 0x70000000, v5
	v_dual_add_f32 v6, -0.5, v6 :: v_dual_mul_f32 v5, 0x7800000, v5
	v_cmp_gt_u32_e32 vcc_lo, 0x8000000, v4
	s_delay_alu instid0(VALU_DEP_2) | instskip(NEXT) | instid1(VALU_DEP_1)
	v_cndmask_b32_e32 v4, v5, v6, vcc_lo
	v_and_or_b32 v5, 0x80000000, v3, v4
.LBB158_1219:
	s_mov_b32 s29, 0
	s_mov_b32 s30, -1
.LBB158_1220:
	s_and_not1_b32 vcc_lo, exec_lo, s29
	s_mov_b32 s29, 0
	s_cbranch_vccnz .LBB158_1231
; %bb.1221:
	v_cmp_lt_i16_e32 vcc_lo, 14, v2
	s_cbranch_vccz .LBB158_1224
; %bb.1222:
	v_cmp_eq_u16_e32 vcc_lo, 15, v2
	s_cbranch_vccz .LBB158_1227
; %bb.1223:
	global_load_u16 v3, v[0:1], off
	s_mov_b32 s0, 0
	s_mov_b32 s30, -1
	s_waitcnt vmcnt(0)
	v_lshlrev_b32_e32 v5, 16, v3
	s_branch .LBB158_1229
.LBB158_1224:
	s_mov_b32 s29, -1
	s_branch .LBB158_1228
.LBB158_1225:
	s_or_saveexec_b32 s31, s31
	v_mov_b32_e32 v5, s30
	s_xor_b32 exec_lo, exec_lo, s31
	s_cbranch_execz .LBB158_1206
.LBB158_1226:
	v_cmp_ne_u16_e32 vcc_lo, 0, v3
	v_mov_b32_e32 v5, 0
	s_and_not1_b32 s29, s29, exec_lo
	s_and_b32 s30, vcc_lo, exec_lo
	s_delay_alu instid0(SALU_CYCLE_1)
	s_or_b32 s29, s29, s30
	s_or_b32 exec_lo, exec_lo, s31
	s_and_saveexec_b32 s30, s29
	s_cbranch_execnz .LBB158_1207
	s_branch .LBB158_1208
.LBB158_1227:
	s_mov_b32 s0, -1
.LBB158_1228:
                                        ; implicit-def: $vgpr5
.LBB158_1229:
	s_and_b32 vcc_lo, exec_lo, s29
	s_mov_b32 s29, 0
	s_cbranch_vccz .LBB158_1231
; %bb.1230:
	v_cmp_ne_u16_e32 vcc_lo, 11, v2
	s_and_not1_b32 s0, s0, exec_lo
	s_mov_b32 s29, -1
                                        ; implicit-def: $vgpr5
	s_and_b32 s31, vcc_lo, exec_lo
	s_delay_alu instid0(SALU_CYCLE_1)
	s_or_b32 s0, s0, s31
.LBB158_1231:
	s_mov_b32 s31, 0
.LBB158_1232:
	s_and_b32 s33, s30, exec_lo
	s_and_b32 s30, s31, exec_lo
	s_and_not1_b32 s31, s26, exec_lo
	s_and_b32 s0, s0, exec_lo
	s_and_b32 s29, s29, exec_lo
	s_or_b32 s31, s31, s0
.LBB158_1233:
	s_or_b32 exec_lo, exec_lo, s17
	s_delay_alu instid0(SALU_CYCLE_1)
	s_and_not1_b32 s17, s26, exec_lo
	s_and_b32 s26, s31, exec_lo
	s_and_b32 s0, s33, exec_lo
	;; [unrolled: 1-line block ×4, first 2 shown]
	s_or_b32 s26, s17, s26
.LBB158_1234:
	s_or_b32 exec_lo, exec_lo, s25
	s_delay_alu instid0(SALU_CYCLE_1)
	s_and_not1_b32 s17, s22, exec_lo
	s_and_b32 s22, s28, exec_lo
	s_and_not1_b32 s23, s23, exec_lo
	s_and_b32 s25, s27, exec_lo
	s_or_b32 s22, s17, s22
	s_and_not1_b32 s17, s21, exec_lo
	s_and_b32 s21, s26, exec_lo
	s_or_b32 s23, s23, s25
	s_and_b32 s0, s0, exec_lo
	s_and_b32 s27, s30, exec_lo
	;; [unrolled: 1-line block ×3, first 2 shown]
	s_or_b32 s21, s17, s21
.LBB158_1235:
	s_or_b32 exec_lo, exec_lo, s24
	s_delay_alu instid0(SALU_CYCLE_1)
	s_and_not1_b32 s16, s16, exec_lo
	s_and_b32 s17, s22, exec_lo
	s_and_not1_b32 s18, s18, exec_lo
	s_and_b32 s22, s23, exec_lo
	s_or_b32 s16, s16, s17
	s_and_not1_b32 s17, s19, exec_lo
	s_and_b32 s19, s21, exec_lo
	s_or_b32 s18, s18, s22
	s_and_b32 s0, s0, exec_lo
	s_and_b32 s22, s27, exec_lo
	;; [unrolled: 1-line block ×3, first 2 shown]
	s_or_b32 s19, s17, s19
.LBB158_1236:
	s_or_b32 exec_lo, exec_lo, s20
	s_mov_b32 s17, 0
	s_and_saveexec_b32 s20, s19
	s_cbranch_execnz .LBB158_1248
; %bb.1237:
	s_or_b32 exec_lo, exec_lo, s20
	s_and_saveexec_b32 s19, s21
	s_delay_alu instid0(SALU_CYCLE_1)
	s_xor_b32 s19, exec_lo, s19
	s_cbranch_execz .LBB158_1239
.LBB158_1238:
	global_load_u8 v3, v[0:1], off
	s_or_b32 s0, s0, exec_lo
	s_waitcnt vmcnt(0)
	v_cmp_ne_u16_e32 vcc_lo, 0, v3
	v_cndmask_b32_e64 v5, 0, 1.0, vcc_lo
.LBB158_1239:
	s_or_b32 exec_lo, exec_lo, s19
	s_and_saveexec_b32 s19, s22
	s_cbranch_execz .LBB158_1287
; %bb.1240:
	s_waitcnt vmcnt(0)
	v_cmp_gt_i16_e32 vcc_lo, 5, v2
	s_cbranch_vccnz .LBB158_1245
; %bb.1241:
	v_cmp_gt_i16_e32 vcc_lo, 8, v2
	s_cbranch_vccnz .LBB158_1246
; %bb.1242:
	;; [unrolled: 3-line block ×3, first 2 shown]
	v_cmp_lt_i16_e32 vcc_lo, 9, v2
	s_cbranch_vccz .LBB158_1250
; %bb.1244:
	global_load_b64 v[3:4], v[0:1], off
	s_mov_b32 s20, 0
	s_waitcnt vmcnt(0)
	v_cvt_f32_f64_e32 v5, v[3:4]
	s_branch .LBB158_1251
.LBB158_1245:
                                        ; implicit-def: $vgpr5
	s_branch .LBB158_1268
.LBB158_1246:
                                        ; implicit-def: $vgpr5
	s_branch .LBB158_1257
.LBB158_1247:
	s_mov_b32 s20, -1
                                        ; implicit-def: $vgpr5
	s_branch .LBB158_1254
.LBB158_1248:
	s_cbranch_execnz .LBB158_1299
; %bb.1249:
	s_mov_b32 s17, exec_lo
	s_and_not1_b32 s21, s21, exec_lo
                                        ; implicit-def: $vgpr5
	s_or_b32 exec_lo, exec_lo, s20
	s_and_saveexec_b32 s19, s21
	s_delay_alu instid0(SALU_CYCLE_1)
	s_xor_b32 s19, exec_lo, s19
	s_cbranch_execnz .LBB158_1238
	s_branch .LBB158_1239
.LBB158_1250:
	s_mov_b32 s20, -1
                                        ; implicit-def: $vgpr5
.LBB158_1251:
	s_delay_alu instid0(SALU_CYCLE_1)
	s_and_not1_b32 vcc_lo, exec_lo, s20
	s_cbranch_vccnz .LBB158_1253
; %bb.1252:
	global_load_b32 v5, v[0:1], off
.LBB158_1253:
	s_mov_b32 s20, 0
.LBB158_1254:
	s_delay_alu instid0(SALU_CYCLE_1)
	s_and_not1_b32 vcc_lo, exec_lo, s20
	s_cbranch_vccnz .LBB158_1256
; %bb.1255:
	global_load_b32 v3, v[0:1], off
	s_waitcnt vmcnt(0)
	v_cvt_f32_f16_e32 v5, v3
.LBB158_1256:
	s_cbranch_execnz .LBB158_1267
.LBB158_1257:
	v_cmp_gt_i16_e32 vcc_lo, 6, v2
	s_cbranch_vccnz .LBB158_1260
; %bb.1258:
	v_cmp_lt_i16_e32 vcc_lo, 6, v2
	s_cbranch_vccz .LBB158_1261
; %bb.1259:
	global_load_b64 v[3:4], v[0:1], off
	s_mov_b32 s20, 0
	s_waitcnt vmcnt(0)
	v_cvt_f32_f64_e32 v5, v[3:4]
	s_branch .LBB158_1262
.LBB158_1260:
	s_mov_b32 s20, -1
                                        ; implicit-def: $vgpr5
	s_branch .LBB158_1265
.LBB158_1261:
	s_mov_b32 s20, -1
                                        ; implicit-def: $vgpr5
.LBB158_1262:
	s_delay_alu instid0(SALU_CYCLE_1)
	s_and_not1_b32 vcc_lo, exec_lo, s20
	s_cbranch_vccnz .LBB158_1264
; %bb.1263:
	global_load_b32 v5, v[0:1], off
.LBB158_1264:
	s_mov_b32 s20, 0
.LBB158_1265:
	s_delay_alu instid0(SALU_CYCLE_1)
	s_and_not1_b32 vcc_lo, exec_lo, s20
	s_cbranch_vccnz .LBB158_1267
; %bb.1266:
	global_load_u16 v3, v[0:1], off
	s_waitcnt vmcnt(0)
	v_cvt_f32_f16_e32 v5, v3
.LBB158_1267:
	s_cbranch_execnz .LBB158_1286
.LBB158_1268:
	v_cmp_gt_i16_e32 vcc_lo, 2, v2
	s_cbranch_vccnz .LBB158_1272
; %bb.1269:
	v_cmp_gt_i16_e32 vcc_lo, 3, v2
	s_cbranch_vccnz .LBB158_1273
; %bb.1270:
	v_cmp_lt_i16_e32 vcc_lo, 3, v2
	s_cbranch_vccz .LBB158_1274
; %bb.1271:
	global_load_b64 v[3:4], v[0:1], off
	s_mov_b32 s20, 0
	s_waitcnt vmcnt(0)
	v_xor_b32_e32 v5, v3, v4
	v_cls_i32_e32 v6, v4
	s_delay_alu instid0(VALU_DEP_2) | instskip(NEXT) | instid1(VALU_DEP_2)
	v_ashrrev_i32_e32 v5, 31, v5
	v_add_nc_u32_e32 v6, -1, v6
	s_delay_alu instid0(VALU_DEP_2) | instskip(NEXT) | instid1(VALU_DEP_1)
	v_add_nc_u32_e32 v5, 32, v5
	v_min_u32_e32 v5, v6, v5
	s_delay_alu instid0(VALU_DEP_1) | instskip(NEXT) | instid1(VALU_DEP_1)
	v_lshlrev_b64 v[3:4], v5, v[3:4]
	v_min_u32_e32 v3, 1, v3
	s_delay_alu instid0(VALU_DEP_1) | instskip(SKIP_1) | instid1(VALU_DEP_2)
	v_or_b32_e32 v3, v4, v3
	v_sub_nc_u32_e32 v4, 32, v5
	v_cvt_f32_i32_e32 v3, v3
	s_delay_alu instid0(VALU_DEP_1)
	v_ldexp_f32 v5, v3, v4
	s_branch .LBB158_1275
.LBB158_1272:
                                        ; implicit-def: $vgpr5
	s_branch .LBB158_1281
.LBB158_1273:
	s_mov_b32 s20, -1
                                        ; implicit-def: $vgpr5
	s_branch .LBB158_1278
.LBB158_1274:
	s_mov_b32 s20, -1
                                        ; implicit-def: $vgpr5
.LBB158_1275:
	s_delay_alu instid0(SALU_CYCLE_1)
	s_and_not1_b32 vcc_lo, exec_lo, s20
	s_cbranch_vccnz .LBB158_1277
; %bb.1276:
	global_load_b32 v3, v[0:1], off
	s_waitcnt vmcnt(0)
	v_cvt_f32_i32_e32 v5, v3
.LBB158_1277:
	s_mov_b32 s20, 0
.LBB158_1278:
	s_delay_alu instid0(SALU_CYCLE_1)
	s_and_not1_b32 vcc_lo, exec_lo, s20
	s_cbranch_vccnz .LBB158_1280
; %bb.1279:
	global_load_i16 v3, v[0:1], off
	s_waitcnt vmcnt(0)
	v_cvt_f32_i32_e32 v5, v3
.LBB158_1280:
	s_cbranch_execnz .LBB158_1286
.LBB158_1281:
	v_cmp_lt_i16_e32 vcc_lo, 0, v2
	s_mov_b32 s20, 0
	s_cbranch_vccz .LBB158_1283
; %bb.1282:
	global_load_i8 v2, v[0:1], off
	s_waitcnt vmcnt(0)
	v_cvt_f32_i32_e32 v5, v2
	s_branch .LBB158_1284
.LBB158_1283:
	s_mov_b32 s20, -1
                                        ; implicit-def: $vgpr5
.LBB158_1284:
	s_delay_alu instid0(SALU_CYCLE_1)
	s_and_not1_b32 vcc_lo, exec_lo, s20
	s_cbranch_vccnz .LBB158_1286
; %bb.1285:
	global_load_u8 v0, v[0:1], off
	s_waitcnt vmcnt(0)
	v_cvt_f32_ubyte0_e32 v5, v0
.LBB158_1286:
	s_or_b32 s0, s0, exec_lo
.LBB158_1287:
	s_or_b32 exec_lo, exec_lo, s19
	s_mov_b32 s21, 0
	s_mov_b32 s22, 0
	;; [unrolled: 1-line block ×3, first 2 shown]
                                        ; implicit-def: $vgpr2
                                        ; implicit-def: $vgpr0_vgpr1
                                        ; implicit-def: $vgpr3
	s_and_saveexec_b32 s19, s0
	s_cbranch_execz .LBB158_1363
; %bb.1288:
	v_mul_lo_u32 v0, v7, s10
	s_waitcnt vmcnt(0)
	v_and_b32_e64 v2, 0xff, s1
	s_delay_alu instid0(VALU_DEP_1) | instskip(NEXT) | instid1(VALU_DEP_3)
	v_cmp_gt_i16_e32 vcc_lo, 11, v2
	v_ashrrev_i32_e32 v1, 31, v0
	v_add_co_u32 v0, s0, s2, v0
	s_delay_alu instid0(VALU_DEP_1)
	v_add_co_ci_u32_e64 v1, s0, s3, v1, s0
	s_cbranch_vccnz .LBB158_1295
; %bb.1289:
	v_cmp_lt_i16_e32 vcc_lo, 25, v2
	s_cbranch_vccz .LBB158_1296
; %bb.1290:
	v_cmp_lt_i16_e32 vcc_lo, 28, v2
	s_cbranch_vccz .LBB158_1297
	;; [unrolled: 3-line block ×4, first 2 shown]
; %bb.1293:
	v_cmp_eq_u16_e32 vcc_lo, 46, v2
	s_cbranch_vccz .LBB158_1302
; %bb.1294:
	global_load_b32 v3, v[0:1], off
	s_mov_b32 s0, 0
	s_mov_b32 s20, -1
	s_waitcnt vmcnt(0)
	v_lshlrev_b32_e32 v3, 16, v3
	s_delay_alu instid0(VALU_DEP_1) | instskip(NEXT) | instid1(VALU_DEP_1)
	v_trunc_f32_e32 v3, v3
	v_mul_f32_e64 v4, 0x2f800000, |v3|
	s_delay_alu instid0(VALU_DEP_1) | instskip(NEXT) | instid1(VALU_DEP_1)
	v_floor_f32_e32 v4, v4
	v_fma_f32 v4, 0xcf800000, v4, |v3|
	v_ashrrev_i32_e32 v3, 31, v3
	s_delay_alu instid0(VALU_DEP_2) | instskip(NEXT) | instid1(VALU_DEP_1)
	v_cvt_u32_f32_e32 v4, v4
	v_xor_b32_e32 v4, v4, v3
	s_delay_alu instid0(VALU_DEP_1)
	v_sub_nc_u32_e32 v3, v4, v3
	s_branch .LBB158_1304
.LBB158_1295:
	s_mov_b32 s22, -1
	s_mov_b32 s0, s18
                                        ; implicit-def: $vgpr3
	s_branch .LBB158_1362
.LBB158_1296:
	s_mov_b32 s0, s18
                                        ; implicit-def: $vgpr3
	s_cbranch_execnz .LBB158_1331
	s_branch .LBB158_1361
.LBB158_1297:
	s_mov_b32 s22, -1
	s_mov_b32 s0, s18
                                        ; implicit-def: $vgpr3
	s_branch .LBB158_1314
.LBB158_1298:
	s_mov_b32 s22, -1
	s_mov_b32 s0, s18
                                        ; implicit-def: $vgpr3
	s_branch .LBB158_1309
.LBB158_1299:
	s_trap 2
	s_sendmsg_rtn_b32 s0, sendmsg(MSG_RTN_GET_DOORBELL)
	s_mov_b32 ttmp2, m0
	s_waitcnt lgkmcnt(0)
	s_and_b32 s0, s0, 0x3ff
	s_delay_alu instid0(SALU_CYCLE_1) | instskip(NEXT) | instid1(SALU_CYCLE_1)
	s_bitset1_b32 s0, 10
	s_mov_b32 m0, s0
	s_sendmsg sendmsg(MSG_INTERRUPT)
	s_mov_b32 m0, ttmp2
.LBB158_1300:                           ; =>This Inner Loop Header: Depth=1
	s_sethalt 5
	s_branch .LBB158_1300
.LBB158_1301:
	s_mov_b32 s22, -1
	s_mov_b32 s0, s18
	s_branch .LBB158_1303
.LBB158_1302:
	s_mov_b32 s0, -1
.LBB158_1303:
                                        ; implicit-def: $vgpr3
.LBB158_1304:
	s_and_b32 vcc_lo, exec_lo, s22
	s_cbranch_vccz .LBB158_1308
; %bb.1305:
	v_cmp_eq_u16_e32 vcc_lo, 44, v2
	s_cbranch_vccz .LBB158_1307
; %bb.1306:
	global_load_u8 v3, v[0:1], off
	s_mov_b32 s0, 0
	s_mov_b32 s20, -1
	s_waitcnt vmcnt(0)
	v_lshlrev_b32_e32 v4, 23, v3
	v_cmp_ne_u32_e32 vcc_lo, 0, v3
	s_delay_alu instid0(VALU_DEP_2) | instskip(NEXT) | instid1(VALU_DEP_1)
	v_trunc_f32_e32 v4, v4
	v_mul_f32_e64 v6, 0x2f800000, |v4|
	s_delay_alu instid0(VALU_DEP_1) | instskip(NEXT) | instid1(VALU_DEP_1)
	v_floor_f32_e32 v6, v6
	v_fma_f32 v6, 0xcf800000, v6, |v4|
	v_ashrrev_i32_e32 v4, 31, v4
	s_delay_alu instid0(VALU_DEP_2) | instskip(NEXT) | instid1(VALU_DEP_1)
	v_cvt_u32_f32_e32 v6, v6
	v_xor_b32_e32 v6, v6, v4
	s_delay_alu instid0(VALU_DEP_1) | instskip(NEXT) | instid1(VALU_DEP_1)
	v_sub_nc_u32_e32 v4, v6, v4
	v_cndmask_b32_e32 v3, 0, v4, vcc_lo
	s_branch .LBB158_1308
.LBB158_1307:
	s_mov_b32 s0, -1
                                        ; implicit-def: $vgpr3
.LBB158_1308:
	s_mov_b32 s22, 0
.LBB158_1309:
	s_delay_alu instid0(SALU_CYCLE_1)
	s_and_b32 vcc_lo, exec_lo, s22
	s_cbranch_vccz .LBB158_1313
; %bb.1310:
	v_cmp_eq_u16_e32 vcc_lo, 29, v2
	s_cbranch_vccz .LBB158_1312
; %bb.1311:
	global_load_b64 v[3:4], v[0:1], off
	s_mov_b32 s0, 0
	s_mov_b32 s20, -1
	s_branch .LBB158_1313
.LBB158_1312:
	s_mov_b32 s0, -1
                                        ; implicit-def: $vgpr3
.LBB158_1313:
	s_mov_b32 s22, 0
.LBB158_1314:
	s_delay_alu instid0(SALU_CYCLE_1)
	s_and_b32 vcc_lo, exec_lo, s22
	s_cbranch_vccz .LBB158_1330
; %bb.1315:
	v_cmp_gt_i16_e32 vcc_lo, 27, v2
	s_cbranch_vccnz .LBB158_1318
; %bb.1316:
	v_cmp_lt_i16_e32 vcc_lo, 27, v2
	s_cbranch_vccz .LBB158_1319
; %bb.1317:
	global_load_b32 v3, v[0:1], off
	s_mov_b32 s20, 0
	s_branch .LBB158_1320
.LBB158_1318:
	s_mov_b32 s20, -1
                                        ; implicit-def: $vgpr3
	s_branch .LBB158_1323
.LBB158_1319:
	s_mov_b32 s20, -1
                                        ; implicit-def: $vgpr3
.LBB158_1320:
	s_delay_alu instid0(SALU_CYCLE_1)
	s_and_not1_b32 vcc_lo, exec_lo, s20
	s_cbranch_vccnz .LBB158_1322
; %bb.1321:
	global_load_u16 v3, v[0:1], off
.LBB158_1322:
	s_mov_b32 s20, 0
.LBB158_1323:
	s_delay_alu instid0(SALU_CYCLE_1)
	s_and_not1_b32 vcc_lo, exec_lo, s20
	s_cbranch_vccnz .LBB158_1329
; %bb.1324:
	global_load_u8 v4, v[0:1], off
	s_mov_b32 s22, 0
	s_mov_b32 s20, exec_lo
                                        ; implicit-def: $sgpr23
	s_waitcnt vmcnt(0)
	v_cmpx_lt_i16_e32 0x7f, v4
	s_xor_b32 s20, exec_lo, s20
	s_cbranch_execz .LBB158_1340
; %bb.1325:
	v_cmp_ne_u16_e32 vcc_lo, 0x80, v4
	s_mov_b32 s23, 0
	s_and_b32 s22, vcc_lo, exec_lo
	s_or_saveexec_b32 s20, s20
	v_mov_b32_e32 v3, s23
	s_xor_b32 exec_lo, exec_lo, s20
	s_cbranch_execnz .LBB158_1341
.LBB158_1326:
	s_or_b32 exec_lo, exec_lo, s20
	s_and_saveexec_b32 s20, s22
	s_cbranch_execz .LBB158_1328
.LBB158_1327:
	v_and_b32_e32 v3, 0xffff, v4
	v_lshlrev_b32_e32 v4, 24, v4
	s_delay_alu instid0(VALU_DEP_2) | instskip(NEXT) | instid1(VALU_DEP_2)
	v_and_b32_e32 v6, 7, v3
	v_and_b32_e32 v4, 0x80000000, v4
	s_delay_alu instid0(VALU_DEP_2) | instskip(NEXT) | instid1(VALU_DEP_1)
	v_clz_i32_u32_e32 v8, v6
	v_min_u32_e32 v8, 32, v8
	s_delay_alu instid0(VALU_DEP_1) | instskip(SKIP_1) | instid1(VALU_DEP_2)
	v_subrev_nc_u32_e32 v9, 28, v8
	v_sub_nc_u32_e32 v8, 29, v8
	v_lshlrev_b32_e32 v9, v9, v3
	v_bfe_u32 v3, v3, 3, 4
	s_delay_alu instid0(VALU_DEP_2) | instskip(NEXT) | instid1(VALU_DEP_2)
	v_and_b32_e32 v9, 7, v9
	v_cmp_eq_u32_e32 vcc_lo, 0, v3
	s_delay_alu instid0(VALU_DEP_2) | instskip(NEXT) | instid1(VALU_DEP_1)
	v_dual_cndmask_b32 v3, v3, v8 :: v_dual_cndmask_b32 v6, v6, v9
	v_lshl_add_u32 v3, v3, 23, 0x3b800000
	s_delay_alu instid0(VALU_DEP_2) | instskip(NEXT) | instid1(VALU_DEP_1)
	v_lshlrev_b32_e32 v6, 20, v6
	v_or3_b32 v3, v4, v3, v6
	s_delay_alu instid0(VALU_DEP_1) | instskip(NEXT) | instid1(VALU_DEP_1)
	v_trunc_f32_e32 v3, v3
	v_mul_f32_e64 v4, 0x2f800000, |v3|
	s_delay_alu instid0(VALU_DEP_1) | instskip(NEXT) | instid1(VALU_DEP_1)
	v_floor_f32_e32 v4, v4
	v_fma_f32 v4, 0xcf800000, v4, |v3|
	v_ashrrev_i32_e32 v3, 31, v3
	s_delay_alu instid0(VALU_DEP_2) | instskip(NEXT) | instid1(VALU_DEP_1)
	v_cvt_u32_f32_e32 v4, v4
	v_xor_b32_e32 v4, v4, v3
	s_delay_alu instid0(VALU_DEP_1)
	v_sub_nc_u32_e32 v3, v4, v3
.LBB158_1328:
	s_or_b32 exec_lo, exec_lo, s20
.LBB158_1329:
	s_mov_b32 s20, -1
.LBB158_1330:
	s_branch .LBB158_1361
.LBB158_1331:
	v_cmp_lt_i16_e32 vcc_lo, 22, v2
	s_cbranch_vccz .LBB158_1339
; %bb.1332:
	v_cmp_gt_i16_e32 vcc_lo, 24, v2
	s_cbranch_vccnz .LBB158_1342
; %bb.1333:
	v_cmp_lt_i16_e32 vcc_lo, 24, v2
	s_cbranch_vccz .LBB158_1343
; %bb.1334:
	global_load_u8 v4, v[0:1], off
	s_mov_b32 s20, exec_lo
                                        ; implicit-def: $sgpr22
	s_waitcnt vmcnt(0)
	v_cmpx_lt_i16_e32 0x7f, v4
	s_xor_b32 s20, exec_lo, s20
	s_cbranch_execz .LBB158_1355
; %bb.1335:
	v_cmp_ne_u16_e32 vcc_lo, 0x80, v4
	s_mov_b32 s22, 0
	s_and_b32 s21, vcc_lo, exec_lo
	s_or_saveexec_b32 s20, s20
	v_mov_b32_e32 v3, s22
	s_xor_b32 exec_lo, exec_lo, s20
	s_cbranch_execnz .LBB158_1356
.LBB158_1336:
	s_or_b32 exec_lo, exec_lo, s20
	s_and_saveexec_b32 s20, s21
	s_cbranch_execz .LBB158_1338
.LBB158_1337:
	v_and_b32_e32 v3, 0xffff, v4
	v_lshlrev_b32_e32 v4, 24, v4
	s_delay_alu instid0(VALU_DEP_2) | instskip(NEXT) | instid1(VALU_DEP_2)
	v_and_b32_e32 v6, 3, v3
	v_and_b32_e32 v4, 0x80000000, v4
	s_delay_alu instid0(VALU_DEP_2) | instskip(NEXT) | instid1(VALU_DEP_1)
	v_clz_i32_u32_e32 v8, v6
	v_min_u32_e32 v8, 32, v8
	s_delay_alu instid0(VALU_DEP_1) | instskip(SKIP_1) | instid1(VALU_DEP_2)
	v_subrev_nc_u32_e32 v9, 29, v8
	v_sub_nc_u32_e32 v8, 30, v8
	v_lshlrev_b32_e32 v9, v9, v3
	v_bfe_u32 v3, v3, 2, 5
	s_delay_alu instid0(VALU_DEP_2) | instskip(NEXT) | instid1(VALU_DEP_2)
	v_and_b32_e32 v9, 3, v9
	v_cmp_eq_u32_e32 vcc_lo, 0, v3
	s_delay_alu instid0(VALU_DEP_2) | instskip(NEXT) | instid1(VALU_DEP_1)
	v_dual_cndmask_b32 v3, v3, v8 :: v_dual_cndmask_b32 v6, v6, v9
	v_lshl_add_u32 v3, v3, 23, 0x37800000
	s_delay_alu instid0(VALU_DEP_2) | instskip(NEXT) | instid1(VALU_DEP_1)
	v_lshlrev_b32_e32 v6, 21, v6
	v_or3_b32 v3, v4, v3, v6
	s_delay_alu instid0(VALU_DEP_1) | instskip(NEXT) | instid1(VALU_DEP_1)
	v_trunc_f32_e32 v3, v3
	v_mul_f32_e64 v4, 0x2f800000, |v3|
	s_delay_alu instid0(VALU_DEP_1) | instskip(NEXT) | instid1(VALU_DEP_1)
	v_floor_f32_e32 v4, v4
	v_fma_f32 v4, 0xcf800000, v4, |v3|
	v_ashrrev_i32_e32 v3, 31, v3
	s_delay_alu instid0(VALU_DEP_2) | instskip(NEXT) | instid1(VALU_DEP_1)
	v_cvt_u32_f32_e32 v4, v4
	v_xor_b32_e32 v4, v4, v3
	s_delay_alu instid0(VALU_DEP_1)
	v_sub_nc_u32_e32 v3, v4, v3
.LBB158_1338:
	s_or_b32 exec_lo, exec_lo, s20
	s_mov_b32 s20, 0
	s_branch .LBB158_1344
.LBB158_1339:
	s_mov_b32 s21, -1
                                        ; implicit-def: $vgpr3
	s_branch .LBB158_1350
.LBB158_1340:
	s_or_saveexec_b32 s20, s20
	v_mov_b32_e32 v3, s23
	s_xor_b32 exec_lo, exec_lo, s20
	s_cbranch_execz .LBB158_1326
.LBB158_1341:
	v_cmp_ne_u16_e32 vcc_lo, 0, v4
	v_mov_b32_e32 v3, 0
	s_and_not1_b32 s22, s22, exec_lo
	s_and_b32 s23, vcc_lo, exec_lo
	s_delay_alu instid0(SALU_CYCLE_1)
	s_or_b32 s22, s22, s23
	s_or_b32 exec_lo, exec_lo, s20
	s_and_saveexec_b32 s20, s22
	s_cbranch_execnz .LBB158_1327
	s_branch .LBB158_1328
.LBB158_1342:
	s_mov_b32 s20, -1
                                        ; implicit-def: $vgpr3
	s_branch .LBB158_1347
.LBB158_1343:
	s_mov_b32 s20, -1
                                        ; implicit-def: $vgpr3
.LBB158_1344:
	s_delay_alu instid0(SALU_CYCLE_1)
	s_and_b32 vcc_lo, exec_lo, s20
	s_cbranch_vccz .LBB158_1346
; %bb.1345:
	global_load_u8 v3, v[0:1], off
	s_waitcnt vmcnt(0)
	v_lshlrev_b32_e32 v3, 24, v3
	s_delay_alu instid0(VALU_DEP_1) | instskip(NEXT) | instid1(VALU_DEP_1)
	v_and_b32_e32 v4, 0x7f000000, v3
	v_clz_i32_u32_e32 v6, v4
	v_add_nc_u32_e32 v9, 0x1000000, v4
	v_cmp_ne_u32_e32 vcc_lo, 0, v4
	s_delay_alu instid0(VALU_DEP_3) | instskip(NEXT) | instid1(VALU_DEP_1)
	v_min_u32_e32 v6, 32, v6
	v_sub_nc_u32_e64 v6, v6, 4 clamp
	s_delay_alu instid0(VALU_DEP_1) | instskip(SKIP_1) | instid1(VALU_DEP_2)
	v_lshlrev_b32_e32 v8, v6, v4
	v_lshlrev_b32_e32 v6, 23, v6
	v_lshrrev_b32_e32 v8, 4, v8
	s_delay_alu instid0(VALU_DEP_1) | instskip(SKIP_1) | instid1(VALU_DEP_2)
	v_sub_nc_u32_e32 v6, v8, v6
	v_ashrrev_i32_e32 v8, 8, v9
	v_add_nc_u32_e32 v6, 0x3c000000, v6
	s_delay_alu instid0(VALU_DEP_1) | instskip(NEXT) | instid1(VALU_DEP_1)
	v_and_or_b32 v6, 0x7f800000, v8, v6
	v_cndmask_b32_e32 v4, 0, v6, vcc_lo
	s_delay_alu instid0(VALU_DEP_1) | instskip(NEXT) | instid1(VALU_DEP_1)
	v_and_or_b32 v3, 0x80000000, v3, v4
	v_trunc_f32_e32 v3, v3
	s_delay_alu instid0(VALU_DEP_1) | instskip(NEXT) | instid1(VALU_DEP_1)
	v_mul_f32_e64 v4, 0x2f800000, |v3|
	v_floor_f32_e32 v4, v4
	s_delay_alu instid0(VALU_DEP_1) | instskip(SKIP_1) | instid1(VALU_DEP_2)
	v_fma_f32 v4, 0xcf800000, v4, |v3|
	v_ashrrev_i32_e32 v3, 31, v3
	v_cvt_u32_f32_e32 v4, v4
	s_delay_alu instid0(VALU_DEP_1) | instskip(NEXT) | instid1(VALU_DEP_1)
	v_xor_b32_e32 v4, v4, v3
	v_sub_nc_u32_e32 v3, v4, v3
.LBB158_1346:
	s_mov_b32 s20, 0
.LBB158_1347:
	s_delay_alu instid0(SALU_CYCLE_1)
	s_and_not1_b32 vcc_lo, exec_lo, s20
	s_cbranch_vccnz .LBB158_1349
; %bb.1348:
	global_load_u8 v3, v[0:1], off
	s_waitcnt vmcnt(0)
	v_lshlrev_b32_e32 v4, 25, v3
	v_lshlrev_b16 v3, 8, v3
	s_delay_alu instid0(VALU_DEP_2) | instskip(NEXT) | instid1(VALU_DEP_2)
	v_lshrrev_b32_e32 v6, 4, v4
	v_and_or_b32 v8, 0x7f00, v3, 0.5
	v_cmp_gt_u32_e32 vcc_lo, 0x8000000, v4
	v_bfe_i32 v3, v3, 0, 16
	s_delay_alu instid0(VALU_DEP_4) | instskip(NEXT) | instid1(VALU_DEP_4)
	v_or_b32_e32 v6, 0x70000000, v6
	v_add_f32_e32 v8, -0.5, v8
	s_delay_alu instid0(VALU_DEP_2) | instskip(NEXT) | instid1(VALU_DEP_1)
	v_mul_f32_e32 v6, 0x7800000, v6
	v_cndmask_b32_e32 v4, v6, v8, vcc_lo
	s_delay_alu instid0(VALU_DEP_1) | instskip(NEXT) | instid1(VALU_DEP_1)
	v_and_or_b32 v3, 0x80000000, v3, v4
	v_trunc_f32_e32 v3, v3
	s_delay_alu instid0(VALU_DEP_1) | instskip(NEXT) | instid1(VALU_DEP_1)
	v_mul_f32_e64 v4, 0x2f800000, |v3|
	v_floor_f32_e32 v4, v4
	s_delay_alu instid0(VALU_DEP_1) | instskip(SKIP_1) | instid1(VALU_DEP_2)
	v_fma_f32 v4, 0xcf800000, v4, |v3|
	v_ashrrev_i32_e32 v3, 31, v3
	v_cvt_u32_f32_e32 v4, v4
	s_delay_alu instid0(VALU_DEP_1) | instskip(NEXT) | instid1(VALU_DEP_1)
	v_xor_b32_e32 v4, v4, v3
	v_sub_nc_u32_e32 v3, v4, v3
.LBB158_1349:
	s_mov_b32 s21, 0
	s_mov_b32 s20, -1
.LBB158_1350:
	s_and_not1_b32 vcc_lo, exec_lo, s21
	s_mov_b32 s21, 0
	s_cbranch_vccnz .LBB158_1361
; %bb.1351:
	v_cmp_lt_i16_e32 vcc_lo, 14, v2
	s_cbranch_vccz .LBB158_1354
; %bb.1352:
	v_cmp_eq_u16_e32 vcc_lo, 15, v2
	s_cbranch_vccz .LBB158_1357
; %bb.1353:
	global_load_u16 v3, v[0:1], off
	s_mov_b32 s0, 0
	s_mov_b32 s20, -1
	s_waitcnt vmcnt(0)
	v_lshlrev_b32_e32 v3, 16, v3
	s_delay_alu instid0(VALU_DEP_1) | instskip(NEXT) | instid1(VALU_DEP_1)
	v_trunc_f32_e32 v3, v3
	v_mul_f32_e64 v4, 0x2f800000, |v3|
	s_delay_alu instid0(VALU_DEP_1) | instskip(NEXT) | instid1(VALU_DEP_1)
	v_floor_f32_e32 v4, v4
	v_fma_f32 v4, 0xcf800000, v4, |v3|
	v_ashrrev_i32_e32 v3, 31, v3
	s_delay_alu instid0(VALU_DEP_2) | instskip(NEXT) | instid1(VALU_DEP_1)
	v_cvt_u32_f32_e32 v4, v4
	v_xor_b32_e32 v4, v4, v3
	s_delay_alu instid0(VALU_DEP_1)
	v_sub_nc_u32_e32 v3, v4, v3
	s_branch .LBB158_1359
.LBB158_1354:
	s_mov_b32 s21, -1
	s_branch .LBB158_1358
.LBB158_1355:
	s_or_saveexec_b32 s20, s20
	v_mov_b32_e32 v3, s22
	s_xor_b32 exec_lo, exec_lo, s20
	s_cbranch_execz .LBB158_1336
.LBB158_1356:
	v_cmp_ne_u16_e32 vcc_lo, 0, v4
	v_mov_b32_e32 v3, 0
	s_and_not1_b32 s21, s21, exec_lo
	s_and_b32 s22, vcc_lo, exec_lo
	s_delay_alu instid0(SALU_CYCLE_1)
	s_or_b32 s21, s21, s22
	s_or_b32 exec_lo, exec_lo, s20
	s_and_saveexec_b32 s20, s21
	s_cbranch_execnz .LBB158_1337
	s_branch .LBB158_1338
.LBB158_1357:
	s_mov_b32 s0, -1
.LBB158_1358:
                                        ; implicit-def: $vgpr3
.LBB158_1359:
	s_and_b32 vcc_lo, exec_lo, s21
	s_mov_b32 s21, 0
	s_cbranch_vccz .LBB158_1361
; %bb.1360:
	v_cmp_ne_u16_e32 vcc_lo, 11, v2
	s_and_not1_b32 s0, s0, exec_lo
	s_mov_b32 s21, -1
                                        ; implicit-def: $vgpr3
	s_and_b32 s22, vcc_lo, exec_lo
	s_delay_alu instid0(SALU_CYCLE_1)
	s_or_b32 s0, s0, s22
.LBB158_1361:
	s_mov_b32 s22, 0
.LBB158_1362:
	s_and_not1_b32 s18, s18, exec_lo
	s_and_b32 s0, s0, exec_lo
	s_and_b32 s20, s20, exec_lo
	;; [unrolled: 1-line block ×4, first 2 shown]
	s_or_b32 s18, s18, s0
.LBB158_1363:
	s_or_b32 exec_lo, exec_lo, s19
	s_and_saveexec_b32 s0, s18
	s_cbranch_execnz .LBB158_1375
; %bb.1364:
	s_or_b32 exec_lo, exec_lo, s0
	s_and_saveexec_b32 s0, s21
	s_delay_alu instid0(SALU_CYCLE_1)
	s_xor_b32 s0, exec_lo, s0
	s_cbranch_execz .LBB158_1366
.LBB158_1365:
	global_load_u8 v3, v[0:1], off
	s_or_b32 s20, s20, exec_lo
	s_waitcnt vmcnt(0)
	v_cmp_ne_u16_e32 vcc_lo, 0, v3
	v_cndmask_b32_e64 v3, 0, 1, vcc_lo
.LBB158_1366:
	s_or_b32 exec_lo, exec_lo, s0
	s_and_saveexec_b32 s0, s22
	s_cbranch_execz .LBB158_1414
; %bb.1367:
	s_waitcnt vmcnt(0)
	v_cmp_gt_i16_e32 vcc_lo, 5, v2
	s_cbranch_vccnz .LBB158_1372
; %bb.1368:
	v_cmp_gt_i16_e32 vcc_lo, 8, v2
	s_cbranch_vccnz .LBB158_1373
; %bb.1369:
	v_cmp_gt_i16_e32 vcc_lo, 9, v2
	s_cbranch_vccnz .LBB158_1374
; %bb.1370:
	v_cmp_lt_i16_e32 vcc_lo, 9, v2
	s_cbranch_vccz .LBB158_1377
; %bb.1371:
	global_load_b64 v[3:4], v[0:1], off
	s_mov_b32 s18, 0
	s_waitcnt vmcnt(0)
	v_trunc_f64_e32 v[3:4], v[3:4]
	s_delay_alu instid0(VALU_DEP_1) | instskip(NEXT) | instid1(VALU_DEP_1)
	v_ldexp_f64 v[8:9], v[3:4], 0xffffffe0
	v_floor_f64_e32 v[8:9], v[8:9]
	s_delay_alu instid0(VALU_DEP_1) | instskip(NEXT) | instid1(VALU_DEP_1)
	v_fma_f64 v[3:4], 0xc1f00000, v[8:9], v[3:4]
	v_cvt_u32_f64_e32 v3, v[3:4]
	s_branch .LBB158_1378
.LBB158_1372:
                                        ; implicit-def: $vgpr3
	s_branch .LBB158_1395
.LBB158_1373:
                                        ; implicit-def: $vgpr3
	s_branch .LBB158_1384
.LBB158_1374:
	s_mov_b32 s18, -1
                                        ; implicit-def: $vgpr3
	s_branch .LBB158_1381
.LBB158_1375:
	s_cbranch_execnz .LBB158_1423
; %bb.1376:
	s_or_b32 s17, s17, exec_lo
	s_and_not1_b32 s21, s21, exec_lo
                                        ; implicit-def: $vgpr3
	s_or_b32 exec_lo, exec_lo, s0
	s_and_saveexec_b32 s0, s21
	s_delay_alu instid0(SALU_CYCLE_1)
	s_xor_b32 s0, exec_lo, s0
	s_cbranch_execnz .LBB158_1365
	s_branch .LBB158_1366
.LBB158_1377:
	s_mov_b32 s18, -1
                                        ; implicit-def: $vgpr3
.LBB158_1378:
	s_delay_alu instid0(SALU_CYCLE_1)
	s_and_not1_b32 vcc_lo, exec_lo, s18
	s_cbranch_vccnz .LBB158_1380
; %bb.1379:
	global_load_b32 v3, v[0:1], off
	s_waitcnt vmcnt(0)
	v_trunc_f32_e32 v3, v3
	s_delay_alu instid0(VALU_DEP_1) | instskip(NEXT) | instid1(VALU_DEP_1)
	v_mul_f32_e64 v4, 0x2f800000, |v3|
	v_floor_f32_e32 v4, v4
	s_delay_alu instid0(VALU_DEP_1) | instskip(SKIP_1) | instid1(VALU_DEP_2)
	v_fma_f32 v4, 0xcf800000, v4, |v3|
	v_ashrrev_i32_e32 v3, 31, v3
	v_cvt_u32_f32_e32 v4, v4
	s_delay_alu instid0(VALU_DEP_1) | instskip(NEXT) | instid1(VALU_DEP_1)
	v_xor_b32_e32 v4, v4, v3
	v_sub_nc_u32_e32 v3, v4, v3
.LBB158_1380:
	s_mov_b32 s18, 0
.LBB158_1381:
	s_delay_alu instid0(SALU_CYCLE_1)
	s_and_not1_b32 vcc_lo, exec_lo, s18
	s_cbranch_vccnz .LBB158_1383
; %bb.1382:
	global_load_b32 v3, v[0:1], off
	s_waitcnt vmcnt(0)
	v_cvt_f32_f16_e32 v3, v3
	s_delay_alu instid0(VALU_DEP_1)
	v_cvt_i32_f32_e32 v3, v3
.LBB158_1383:
	s_cbranch_execnz .LBB158_1394
.LBB158_1384:
	v_cmp_gt_i16_e32 vcc_lo, 6, v2
	s_cbranch_vccnz .LBB158_1387
; %bb.1385:
	v_cmp_lt_i16_e32 vcc_lo, 6, v2
	s_cbranch_vccz .LBB158_1388
; %bb.1386:
	global_load_b64 v[3:4], v[0:1], off
	s_mov_b32 s18, 0
	s_waitcnt vmcnt(0)
	v_trunc_f64_e32 v[3:4], v[3:4]
	s_delay_alu instid0(VALU_DEP_1) | instskip(NEXT) | instid1(VALU_DEP_1)
	v_ldexp_f64 v[8:9], v[3:4], 0xffffffe0
	v_floor_f64_e32 v[8:9], v[8:9]
	s_delay_alu instid0(VALU_DEP_1) | instskip(NEXT) | instid1(VALU_DEP_1)
	v_fma_f64 v[3:4], 0xc1f00000, v[8:9], v[3:4]
	v_cvt_u32_f64_e32 v3, v[3:4]
	s_branch .LBB158_1389
.LBB158_1387:
	s_mov_b32 s18, -1
                                        ; implicit-def: $vgpr3
	s_branch .LBB158_1392
.LBB158_1388:
	s_mov_b32 s18, -1
                                        ; implicit-def: $vgpr3
.LBB158_1389:
	s_delay_alu instid0(SALU_CYCLE_1)
	s_and_not1_b32 vcc_lo, exec_lo, s18
	s_cbranch_vccnz .LBB158_1391
; %bb.1390:
	global_load_b32 v3, v[0:1], off
	s_waitcnt vmcnt(0)
	v_trunc_f32_e32 v3, v3
	s_delay_alu instid0(VALU_DEP_1) | instskip(NEXT) | instid1(VALU_DEP_1)
	v_mul_f32_e64 v4, 0x2f800000, |v3|
	v_floor_f32_e32 v4, v4
	s_delay_alu instid0(VALU_DEP_1) | instskip(SKIP_1) | instid1(VALU_DEP_2)
	v_fma_f32 v4, 0xcf800000, v4, |v3|
	v_ashrrev_i32_e32 v3, 31, v3
	v_cvt_u32_f32_e32 v4, v4
	s_delay_alu instid0(VALU_DEP_1) | instskip(NEXT) | instid1(VALU_DEP_1)
	v_xor_b32_e32 v4, v4, v3
	v_sub_nc_u32_e32 v3, v4, v3
.LBB158_1391:
	s_mov_b32 s18, 0
.LBB158_1392:
	s_delay_alu instid0(SALU_CYCLE_1)
	s_and_not1_b32 vcc_lo, exec_lo, s18
	s_cbranch_vccnz .LBB158_1394
; %bb.1393:
	global_load_u16 v3, v[0:1], off
	s_waitcnt vmcnt(0)
	v_cvt_f32_f16_e32 v3, v3
	s_delay_alu instid0(VALU_DEP_1)
	v_cvt_i32_f32_e32 v3, v3
.LBB158_1394:
	s_cbranch_execnz .LBB158_1413
.LBB158_1395:
	v_cmp_gt_i16_e32 vcc_lo, 2, v2
	s_cbranch_vccnz .LBB158_1399
; %bb.1396:
	v_cmp_gt_i16_e32 vcc_lo, 3, v2
	s_cbranch_vccnz .LBB158_1400
; %bb.1397:
	v_cmp_lt_i16_e32 vcc_lo, 3, v2
	s_cbranch_vccz .LBB158_1401
; %bb.1398:
	global_load_b64 v[3:4], v[0:1], off
	s_mov_b32 s18, 0
	s_branch .LBB158_1402
.LBB158_1399:
                                        ; implicit-def: $vgpr3
	s_branch .LBB158_1408
.LBB158_1400:
	s_mov_b32 s18, -1
                                        ; implicit-def: $vgpr3
	s_branch .LBB158_1405
.LBB158_1401:
	s_mov_b32 s18, -1
                                        ; implicit-def: $vgpr3
.LBB158_1402:
	s_delay_alu instid0(SALU_CYCLE_1)
	s_and_not1_b32 vcc_lo, exec_lo, s18
	s_cbranch_vccnz .LBB158_1404
; %bb.1403:
	global_load_b32 v3, v[0:1], off
.LBB158_1404:
	s_mov_b32 s18, 0
.LBB158_1405:
	s_delay_alu instid0(SALU_CYCLE_1)
	s_and_not1_b32 vcc_lo, exec_lo, s18
	s_cbranch_vccnz .LBB158_1407
; %bb.1406:
	global_load_u16 v3, v[0:1], off
.LBB158_1407:
	s_cbranch_execnz .LBB158_1413
.LBB158_1408:
	v_cmp_lt_i16_e32 vcc_lo, 0, v2
	s_mov_b32 s18, 0
	s_cbranch_vccz .LBB158_1410
; %bb.1409:
	global_load_u8 v3, v[0:1], off
	s_branch .LBB158_1411
.LBB158_1410:
	s_mov_b32 s18, -1
                                        ; implicit-def: $vgpr3
.LBB158_1411:
	s_delay_alu instid0(SALU_CYCLE_1)
	s_and_not1_b32 vcc_lo, exec_lo, s18
	s_cbranch_vccnz .LBB158_1413
; %bb.1412:
	global_load_u8 v3, v[0:1], off
.LBB158_1413:
	s_or_b32 s20, s20, exec_lo
.LBB158_1414:
	s_or_b32 exec_lo, exec_lo, s0
	s_mov_b32 s0, 0
	s_mov_b32 s19, 0
                                        ; implicit-def: $vgpr4
                                        ; implicit-def: $vgpr0_vgpr1
                                        ; implicit-def: $vgpr2
	s_and_saveexec_b32 s18, s20
	s_cbranch_execz .LBB158_1494
; %bb.1415:
	v_mul_lo_u32 v1, v7, s8
	s_waitcnt vmcnt(0)
	s_delay_alu instid0(VALU_DEP_2) | instskip(SKIP_1) | instid1(VALU_DEP_2)
	v_cvt_f32_ubyte0_e32 v0, v3
	v_and_b32_e64 v4, 0xff, s12
	v_mul_f32_e32 v0, v5, v0
	s_delay_alu instid0(VALU_DEP_2) | instskip(SKIP_1) | instid1(VALU_DEP_3)
	v_cmp_gt_i16_e32 vcc_lo, 11, v4
	v_ashrrev_i32_e32 v3, 31, v1
	v_mul_f32_e32 v2, s11, v0
	v_add_co_u32 v0, s0, s4, v1
	s_delay_alu instid0(VALU_DEP_1)
	v_add_co_ci_u32_e64 v1, s0, s5, v3, s0
	s_cbranch_vccnz .LBB158_1422
; %bb.1416:
	v_cmp_lt_i16_e32 vcc_lo, 25, v4
	s_mov_b32 s19, -1
	s_mov_b32 s0, s16
	s_cbranch_vccz .LBB158_1452
; %bb.1417:
	v_cmp_lt_i16_e32 vcc_lo, 28, v4
	s_mov_b32 s0, s16
	s_cbranch_vccz .LBB158_1436
; %bb.1418:
	v_cmp_lt_i16_e32 vcc_lo, 43, v4
	;; [unrolled: 4-line block ×3, first 2 shown]
	s_mov_b32 s0, s16
	s_cbranch_vccz .LBB158_1426
; %bb.1420:
	v_cmp_eq_u16_e32 vcc_lo, 46, v4
	s_mov_b32 s0, -1
	s_cbranch_vccz .LBB158_1425
; %bb.1421:
	v_bfe_u32 v3, v2, 16, 1
	v_cmp_o_f32_e32 vcc_lo, v2, v2
	s_mov_b32 s0, 0
	s_mov_b32 s19, 0
	s_delay_alu instid0(VALU_DEP_2) | instskip(NEXT) | instid1(VALU_DEP_1)
	v_add3_u32 v3, v2, v3, 0x7fff
	v_lshrrev_b32_e32 v3, 16, v3
	s_delay_alu instid0(VALU_DEP_1)
	v_cndmask_b32_e32 v3, 0x7fc0, v3, vcc_lo
	global_store_b32 v[0:1], v3, off
	s_branch .LBB158_1426
.LBB158_1422:
	s_mov_b32 s20, 0
	s_mov_b32 s19, -1
	s_mov_b32 s0, s16
	s_branch .LBB158_1493
.LBB158_1423:
	s_trap 2
	s_sendmsg_rtn_b32 s0, sendmsg(MSG_RTN_GET_DOORBELL)
	s_mov_b32 ttmp2, m0
	s_waitcnt lgkmcnt(0)
	s_and_b32 s0, s0, 0x3ff
	s_delay_alu instid0(SALU_CYCLE_1) | instskip(NEXT) | instid1(SALU_CYCLE_1)
	s_bitset1_b32 s0, 10
	s_mov_b32 m0, s0
	s_sendmsg sendmsg(MSG_INTERRUPT)
	s_mov_b32 m0, ttmp2
.LBB158_1424:                           ; =>This Inner Loop Header: Depth=1
	s_sethalt 5
	s_branch .LBB158_1424
.LBB158_1425:
	s_mov_b32 s19, 0
.LBB158_1426:
	s_delay_alu instid0(SALU_CYCLE_1)
	s_and_b32 vcc_lo, exec_lo, s19
	s_cbranch_vccz .LBB158_1431
; %bb.1427:
	v_cmp_eq_u16_e32 vcc_lo, 44, v4
	s_mov_b32 s0, -1
	s_cbranch_vccz .LBB158_1431
; %bb.1428:
	v_bfe_u32 v5, v2, 23, 8
	v_mov_b32_e32 v3, 0xff
	s_mov_b32 s19, exec_lo
	s_delay_alu instid0(VALU_DEP_2)
	v_cmpx_ne_u32_e32 0xff, v5
; %bb.1429:
	v_and_b32_e32 v3, 0x400000, v2
	v_and_or_b32 v5, 0x3fffff, v2, v5
	s_delay_alu instid0(VALU_DEP_2) | instskip(NEXT) | instid1(VALU_DEP_2)
	v_cmp_ne_u32_e32 vcc_lo, 0, v3
	v_cmp_ne_u32_e64 s0, 0, v5
	v_lshrrev_b32_e32 v3, 23, v2
	s_delay_alu instid0(VALU_DEP_2) | instskip(NEXT) | instid1(SALU_CYCLE_1)
	s_and_b32 s0, vcc_lo, s0
	v_cndmask_b32_e64 v5, 0, 1, s0
	s_delay_alu instid0(VALU_DEP_1)
	v_add_nc_u32_e32 v3, v3, v5
; %bb.1430:
	s_or_b32 exec_lo, exec_lo, s19
	s_mov_b32 s0, 0
	global_store_b8 v[0:1], v3, off
.LBB158_1431:
	s_mov_b32 s19, 0
.LBB158_1432:
	s_delay_alu instid0(SALU_CYCLE_1)
	s_and_b32 vcc_lo, exec_lo, s19
	s_cbranch_vccz .LBB158_1435
; %bb.1433:
	v_cmp_eq_u16_e32 vcc_lo, 29, v4
	s_mov_b32 s0, -1
	s_cbranch_vccz .LBB158_1435
; %bb.1434:
	v_trunc_f32_e32 v3, v2
	s_mov_b32 s0, 0
	s_mov_b32 s19, 0
	s_delay_alu instid0(VALU_DEP_1) | instskip(NEXT) | instid1(VALU_DEP_1)
	v_mul_f32_e32 v5, 0x2f800000, v3
	v_floor_f32_e32 v5, v5
	s_delay_alu instid0(VALU_DEP_1) | instskip(SKIP_1) | instid1(VALU_DEP_2)
	v_fmamk_f32 v3, v5, 0xcf800000, v3
	v_cvt_u32_f32_e32 v6, v5
	v_cvt_u32_f32_e32 v5, v3
	global_store_b64 v[0:1], v[5:6], off
	s_branch .LBB158_1436
.LBB158_1435:
	s_mov_b32 s19, 0
.LBB158_1436:
	s_delay_alu instid0(SALU_CYCLE_1)
	s_and_b32 vcc_lo, exec_lo, s19
	s_cbranch_vccz .LBB158_1451
; %bb.1437:
	v_cmp_gt_i16_e32 vcc_lo, 27, v4
	s_mov_b32 s19, -1
	s_cbranch_vccnz .LBB158_1443
; %bb.1438:
	v_cmp_lt_i16_e32 vcc_lo, 27, v4
	v_cvt_u32_f32_e32 v3, v2
	s_cbranch_vccz .LBB158_1440
; %bb.1439:
	s_mov_b32 s19, 0
	global_store_b32 v[0:1], v3, off
.LBB158_1440:
	s_and_not1_b32 vcc_lo, exec_lo, s19
	s_cbranch_vccnz .LBB158_1442
; %bb.1441:
	global_store_b16 v[0:1], v3, off
.LBB158_1442:
	s_mov_b32 s19, 0
.LBB158_1443:
	s_delay_alu instid0(SALU_CYCLE_1)
	s_and_not1_b32 vcc_lo, exec_lo, s19
	s_cbranch_vccnz .LBB158_1451
; %bb.1444:
	v_and_b32_e32 v3, 0x7fffffff, v2
	v_mov_b32_e32 v5, 0x80
	s_mov_b32 s19, exec_lo
	s_delay_alu instid0(VALU_DEP_2)
	v_cmpx_gt_u32_e32 0x43800000, v3
	s_cbranch_execz .LBB158_1450
; %bb.1445:
	v_cmp_lt_u32_e32 vcc_lo, 0x3bffffff, v3
	s_mov_b32 s20, 0
                                        ; implicit-def: $vgpr3
	s_and_saveexec_b32 s21, vcc_lo
	s_delay_alu instid0(SALU_CYCLE_1)
	s_xor_b32 s21, exec_lo, s21
	s_cbranch_execz .LBB158_1686
; %bb.1446:
	v_bfe_u32 v3, v2, 20, 1
	s_mov_b32 s20, exec_lo
	s_delay_alu instid0(VALU_DEP_1) | instskip(NEXT) | instid1(VALU_DEP_1)
	v_add3_u32 v3, v2, v3, 0x487ffff
	v_lshrrev_b32_e32 v3, 20, v3
	s_or_saveexec_b32 s21, s21
                                        ; implicit-def: $sgpr22
	s_delay_alu instid0(SALU_CYCLE_1)
	s_xor_b32 exec_lo, exec_lo, s21
	s_cbranch_execnz .LBB158_1687
.LBB158_1447:
	s_or_b32 exec_lo, exec_lo, s21
	v_mov_b32_e32 v5, s22
	s_and_saveexec_b32 s21, s20
.LBB158_1448:
	v_lshrrev_b32_e32 v5, 24, v2
	s_delay_alu instid0(VALU_DEP_1)
	v_and_or_b32 v5, 0x80, v5, v3
.LBB158_1449:
	s_or_b32 exec_lo, exec_lo, s21
.LBB158_1450:
	s_delay_alu instid0(SALU_CYCLE_1)
	s_or_b32 exec_lo, exec_lo, s19
	global_store_b8 v[0:1], v5, off
.LBB158_1451:
	s_mov_b32 s19, 0
.LBB158_1452:
	s_delay_alu instid0(SALU_CYCLE_1)
	s_and_b32 vcc_lo, exec_lo, s19
	s_mov_b32 s19, 0
	s_cbranch_vccz .LBB158_1492
; %bb.1453:
	v_cmp_lt_i16_e32 vcc_lo, 22, v4
	s_mov_b32 s20, -1
	s_cbranch_vccz .LBB158_1485
; %bb.1454:
	v_cmp_gt_i16_e32 vcc_lo, 24, v4
	s_cbranch_vccnz .LBB158_1474
; %bb.1455:
	v_cmp_lt_i16_e32 vcc_lo, 24, v4
	s_cbranch_vccz .LBB158_1463
; %bb.1456:
	v_and_b32_e32 v3, 0x7fffffff, v2
	v_mov_b32_e32 v5, 0x80
	s_mov_b32 s20, exec_lo
	s_delay_alu instid0(VALU_DEP_2)
	v_cmpx_gt_u32_e32 0x47800000, v3
	s_cbranch_execz .LBB158_1462
; %bb.1457:
	v_cmp_lt_u32_e32 vcc_lo, 0x37ffffff, v3
	s_mov_b32 s21, 0
                                        ; implicit-def: $vgpr3
	s_and_saveexec_b32 s22, vcc_lo
	s_delay_alu instid0(SALU_CYCLE_1)
	s_xor_b32 s22, exec_lo, s22
	s_cbranch_execz .LBB158_1814
; %bb.1458:
	v_bfe_u32 v3, v2, 21, 1
	s_mov_b32 s21, exec_lo
	s_delay_alu instid0(VALU_DEP_1) | instskip(NEXT) | instid1(VALU_DEP_1)
	v_add3_u32 v3, v2, v3, 0x88fffff
	v_lshrrev_b32_e32 v3, 21, v3
	s_or_saveexec_b32 s22, s22
                                        ; implicit-def: $sgpr23
	s_delay_alu instid0(SALU_CYCLE_1)
	s_xor_b32 exec_lo, exec_lo, s22
	s_cbranch_execnz .LBB158_1815
.LBB158_1459:
	s_or_b32 exec_lo, exec_lo, s22
	v_mov_b32_e32 v5, s23
	s_and_saveexec_b32 s22, s21
.LBB158_1460:
	v_lshrrev_b32_e32 v5, 24, v2
	s_delay_alu instid0(VALU_DEP_1)
	v_and_or_b32 v5, 0x80, v5, v3
.LBB158_1461:
	s_or_b32 exec_lo, exec_lo, s22
.LBB158_1462:
	s_delay_alu instid0(SALU_CYCLE_1)
	s_or_b32 exec_lo, exec_lo, s20
	s_mov_b32 s20, 0
	global_store_b8 v[0:1], v5, off
.LBB158_1463:
	s_and_b32 vcc_lo, exec_lo, s20
	s_cbranch_vccz .LBB158_1473
; %bb.1464:
	v_and_b32_e32 v5, 0x7fffffff, v2
	s_mov_b32 s20, exec_lo
                                        ; implicit-def: $vgpr3
	s_delay_alu instid0(VALU_DEP_1)
	v_cmpx_gt_u32_e32 0x43f00000, v5
	s_xor_b32 s20, exec_lo, s20
	s_cbranch_execz .LBB158_1470
; %bb.1465:
	s_mov_b32 s21, exec_lo
                                        ; implicit-def: $vgpr3
	v_cmpx_lt_u32_e32 0x3c7fffff, v5
	s_xor_b32 s21, exec_lo, s21
; %bb.1466:
	v_bfe_u32 v3, v2, 20, 1
	s_delay_alu instid0(VALU_DEP_1) | instskip(NEXT) | instid1(VALU_DEP_1)
	v_add3_u32 v3, v2, v3, 0x407ffff
	v_and_b32_e32 v5, 0xff00000, v3
	v_lshrrev_b32_e32 v3, 20, v3
	s_delay_alu instid0(VALU_DEP_2) | instskip(NEXT) | instid1(VALU_DEP_2)
	v_cmp_ne_u32_e32 vcc_lo, 0x7f00000, v5
	v_cndmask_b32_e32 v3, 0x7e, v3, vcc_lo
; %bb.1467:
	s_and_not1_saveexec_b32 s21, s21
; %bb.1468:
	v_add_f32_e64 v3, 0x46800000, |v2|
; %bb.1469:
	s_or_b32 exec_lo, exec_lo, s21
                                        ; implicit-def: $vgpr5
.LBB158_1470:
	s_and_not1_saveexec_b32 s20, s20
; %bb.1471:
	v_mov_b32_e32 v3, 0x7f
	v_cmp_lt_u32_e32 vcc_lo, 0x7f800000, v5
	s_delay_alu instid0(VALU_DEP_2)
	v_cndmask_b32_e32 v3, 0x7e, v3, vcc_lo
; %bb.1472:
	s_or_b32 exec_lo, exec_lo, s20
	v_lshrrev_b32_e32 v5, 24, v2
	s_delay_alu instid0(VALU_DEP_1)
	v_and_or_b32 v3, 0x80, v5, v3
	global_store_b8 v[0:1], v3, off
.LBB158_1473:
	s_mov_b32 s20, 0
.LBB158_1474:
	s_delay_alu instid0(SALU_CYCLE_1)
	s_and_not1_b32 vcc_lo, exec_lo, s20
	s_cbranch_vccnz .LBB158_1484
; %bb.1475:
	v_and_b32_e32 v5, 0x7fffffff, v2
	s_mov_b32 s20, exec_lo
                                        ; implicit-def: $vgpr3
	s_delay_alu instid0(VALU_DEP_1)
	v_cmpx_gt_u32_e32 0x47800000, v5
	s_xor_b32 s20, exec_lo, s20
	s_cbranch_execz .LBB158_1481
; %bb.1476:
	s_mov_b32 s21, exec_lo
                                        ; implicit-def: $vgpr3
	v_cmpx_lt_u32_e32 0x387fffff, v5
	s_xor_b32 s21, exec_lo, s21
; %bb.1477:
	v_bfe_u32 v3, v2, 21, 1
	s_delay_alu instid0(VALU_DEP_1) | instskip(NEXT) | instid1(VALU_DEP_1)
	v_add3_u32 v3, v2, v3, 0x80fffff
	v_lshrrev_b32_e32 v3, 21, v3
; %bb.1478:
	s_and_not1_saveexec_b32 s21, s21
; %bb.1479:
	v_add_f32_e64 v3, 0x43000000, |v2|
; %bb.1480:
	s_or_b32 exec_lo, exec_lo, s21
                                        ; implicit-def: $vgpr5
.LBB158_1481:
	s_and_not1_saveexec_b32 s20, s20
; %bb.1482:
	v_mov_b32_e32 v3, 0x7f
	v_cmp_lt_u32_e32 vcc_lo, 0x7f800000, v5
	s_delay_alu instid0(VALU_DEP_2)
	v_cndmask_b32_e32 v3, 0x7c, v3, vcc_lo
; %bb.1483:
	s_or_b32 exec_lo, exec_lo, s20
	v_lshrrev_b32_e32 v5, 24, v2
	s_delay_alu instid0(VALU_DEP_1)
	v_and_or_b32 v3, 0x80, v5, v3
	global_store_b8 v[0:1], v3, off
.LBB158_1484:
	s_mov_b32 s20, 0
.LBB158_1485:
	s_delay_alu instid0(SALU_CYCLE_1)
	s_and_not1_b32 vcc_lo, exec_lo, s20
	s_mov_b32 s20, 0
	s_cbranch_vccnz .LBB158_1493
; %bb.1486:
	v_cmp_lt_i16_e32 vcc_lo, 14, v4
	s_mov_b32 s20, -1
	s_cbranch_vccz .LBB158_1490
; %bb.1487:
	v_cmp_eq_u16_e32 vcc_lo, 15, v4
	s_mov_b32 s0, -1
	s_cbranch_vccz .LBB158_1489
; %bb.1488:
	v_bfe_u32 v3, v2, 16, 1
	v_cmp_o_f32_e32 vcc_lo, v2, v2
	s_mov_b32 s0, 0
	s_delay_alu instid0(VALU_DEP_2) | instskip(NEXT) | instid1(VALU_DEP_1)
	v_add3_u32 v3, v2, v3, 0x7fff
	v_lshrrev_b32_e32 v3, 16, v3
	s_delay_alu instid0(VALU_DEP_1)
	v_cndmask_b32_e32 v3, 0x7fc0, v3, vcc_lo
	global_store_b16 v[0:1], v3, off
.LBB158_1489:
	s_mov_b32 s20, 0
.LBB158_1490:
	s_delay_alu instid0(SALU_CYCLE_1)
	s_and_b32 vcc_lo, exec_lo, s20
	s_mov_b32 s20, 0
	s_cbranch_vccz .LBB158_1493
; %bb.1491:
	v_cmp_ne_u16_e32 vcc_lo, 11, v4
	s_and_not1_b32 s0, s0, exec_lo
	s_mov_b32 s20, -1
	s_and_b32 s21, vcc_lo, exec_lo
	s_delay_alu instid0(SALU_CYCLE_1)
	s_or_b32 s0, s0, s21
	s_branch .LBB158_1493
.LBB158_1492:
	s_mov_b32 s20, 0
.LBB158_1493:
	s_and_not1_b32 s16, s16, exec_lo
	s_and_b32 s21, s0, exec_lo
	s_and_b32 s19, s19, exec_lo
	;; [unrolled: 1-line block ×3, first 2 shown]
	s_or_b32 s16, s16, s21
.LBB158_1494:
	s_or_b32 exec_lo, exec_lo, s18
	s_and_saveexec_b32 s18, s16
	s_cbranch_execnz .LBB158_1556
; %bb.1495:
	s_or_b32 exec_lo, exec_lo, s18
	s_and_saveexec_b32 s16, s0
	s_delay_alu instid0(SALU_CYCLE_1)
	s_xor_b32 s0, exec_lo, s16
	s_cbranch_execz .LBB158_1497
.LBB158_1496:
	s_waitcnt vmcnt(0)
	v_cmp_neq_f32_e32 vcc_lo, 0, v2
	v_cndmask_b32_e64 v3, 0, 1, vcc_lo
	global_store_b8 v[0:1], v3, off
.LBB158_1497:
	s_or_b32 exec_lo, exec_lo, s0
	s_and_saveexec_b32 s0, s19
	s_delay_alu instid0(SALU_CYCLE_1)
	s_xor_b32 s0, exec_lo, s0
	s_cbranch_execz .LBB158_1535
; %bb.1498:
	s_waitcnt vmcnt(0)
	v_cmp_gt_i16_e32 vcc_lo, 5, v4
	s_mov_b32 s16, -1
	s_cbranch_vccnz .LBB158_1519
; %bb.1499:
	v_cmp_gt_i16_e32 vcc_lo, 8, v4
	s_cbranch_vccnz .LBB158_1509
; %bb.1500:
	v_cmp_gt_i16_e32 vcc_lo, 9, v4
	s_cbranch_vccnz .LBB158_1506
; %bb.1501:
	v_cmp_lt_i16_e32 vcc_lo, 9, v4
	s_cbranch_vccz .LBB158_1503
; %bb.1502:
	v_cvt_f64_f32_e32 v[5:6], v2
	v_mov_b32_e32 v7, 0
	s_mov_b32 s16, 0
	s_delay_alu instid0(VALU_DEP_1)
	v_mov_b32_e32 v8, v7
	global_store_b128 v[0:1], v[5:8], off
.LBB158_1503:
	s_and_not1_b32 vcc_lo, exec_lo, s16
	s_cbranch_vccnz .LBB158_1505
; %bb.1504:
	v_mov_b32_e32 v3, 0
	global_store_b64 v[0:1], v[2:3], off
.LBB158_1505:
	s_mov_b32 s16, 0
.LBB158_1506:
	s_delay_alu instid0(SALU_CYCLE_1)
	s_and_not1_b32 vcc_lo, exec_lo, s16
	s_cbranch_vccnz .LBB158_1508
; %bb.1507:
	v_cvt_f16_f32_e32 v3, v2
	s_delay_alu instid0(VALU_DEP_1)
	v_and_b32_e32 v3, 0xffff, v3
	global_store_b32 v[0:1], v3, off
.LBB158_1508:
	s_mov_b32 s16, 0
.LBB158_1509:
	s_delay_alu instid0(SALU_CYCLE_1)
	s_and_not1_b32 vcc_lo, exec_lo, s16
	s_cbranch_vccnz .LBB158_1518
; %bb.1510:
	v_cmp_gt_i16_e32 vcc_lo, 6, v4
	s_mov_b32 s16, -1
	s_cbranch_vccnz .LBB158_1516
; %bb.1511:
	v_cmp_lt_i16_e32 vcc_lo, 6, v4
	s_cbranch_vccz .LBB158_1513
; %bb.1512:
	v_cvt_f64_f32_e32 v[5:6], v2
	s_mov_b32 s16, 0
	global_store_b64 v[0:1], v[5:6], off
.LBB158_1513:
	s_and_not1_b32 vcc_lo, exec_lo, s16
	s_cbranch_vccnz .LBB158_1515
; %bb.1514:
	global_store_b32 v[0:1], v2, off
.LBB158_1515:
	s_mov_b32 s16, 0
.LBB158_1516:
	s_delay_alu instid0(SALU_CYCLE_1)
	s_and_not1_b32 vcc_lo, exec_lo, s16
	s_cbranch_vccnz .LBB158_1518
; %bb.1517:
	v_cvt_f16_f32_e32 v3, v2
	global_store_b16 v[0:1], v3, off
.LBB158_1518:
	s_mov_b32 s16, 0
.LBB158_1519:
	s_delay_alu instid0(SALU_CYCLE_1)
	s_and_not1_b32 vcc_lo, exec_lo, s16
	s_cbranch_vccnz .LBB158_1535
; %bb.1520:
	v_cmp_gt_i16_e32 vcc_lo, 2, v4
	s_mov_b32 s16, -1
	s_cbranch_vccnz .LBB158_1530
; %bb.1521:
	v_cmp_gt_i16_e32 vcc_lo, 3, v4
	s_cbranch_vccnz .LBB158_1527
; %bb.1522:
	v_cmp_lt_i16_e32 vcc_lo, 3, v4
	s_cbranch_vccz .LBB158_1524
; %bb.1523:
	v_trunc_f32_e32 v3, v2
	s_mov_b32 s16, 0
	s_delay_alu instid0(VALU_DEP_1) | instskip(NEXT) | instid1(VALU_DEP_1)
	v_mul_f32_e64 v5, 0x2f800000, |v3|
	v_floor_f32_e32 v5, v5
	s_delay_alu instid0(VALU_DEP_1) | instskip(SKIP_2) | instid1(VALU_DEP_3)
	v_fma_f32 v6, 0xcf800000, v5, |v3|
	v_ashrrev_i32_e32 v3, 31, v3
	v_cvt_u32_f32_e32 v5, v5
	v_cvt_u32_f32_e32 v6, v6
	s_delay_alu instid0(VALU_DEP_2) | instskip(NEXT) | instid1(VALU_DEP_2)
	v_xor_b32_e32 v7, v5, v3
	v_xor_b32_e32 v6, v6, v3
	s_delay_alu instid0(VALU_DEP_1) | instskip(NEXT) | instid1(VALU_DEP_3)
	v_sub_co_u32 v5, vcc_lo, v6, v3
	v_sub_co_ci_u32_e32 v6, vcc_lo, v7, v3, vcc_lo
	global_store_b64 v[0:1], v[5:6], off
.LBB158_1524:
	s_and_not1_b32 vcc_lo, exec_lo, s16
	s_cbranch_vccnz .LBB158_1526
; %bb.1525:
	v_cvt_i32_f32_e32 v3, v2
	global_store_b32 v[0:1], v3, off
.LBB158_1526:
	s_mov_b32 s16, 0
.LBB158_1527:
	s_delay_alu instid0(SALU_CYCLE_1)
	s_and_not1_b32 vcc_lo, exec_lo, s16
	s_cbranch_vccnz .LBB158_1529
; %bb.1528:
	v_cvt_i32_f32_e32 v3, v2
	global_store_b16 v[0:1], v3, off
.LBB158_1529:
	s_mov_b32 s16, 0
.LBB158_1530:
	s_delay_alu instid0(SALU_CYCLE_1)
	s_and_not1_b32 vcc_lo, exec_lo, s16
	s_cbranch_vccnz .LBB158_1535
; %bb.1531:
	v_cmp_lt_i16_e32 vcc_lo, 0, v4
	s_mov_b32 s16, -1
	s_cbranch_vccz .LBB158_1533
; %bb.1532:
	v_cvt_i32_f32_e32 v3, v2
	s_mov_b32 s16, 0
	global_store_b8 v[0:1], v3, off
.LBB158_1533:
	s_and_not1_b32 vcc_lo, exec_lo, s16
	s_cbranch_vccnz .LBB158_1535
; %bb.1534:
	v_trunc_f32_e32 v2, v2
	s_delay_alu instid0(VALU_DEP_1) | instskip(NEXT) | instid1(VALU_DEP_1)
	v_mul_f32_e64 v3, 0x2f800000, |v2|
	v_floor_f32_e32 v3, v3
	s_delay_alu instid0(VALU_DEP_1) | instskip(SKIP_1) | instid1(VALU_DEP_2)
	v_fma_f32 v3, 0xcf800000, v3, |v2|
	v_ashrrev_i32_e32 v2, 31, v2
	v_cvt_u32_f32_e32 v3, v3
	s_delay_alu instid0(VALU_DEP_1) | instskip(NEXT) | instid1(VALU_DEP_1)
	v_xor_b32_e32 v3, v3, v2
	v_sub_nc_u32_e32 v2, v3, v2
	global_store_b8 v[0:1], v2, off
.LBB158_1535:
	s_or_b32 exec_lo, exec_lo, s0
	s_delay_alu instid0(SALU_CYCLE_1)
	s_and_b32 s16, s17, exec_lo
                                        ; implicit-def: $vgpr7
.LBB158_1536:
	s_or_saveexec_b32 s15, s15
	s_mov_b32 s0, 0
                                        ; implicit-def: $vgpr9
                                        ; implicit-def: $vgpr0_vgpr1
                                        ; implicit-def: $vgpr2
	s_xor_b32 exec_lo, exec_lo, s15
	s_cbranch_execz .LBB158_3023
; %bb.1537:
	s_waitcnt vmcnt(0)
	v_mul_lo_u32 v4, s9, v7
	v_and_b32_e64 v6, 0xff, s14
	s_delay_alu instid0(VALU_DEP_1) | instskip(NEXT) | instid1(VALU_DEP_3)
	v_cmp_gt_i16_e32 vcc_lo, 11, v6
	v_ashrrev_i32_e32 v1, 31, v4
	v_add_co_u32 v0, s0, s6, v4
	s_delay_alu instid0(VALU_DEP_1)
	v_add_co_ci_u32_e64 v1, s0, s7, v1, s0
	s_cbranch_vccnz .LBB158_1544
; %bb.1538:
	v_cmp_lt_i16_e32 vcc_lo, 25, v6
	s_mov_b32 s14, 0
	s_cbranch_vccz .LBB158_1550
; %bb.1539:
	v_cmp_lt_i16_e32 vcc_lo, 28, v6
	s_cbranch_vccz .LBB158_1552
; %bb.1540:
	v_cmp_lt_i16_e32 vcc_lo, 43, v6
	;; [unrolled: 3-line block ×3, first 2 shown]
	s_cbranch_vccz .LBB158_1558
; %bb.1542:
	v_cmp_eq_u16_e32 vcc_lo, 46, v6
	s_cbranch_vccz .LBB158_1598
; %bb.1543:
	global_load_b32 v2, v[0:1], off
	s_mov_b32 s0, 0
	s_mov_b32 s17, -1
	s_waitcnt vmcnt(0)
	v_lshlrev_b32_e32 v8, 16, v2
	s_branch .LBB158_1600
.LBB158_1544:
	s_mov_b32 s17, 0
	s_mov_b32 s13, s16
                                        ; implicit-def: $vgpr8
	s_cbranch_execz .LBB158_1663
; %bb.1545:
	v_cmp_gt_i16_e32 vcc_lo, 5, v6
	s_cbranch_vccnz .LBB158_1551
; %bb.1546:
	v_cmp_gt_i16_e32 vcc_lo, 8, v6
	s_cbranch_vccnz .LBB158_1553
	;; [unrolled: 3-line block ×3, first 2 shown]
; %bb.1548:
	v_cmp_lt_i16_e32 vcc_lo, 9, v6
	s_cbranch_vccz .LBB158_1559
; %bb.1549:
	global_load_b64 v[2:3], v[0:1], off
	s_mov_b32 s0, 0
	s_waitcnt vmcnt(0)
	v_cvt_f32_f64_e32 v8, v[2:3]
	s_branch .LBB158_1560
.LBB158_1550:
	s_mov_b32 s17, 0
	s_mov_b32 s0, 0
                                        ; implicit-def: $vgpr8
	s_cbranch_execnz .LBB158_1628
	s_branch .LBB158_1659
.LBB158_1551:
                                        ; implicit-def: $vgpr8
	s_branch .LBB158_1577
.LBB158_1552:
	s_mov_b32 s13, -1
	s_mov_b32 s17, 0
	s_mov_b32 s0, 0
                                        ; implicit-def: $vgpr8
	s_branch .LBB158_1609
.LBB158_1553:
                                        ; implicit-def: $vgpr8
	s_branch .LBB158_1566
.LBB158_1554:
	s_mov_b32 s17, 0
	s_mov_b32 s0, 0
                                        ; implicit-def: $vgpr8
	s_cbranch_execnz .LBB158_1605
	s_branch .LBB158_1608
.LBB158_1555:
	s_mov_b32 s0, -1
                                        ; implicit-def: $vgpr8
	s_branch .LBB158_1563
.LBB158_1556:
	s_cbranch_execnz .LBB158_1596
; %bb.1557:
	s_or_b32 s17, s17, exec_lo
	s_and_not1_b32 s0, s0, exec_lo
	s_or_b32 exec_lo, exec_lo, s18
	s_and_saveexec_b32 s16, s0
	s_delay_alu instid0(SALU_CYCLE_1)
	s_xor_b32 s0, exec_lo, s16
	s_cbranch_execnz .LBB158_1496
	s_branch .LBB158_1497
.LBB158_1558:
	s_mov_b32 s13, -1
	s_mov_b32 s17, 0
	s_mov_b32 s0, 0
	s_branch .LBB158_1599
.LBB158_1559:
	s_mov_b32 s0, -1
                                        ; implicit-def: $vgpr8
.LBB158_1560:
	s_delay_alu instid0(SALU_CYCLE_1)
	s_and_not1_b32 vcc_lo, exec_lo, s0
	s_cbranch_vccnz .LBB158_1562
; %bb.1561:
	global_load_b32 v8, v[0:1], off
.LBB158_1562:
	s_mov_b32 s0, 0
.LBB158_1563:
	s_delay_alu instid0(SALU_CYCLE_1)
	s_and_not1_b32 vcc_lo, exec_lo, s0
	s_cbranch_vccnz .LBB158_1565
; %bb.1564:
	global_load_b32 v2, v[0:1], off
	s_waitcnt vmcnt(0)
	v_cvt_f32_f16_e32 v8, v2
.LBB158_1565:
	s_cbranch_execnz .LBB158_1576
.LBB158_1566:
	v_cmp_gt_i16_e32 vcc_lo, 6, v6
	s_cbranch_vccnz .LBB158_1569
; %bb.1567:
	v_cmp_lt_i16_e32 vcc_lo, 6, v6
	s_cbranch_vccz .LBB158_1570
; %bb.1568:
	global_load_b64 v[2:3], v[0:1], off
	s_mov_b32 s0, 0
	s_waitcnt vmcnt(0)
	v_cvt_f32_f64_e32 v8, v[2:3]
	s_branch .LBB158_1571
.LBB158_1569:
	s_mov_b32 s0, -1
                                        ; implicit-def: $vgpr8
	s_branch .LBB158_1574
.LBB158_1570:
	s_mov_b32 s0, -1
                                        ; implicit-def: $vgpr8
.LBB158_1571:
	s_delay_alu instid0(SALU_CYCLE_1)
	s_and_not1_b32 vcc_lo, exec_lo, s0
	s_cbranch_vccnz .LBB158_1573
; %bb.1572:
	global_load_b32 v8, v[0:1], off
.LBB158_1573:
	s_mov_b32 s0, 0
.LBB158_1574:
	s_delay_alu instid0(SALU_CYCLE_1)
	s_and_not1_b32 vcc_lo, exec_lo, s0
	s_cbranch_vccnz .LBB158_1576
; %bb.1575:
	global_load_u16 v2, v[0:1], off
	s_waitcnt vmcnt(0)
	v_cvt_f32_f16_e32 v8, v2
.LBB158_1576:
	s_cbranch_execnz .LBB158_1595
.LBB158_1577:
	v_cmp_gt_i16_e32 vcc_lo, 2, v6
	s_cbranch_vccnz .LBB158_1581
; %bb.1578:
	v_cmp_gt_i16_e32 vcc_lo, 3, v6
	s_cbranch_vccnz .LBB158_1582
; %bb.1579:
	v_cmp_lt_i16_e32 vcc_lo, 3, v6
	s_cbranch_vccz .LBB158_1583
; %bb.1580:
	global_load_b64 v[2:3], v[0:1], off
	s_mov_b32 s0, 0
	s_waitcnt vmcnt(0)
	v_xor_b32_e32 v5, v2, v3
	v_cls_i32_e32 v8, v3
	s_delay_alu instid0(VALU_DEP_2) | instskip(NEXT) | instid1(VALU_DEP_2)
	v_ashrrev_i32_e32 v5, 31, v5
	v_add_nc_u32_e32 v8, -1, v8
	s_delay_alu instid0(VALU_DEP_2) | instskip(NEXT) | instid1(VALU_DEP_1)
	v_add_nc_u32_e32 v5, 32, v5
	v_min_u32_e32 v5, v8, v5
	s_delay_alu instid0(VALU_DEP_1) | instskip(NEXT) | instid1(VALU_DEP_1)
	v_lshlrev_b64 v[2:3], v5, v[2:3]
	v_min_u32_e32 v2, 1, v2
	s_delay_alu instid0(VALU_DEP_1) | instskip(SKIP_1) | instid1(VALU_DEP_2)
	v_or_b32_e32 v2, v3, v2
	v_sub_nc_u32_e32 v3, 32, v5
	v_cvt_f32_i32_e32 v2, v2
	s_delay_alu instid0(VALU_DEP_1)
	v_ldexp_f32 v8, v2, v3
	s_branch .LBB158_1584
.LBB158_1581:
                                        ; implicit-def: $vgpr8
	s_branch .LBB158_1590
.LBB158_1582:
	s_mov_b32 s0, -1
                                        ; implicit-def: $vgpr8
	s_branch .LBB158_1587
.LBB158_1583:
	s_mov_b32 s0, -1
                                        ; implicit-def: $vgpr8
.LBB158_1584:
	s_delay_alu instid0(SALU_CYCLE_1)
	s_and_not1_b32 vcc_lo, exec_lo, s0
	s_cbranch_vccnz .LBB158_1586
; %bb.1585:
	global_load_b32 v2, v[0:1], off
	s_waitcnt vmcnt(0)
	v_cvt_f32_i32_e32 v8, v2
.LBB158_1586:
	s_mov_b32 s0, 0
.LBB158_1587:
	s_delay_alu instid0(SALU_CYCLE_1)
	s_and_not1_b32 vcc_lo, exec_lo, s0
	s_cbranch_vccnz .LBB158_1589
; %bb.1588:
	global_load_i16 v2, v[0:1], off
	s_waitcnt vmcnt(0)
	v_cvt_f32_i32_e32 v8, v2
.LBB158_1589:
	s_cbranch_execnz .LBB158_1595
.LBB158_1590:
	v_cmp_lt_i16_e32 vcc_lo, 0, v6
	s_mov_b32 s0, 0
	s_cbranch_vccz .LBB158_1592
; %bb.1591:
	global_load_i8 v2, v[0:1], off
	s_waitcnt vmcnt(0)
	v_cvt_f32_i32_e32 v8, v2
	s_branch .LBB158_1593
.LBB158_1592:
	s_mov_b32 s0, -1
                                        ; implicit-def: $vgpr8
.LBB158_1593:
	s_delay_alu instid0(SALU_CYCLE_1)
	s_and_not1_b32 vcc_lo, exec_lo, s0
	s_cbranch_vccnz .LBB158_1595
; %bb.1594:
	global_load_u8 v0, v[0:1], off
	s_waitcnt vmcnt(0)
	v_cvt_f32_ubyte0_e32 v8, v0
.LBB158_1595:
	s_branch .LBB158_1664
.LBB158_1596:
	s_trap 2
	s_sendmsg_rtn_b32 s0, sendmsg(MSG_RTN_GET_DOORBELL)
	s_mov_b32 ttmp2, m0
	s_waitcnt lgkmcnt(0)
	s_and_b32 s0, s0, 0x3ff
	s_delay_alu instid0(SALU_CYCLE_1) | instskip(NEXT) | instid1(SALU_CYCLE_1)
	s_bitset1_b32 s0, 10
	s_mov_b32 m0, s0
	s_sendmsg sendmsg(MSG_INTERRUPT)
	s_mov_b32 m0, ttmp2
.LBB158_1597:                           ; =>This Inner Loop Header: Depth=1
	s_sethalt 5
	s_branch .LBB158_1597
.LBB158_1598:
	s_mov_b32 s0, -1
	s_mov_b32 s17, 0
.LBB158_1599:
                                        ; implicit-def: $vgpr8
.LBB158_1600:
	s_and_b32 vcc_lo, exec_lo, s13
	s_cbranch_vccz .LBB158_1603
; %bb.1601:
	v_cmp_eq_u16_e32 vcc_lo, 44, v6
	s_cbranch_vccz .LBB158_1604
; %bb.1602:
	global_load_u8 v2, v[0:1], off
	s_mov_b32 s0, 0
	s_mov_b32 s17, -1
	s_waitcnt vmcnt(0)
	v_lshlrev_b32_e32 v3, 23, v2
	v_cmp_ne_u32_e32 vcc_lo, 0xff, v2
	s_delay_alu instid0(VALU_DEP_2) | instskip(SKIP_1) | instid1(VALU_DEP_2)
	v_cndmask_b32_e32 v3, 0x7f800001, v3, vcc_lo
	v_cmp_ne_u32_e32 vcc_lo, 0, v2
	v_cndmask_b32_e32 v8, 0x400000, v3, vcc_lo
.LBB158_1603:
	s_branch .LBB158_1608
.LBB158_1604:
	s_mov_b32 s0, -1
                                        ; implicit-def: $vgpr8
	s_branch .LBB158_1608
.LBB158_1605:
	v_cmp_eq_u16_e32 vcc_lo, 29, v6
	s_cbranch_vccz .LBB158_1607
; %bb.1606:
	global_load_b64 v[2:3], v[0:1], off
	s_mov_b32 s0, 0
	s_mov_b32 s17, -1
	s_mov_b32 s13, 0
	s_waitcnt vmcnt(0)
	v_clz_i32_u32_e32 v5, v3
	s_delay_alu instid0(VALU_DEP_1) | instskip(NEXT) | instid1(VALU_DEP_1)
	v_min_u32_e32 v5, 32, v5
	v_lshlrev_b64 v[2:3], v5, v[2:3]
	s_delay_alu instid0(VALU_DEP_1) | instskip(NEXT) | instid1(VALU_DEP_1)
	v_min_u32_e32 v2, 1, v2
	v_or_b32_e32 v2, v3, v2
	v_sub_nc_u32_e32 v3, 32, v5
	s_delay_alu instid0(VALU_DEP_2) | instskip(NEXT) | instid1(VALU_DEP_1)
	v_cvt_f32_u32_e32 v2, v2
	v_ldexp_f32 v8, v2, v3
	s_branch .LBB158_1609
.LBB158_1607:
	s_mov_b32 s0, -1
                                        ; implicit-def: $vgpr8
.LBB158_1608:
	s_mov_b32 s13, 0
.LBB158_1609:
	s_delay_alu instid0(SALU_CYCLE_1)
	s_and_b32 vcc_lo, exec_lo, s13
	s_cbranch_vccz .LBB158_1627
; %bb.1610:
	v_cmp_gt_i16_e32 vcc_lo, 27, v6
	s_cbranch_vccnz .LBB158_1613
; %bb.1611:
	v_cmp_lt_i16_e32 vcc_lo, 27, v6
	s_cbranch_vccz .LBB158_1614
; %bb.1612:
	global_load_b32 v2, v[0:1], off
	s_mov_b32 s13, 0
	s_waitcnt vmcnt(0)
	v_cvt_f32_u32_e32 v8, v2
	s_branch .LBB158_1615
.LBB158_1613:
	s_mov_b32 s13, -1
                                        ; implicit-def: $vgpr8
	s_branch .LBB158_1618
.LBB158_1614:
	s_mov_b32 s13, -1
                                        ; implicit-def: $vgpr8
.LBB158_1615:
	s_delay_alu instid0(SALU_CYCLE_1)
	s_and_not1_b32 vcc_lo, exec_lo, s13
	s_cbranch_vccnz .LBB158_1617
; %bb.1616:
	global_load_u16 v2, v[0:1], off
	s_waitcnt vmcnt(0)
	v_cvt_f32_u32_e32 v8, v2
.LBB158_1617:
	s_mov_b32 s13, 0
.LBB158_1618:
	s_delay_alu instid0(SALU_CYCLE_1)
	s_and_not1_b32 vcc_lo, exec_lo, s13
	s_cbranch_vccnz .LBB158_1626
; %bb.1619:
	global_load_u8 v2, v[0:1], off
	s_mov_b32 s13, 0
	s_mov_b32 s18, exec_lo
                                        ; implicit-def: $sgpr17
	s_waitcnt vmcnt(0)
	v_cmpx_lt_i16_e32 0x7f, v2
	s_xor_b32 s18, exec_lo, s18
	s_cbranch_execz .LBB158_1639
; %bb.1620:
	s_mov_b32 s13, -1
	s_mov_b32 s19, exec_lo
                                        ; implicit-def: $sgpr17
	v_cmpx_eq_u16_e32 0x80, v2
; %bb.1621:
	s_mov_b32 s17, 0x7f800001
	s_xor_b32 s13, exec_lo, -1
; %bb.1622:
	s_or_b32 exec_lo, exec_lo, s19
	s_delay_alu instid0(SALU_CYCLE_1)
	s_and_b32 s13, s13, exec_lo
	s_or_saveexec_b32 s18, s18
	v_mov_b32_e32 v8, s17
	s_xor_b32 exec_lo, exec_lo, s18
	s_cbranch_execnz .LBB158_1640
.LBB158_1623:
	s_or_b32 exec_lo, exec_lo, s18
	s_and_saveexec_b32 s17, s13
	s_cbranch_execz .LBB158_1625
.LBB158_1624:
	v_and_b32_e32 v3, 0xffff, v2
	s_delay_alu instid0(VALU_DEP_1) | instskip(NEXT) | instid1(VALU_DEP_1)
	v_and_b32_e32 v5, 7, v3
	v_clz_i32_u32_e32 v8, v5
	s_delay_alu instid0(VALU_DEP_1) | instskip(NEXT) | instid1(VALU_DEP_1)
	v_min_u32_e32 v8, 32, v8
	v_subrev_nc_u32_e32 v9, 28, v8
	v_sub_nc_u32_e32 v8, 29, v8
	s_delay_alu instid0(VALU_DEP_2) | instskip(SKIP_1) | instid1(VALU_DEP_2)
	v_lshlrev_b32_e32 v9, v9, v3
	v_bfe_u32 v3, v3, 3, 4
	v_and_b32_e32 v9, 7, v9
	s_delay_alu instid0(VALU_DEP_2) | instskip(SKIP_1) | instid1(VALU_DEP_1)
	v_cmp_eq_u32_e32 vcc_lo, 0, v3
	v_dual_cndmask_b32 v3, v3, v8 :: v_dual_lshlrev_b32 v2, 24, v2
	v_dual_cndmask_b32 v5, v5, v9 :: v_dual_and_b32 v2, 0x80000000, v2
	s_delay_alu instid0(VALU_DEP_2) | instskip(NEXT) | instid1(VALU_DEP_2)
	v_lshl_add_u32 v3, v3, 23, 0x3b800000
	v_lshlrev_b32_e32 v5, 20, v5
	s_delay_alu instid0(VALU_DEP_1)
	v_or3_b32 v8, v2, v3, v5
.LBB158_1625:
	s_or_b32 exec_lo, exec_lo, s17
.LBB158_1626:
	s_mov_b32 s17, -1
.LBB158_1627:
	s_branch .LBB158_1659
.LBB158_1628:
	v_cmp_lt_i16_e32 vcc_lo, 22, v6
	s_cbranch_vccz .LBB158_1638
; %bb.1629:
	v_cmp_gt_i16_e32 vcc_lo, 24, v6
	s_cbranch_vccnz .LBB158_1641
; %bb.1630:
	v_cmp_lt_i16_e32 vcc_lo, 24, v6
	s_cbranch_vccz .LBB158_1642
; %bb.1631:
	global_load_u8 v2, v[0:1], off
	s_mov_b32 s13, 0
	s_mov_b32 s17, exec_lo
                                        ; implicit-def: $sgpr14
	s_waitcnt vmcnt(0)
	v_cmpx_lt_i16_e32 0x7f, v2
	s_xor_b32 s17, exec_lo, s17
	s_cbranch_execz .LBB158_1653
; %bb.1632:
	s_mov_b32 s13, -1
	s_mov_b32 s18, exec_lo
                                        ; implicit-def: $sgpr14
	v_cmpx_eq_u16_e32 0x80, v2
; %bb.1633:
	s_mov_b32 s14, 0x7f800001
	s_xor_b32 s13, exec_lo, -1
; %bb.1634:
	s_or_b32 exec_lo, exec_lo, s18
	s_delay_alu instid0(SALU_CYCLE_1)
	s_and_b32 s13, s13, exec_lo
	s_or_saveexec_b32 s17, s17
	v_mov_b32_e32 v8, s14
	s_xor_b32 exec_lo, exec_lo, s17
	s_cbranch_execnz .LBB158_1654
.LBB158_1635:
	s_or_b32 exec_lo, exec_lo, s17
	s_and_saveexec_b32 s14, s13
	s_cbranch_execz .LBB158_1637
.LBB158_1636:
	v_and_b32_e32 v3, 0xffff, v2
	s_delay_alu instid0(VALU_DEP_1) | instskip(NEXT) | instid1(VALU_DEP_1)
	v_and_b32_e32 v5, 3, v3
	v_clz_i32_u32_e32 v8, v5
	s_delay_alu instid0(VALU_DEP_1) | instskip(NEXT) | instid1(VALU_DEP_1)
	v_min_u32_e32 v8, 32, v8
	v_subrev_nc_u32_e32 v9, 29, v8
	v_sub_nc_u32_e32 v8, 30, v8
	s_delay_alu instid0(VALU_DEP_2) | instskip(SKIP_1) | instid1(VALU_DEP_2)
	v_lshlrev_b32_e32 v9, v9, v3
	v_bfe_u32 v3, v3, 2, 5
	v_and_b32_e32 v9, 3, v9
	s_delay_alu instid0(VALU_DEP_2) | instskip(SKIP_1) | instid1(VALU_DEP_1)
	v_cmp_eq_u32_e32 vcc_lo, 0, v3
	v_dual_cndmask_b32 v3, v3, v8 :: v_dual_lshlrev_b32 v2, 24, v2
	v_dual_cndmask_b32 v5, v5, v9 :: v_dual_and_b32 v2, 0x80000000, v2
	s_delay_alu instid0(VALU_DEP_2) | instskip(NEXT) | instid1(VALU_DEP_2)
	v_lshl_add_u32 v3, v3, 23, 0x37800000
	v_lshlrev_b32_e32 v5, 21, v5
	s_delay_alu instid0(VALU_DEP_1)
	v_or3_b32 v8, v2, v3, v5
.LBB158_1637:
	s_or_b32 exec_lo, exec_lo, s14
	s_mov_b32 s13, 0
	s_branch .LBB158_1643
.LBB158_1638:
                                        ; implicit-def: $vgpr8
	s_mov_b32 s14, 0
	s_branch .LBB158_1649
.LBB158_1639:
	s_or_saveexec_b32 s18, s18
	v_mov_b32_e32 v8, s17
	s_xor_b32 exec_lo, exec_lo, s18
	s_cbranch_execz .LBB158_1623
.LBB158_1640:
	v_cmp_ne_u16_e32 vcc_lo, 0, v2
	v_mov_b32_e32 v8, 0
	s_and_not1_b32 s13, s13, exec_lo
	s_and_b32 s17, vcc_lo, exec_lo
	s_delay_alu instid0(SALU_CYCLE_1)
	s_or_b32 s13, s13, s17
	s_or_b32 exec_lo, exec_lo, s18
	s_and_saveexec_b32 s17, s13
	s_cbranch_execnz .LBB158_1624
	s_branch .LBB158_1625
.LBB158_1641:
	s_mov_b32 s13, -1
                                        ; implicit-def: $vgpr8
	s_branch .LBB158_1646
.LBB158_1642:
	s_mov_b32 s13, -1
                                        ; implicit-def: $vgpr8
.LBB158_1643:
	s_delay_alu instid0(SALU_CYCLE_1)
	s_and_b32 vcc_lo, exec_lo, s13
	s_cbranch_vccz .LBB158_1645
; %bb.1644:
	global_load_u8 v2, v[0:1], off
	s_waitcnt vmcnt(0)
	v_lshlrev_b32_e32 v2, 24, v2
	s_delay_alu instid0(VALU_DEP_1) | instskip(NEXT) | instid1(VALU_DEP_1)
	v_and_b32_e32 v3, 0x7f000000, v2
	v_clz_i32_u32_e32 v5, v3
	v_add_nc_u32_e32 v9, 0x1000000, v3
	v_cmp_ne_u32_e32 vcc_lo, 0, v3
	s_delay_alu instid0(VALU_DEP_3) | instskip(NEXT) | instid1(VALU_DEP_1)
	v_min_u32_e32 v5, 32, v5
	v_sub_nc_u32_e64 v5, v5, 4 clamp
	s_delay_alu instid0(VALU_DEP_1) | instskip(SKIP_1) | instid1(VALU_DEP_2)
	v_lshlrev_b32_e32 v8, v5, v3
	v_lshlrev_b32_e32 v5, 23, v5
	v_lshrrev_b32_e32 v8, 4, v8
	s_delay_alu instid0(VALU_DEP_1) | instskip(SKIP_1) | instid1(VALU_DEP_2)
	v_sub_nc_u32_e32 v5, v8, v5
	v_ashrrev_i32_e32 v8, 8, v9
	v_add_nc_u32_e32 v5, 0x3c000000, v5
	s_delay_alu instid0(VALU_DEP_1) | instskip(NEXT) | instid1(VALU_DEP_1)
	v_and_or_b32 v5, 0x7f800000, v8, v5
	v_cndmask_b32_e32 v3, 0, v5, vcc_lo
	s_delay_alu instid0(VALU_DEP_1)
	v_and_or_b32 v8, 0x80000000, v2, v3
.LBB158_1645:
	s_mov_b32 s13, 0
.LBB158_1646:
	s_delay_alu instid0(SALU_CYCLE_1)
	s_and_not1_b32 vcc_lo, exec_lo, s13
	s_cbranch_vccnz .LBB158_1648
; %bb.1647:
	global_load_u8 v2, v[0:1], off
	s_waitcnt vmcnt(0)
	v_lshlrev_b32_e32 v3, 25, v2
	v_lshlrev_b16 v2, 8, v2
	s_delay_alu instid0(VALU_DEP_1) | instskip(SKIP_1) | instid1(VALU_DEP_2)
	v_and_or_b32 v8, 0x7f00, v2, 0.5
	v_bfe_i32 v2, v2, 0, 16
	v_add_f32_e32 v8, -0.5, v8
	v_lshrrev_b32_e32 v5, 4, v3
	v_cmp_gt_u32_e32 vcc_lo, 0x8000000, v3
	s_delay_alu instid0(VALU_DEP_2) | instskip(NEXT) | instid1(VALU_DEP_1)
	v_or_b32_e32 v5, 0x70000000, v5
	v_mul_f32_e32 v5, 0x7800000, v5
	s_delay_alu instid0(VALU_DEP_1) | instskip(NEXT) | instid1(VALU_DEP_1)
	v_cndmask_b32_e32 v3, v5, v8, vcc_lo
	v_and_or_b32 v8, 0x80000000, v2, v3
.LBB158_1648:
	s_mov_b32 s17, -1
	s_mov_b32 s14, 0
	s_cbranch_execnz .LBB158_1659
.LBB158_1649:
	v_cmp_lt_i16_e32 vcc_lo, 14, v6
	s_cbranch_vccz .LBB158_1652
; %bb.1650:
	v_cmp_eq_u16_e32 vcc_lo, 15, v6
	s_cbranch_vccz .LBB158_1655
; %bb.1651:
	global_load_u16 v2, v[0:1], off
	s_mov_b32 s0, 0
	s_mov_b32 s17, -1
	s_waitcnt vmcnt(0)
	v_lshlrev_b32_e32 v8, 16, v2
	s_branch .LBB158_1656
.LBB158_1652:
	s_mov_b32 s13, -1
                                        ; implicit-def: $vgpr8
	s_branch .LBB158_1657
.LBB158_1653:
	s_or_saveexec_b32 s17, s17
	v_mov_b32_e32 v8, s14
	s_xor_b32 exec_lo, exec_lo, s17
	s_cbranch_execz .LBB158_1635
.LBB158_1654:
	v_cmp_ne_u16_e32 vcc_lo, 0, v2
	v_mov_b32_e32 v8, 0
	s_and_not1_b32 s13, s13, exec_lo
	s_and_b32 s14, vcc_lo, exec_lo
	s_delay_alu instid0(SALU_CYCLE_1)
	s_or_b32 s13, s13, s14
	s_or_b32 exec_lo, exec_lo, s17
	s_and_saveexec_b32 s14, s13
	s_cbranch_execnz .LBB158_1636
	s_branch .LBB158_1637
.LBB158_1655:
	s_mov_b32 s0, -1
                                        ; implicit-def: $vgpr8
.LBB158_1656:
	s_mov_b32 s13, 0
.LBB158_1657:
	s_delay_alu instid0(SALU_CYCLE_1)
	s_and_b32 vcc_lo, exec_lo, s13
	s_cbranch_vccz .LBB158_1659
; %bb.1658:
	v_cmp_ne_u16_e64 s0, 11, v6
	s_mov_b32 s14, -1
                                        ; implicit-def: $vgpr8
.LBB158_1659:
	s_delay_alu instid0(VALU_DEP_1)
	s_and_b32 vcc_lo, exec_lo, s0
	s_mov_b32 s13, s16
	s_cbranch_vccnz .LBB158_1683
; %bb.1660:
	s_and_not1_b32 vcc_lo, exec_lo, s14
	s_cbranch_vccnz .LBB158_1662
.LBB158_1661:
	global_load_u8 v2, v[0:1], off
	s_mov_b32 s17, -1
	s_waitcnt vmcnt(0)
	v_cmp_ne_u16_e32 vcc_lo, 0, v2
	v_cndmask_b32_e64 v8, 0, 1.0, vcc_lo
.LBB158_1662:
.LBB158_1663:
	s_and_not1_b32 vcc_lo, exec_lo, s17
	s_cbranch_vccnz .LBB158_3021
.LBB158_1664:
	v_mul_lo_u32 v5, s10, v7
	v_and_b32_e64 v9, 0xff, s1
	s_delay_alu instid0(VALU_DEP_1) | instskip(NEXT) | instid1(VALU_DEP_3)
	v_cmp_gt_i16_e32 vcc_lo, 11, v9
	v_ashrrev_i32_e32 v0, 31, v5
	v_add_co_u32 v2, s0, s2, v5
	s_delay_alu instid0(VALU_DEP_1)
	v_add_co_ci_u32_e64 v3, s0, s3, v0, s0
	s_cbranch_vccnz .LBB158_1671
; %bb.1665:
	v_cmp_lt_i16_e32 vcc_lo, 25, v9
	s_mov_b32 s1, 0
	s_cbranch_vccz .LBB158_1677
; %bb.1666:
	v_cmp_lt_i16_e32 vcc_lo, 28, v9
	s_cbranch_vccz .LBB158_1679
; %bb.1667:
	v_cmp_lt_i16_e32 vcc_lo, 43, v9
	;; [unrolled: 3-line block ×3, first 2 shown]
	s_cbranch_vccz .LBB158_1685
; %bb.1669:
	v_cmp_eq_u16_e32 vcc_lo, 46, v9
	s_mov_b32 s17, 0
	s_cbranch_vccz .LBB158_1729
; %bb.1670:
	global_load_b32 v0, v[2:3], off
	s_mov_b32 s0, 0
	s_mov_b32 s14, -1
	s_waitcnt vmcnt(0)
	v_lshlrev_b32_e32 v0, 16, v0
	s_delay_alu instid0(VALU_DEP_1) | instskip(NEXT) | instid1(VALU_DEP_1)
	v_trunc_f32_e32 v0, v0
	v_mul_f32_e64 v1, 0x2f800000, |v0|
	s_delay_alu instid0(VALU_DEP_1) | instskip(NEXT) | instid1(VALU_DEP_1)
	v_floor_f32_e32 v1, v1
	v_fma_f32 v1, 0xcf800000, v1, |v0|
	v_ashrrev_i32_e32 v0, 31, v0
	s_delay_alu instid0(VALU_DEP_2) | instskip(NEXT) | instid1(VALU_DEP_1)
	v_cvt_u32_f32_e32 v1, v1
	v_xor_b32_e32 v1, v1, v0
	s_delay_alu instid0(VALU_DEP_1)
	v_sub_nc_u32_e32 v0, v1, v0
	s_branch .LBB158_1731
.LBB158_1671:
	s_mov_b32 s14, 0
                                        ; implicit-def: $vgpr0
	s_cbranch_execz .LBB158_1792
; %bb.1672:
	v_cmp_gt_i16_e32 vcc_lo, 5, v9
	s_cbranch_vccnz .LBB158_1678
; %bb.1673:
	v_cmp_gt_i16_e32 vcc_lo, 8, v9
	s_cbranch_vccnz .LBB158_1680
	;; [unrolled: 3-line block ×3, first 2 shown]
; %bb.1675:
	v_cmp_lt_i16_e32 vcc_lo, 9, v9
	s_cbranch_vccz .LBB158_1688
; %bb.1676:
	global_load_b64 v[0:1], v[2:3], off
	s_mov_b32 s0, 0
	s_waitcnt vmcnt(0)
	v_trunc_f64_e32 v[0:1], v[0:1]
	s_delay_alu instid0(VALU_DEP_1) | instskip(NEXT) | instid1(VALU_DEP_1)
	v_ldexp_f64 v[10:11], v[0:1], 0xffffffe0
	v_floor_f64_e32 v[10:11], v[10:11]
	s_delay_alu instid0(VALU_DEP_1) | instskip(NEXT) | instid1(VALU_DEP_1)
	v_fma_f64 v[0:1], 0xc1f00000, v[10:11], v[0:1]
	v_cvt_u32_f64_e32 v0, v[0:1]
	s_branch .LBB158_1689
.LBB158_1677:
	s_mov_b32 s14, 0
	s_mov_b32 s0, 0
                                        ; implicit-def: $vgpr0
	s_cbranch_execnz .LBB158_1758
	s_branch .LBB158_1788
.LBB158_1678:
                                        ; implicit-def: $vgpr0
	s_branch .LBB158_1707
.LBB158_1679:
	s_mov_b32 s17, -1
	s_mov_b32 s14, 0
	s_mov_b32 s0, 0
                                        ; implicit-def: $vgpr0
	s_branch .LBB158_1741
.LBB158_1680:
	s_mov_b32 s0, -1
                                        ; implicit-def: $vgpr0
	s_branch .LBB158_1695
.LBB158_1681:
	s_mov_b32 s17, -1
	s_mov_b32 s14, 0
	s_mov_b32 s0, 0
                                        ; implicit-def: $vgpr0
	s_branch .LBB158_1736
.LBB158_1682:
	s_mov_b32 s0, -1
                                        ; implicit-def: $vgpr0
	s_branch .LBB158_1692
.LBB158_1683:
	s_cbranch_execnz .LBB158_1727
; %bb.1684:
	s_or_b32 s13, s16, exec_lo
                                        ; implicit-def: $vgpr8
	s_cbranch_execz .LBB158_1661
	s_branch .LBB158_1662
.LBB158_1685:
	s_mov_b32 s17, -1
	s_mov_b32 s14, 0
	s_mov_b32 s0, 0
	s_branch .LBB158_1730
.LBB158_1686:
	s_or_saveexec_b32 s21, s21
                                        ; implicit-def: $sgpr22
	s_delay_alu instid0(SALU_CYCLE_1)
	s_xor_b32 exec_lo, exec_lo, s21
	s_cbranch_execz .LBB158_1447
.LBB158_1687:
	v_add_f32_e64 v3, 0x46000000, |v2|
	s_and_not1_b32 s20, s20, exec_lo
	s_mov_b32 s22, 0
	s_delay_alu instid0(VALU_DEP_1) | instskip(NEXT) | instid1(VALU_DEP_1)
	v_and_b32_e32 v3, 0xff, v3
	v_cmp_ne_u32_e32 vcc_lo, 0, v3
	s_and_b32 s23, vcc_lo, exec_lo
	s_delay_alu instid0(SALU_CYCLE_1)
	s_or_b32 s20, s20, s23
	s_or_b32 exec_lo, exec_lo, s21
	v_mov_b32_e32 v5, s22
	s_and_saveexec_b32 s21, s20
	s_cbranch_execnz .LBB158_1448
	s_branch .LBB158_1449
.LBB158_1688:
	s_mov_b32 s0, -1
                                        ; implicit-def: $vgpr0
.LBB158_1689:
	s_delay_alu instid0(SALU_CYCLE_1)
	s_and_not1_b32 vcc_lo, exec_lo, s0
	s_cbranch_vccnz .LBB158_1691
; %bb.1690:
	global_load_b32 v0, v[2:3], off
	s_waitcnt vmcnt(0)
	v_trunc_f32_e32 v0, v0
	s_delay_alu instid0(VALU_DEP_1) | instskip(NEXT) | instid1(VALU_DEP_1)
	v_mul_f32_e64 v1, 0x2f800000, |v0|
	v_floor_f32_e32 v1, v1
	s_delay_alu instid0(VALU_DEP_1) | instskip(SKIP_1) | instid1(VALU_DEP_2)
	v_fma_f32 v1, 0xcf800000, v1, |v0|
	v_ashrrev_i32_e32 v0, 31, v0
	v_cvt_u32_f32_e32 v1, v1
	s_delay_alu instid0(VALU_DEP_1) | instskip(NEXT) | instid1(VALU_DEP_1)
	v_xor_b32_e32 v1, v1, v0
	v_sub_nc_u32_e32 v0, v1, v0
.LBB158_1691:
	s_mov_b32 s0, 0
.LBB158_1692:
	s_delay_alu instid0(SALU_CYCLE_1)
	s_and_not1_b32 vcc_lo, exec_lo, s0
	s_cbranch_vccnz .LBB158_1694
; %bb.1693:
	global_load_b32 v0, v[2:3], off
	s_waitcnt vmcnt(0)
	v_cvt_f32_f16_e32 v0, v0
	s_delay_alu instid0(VALU_DEP_1)
	v_cvt_i32_f32_e32 v0, v0
.LBB158_1694:
	s_mov_b32 s0, 0
.LBB158_1695:
	s_delay_alu instid0(SALU_CYCLE_1)
	s_and_not1_b32 vcc_lo, exec_lo, s0
	s_cbranch_vccnz .LBB158_1706
; %bb.1696:
	v_cmp_gt_i16_e32 vcc_lo, 6, v9
	s_cbranch_vccnz .LBB158_1699
; %bb.1697:
	v_cmp_lt_i16_e32 vcc_lo, 6, v9
	s_cbranch_vccz .LBB158_1700
; %bb.1698:
	global_load_b64 v[0:1], v[2:3], off
	s_mov_b32 s0, 0
	s_waitcnt vmcnt(0)
	v_trunc_f64_e32 v[0:1], v[0:1]
	s_delay_alu instid0(VALU_DEP_1) | instskip(NEXT) | instid1(VALU_DEP_1)
	v_ldexp_f64 v[10:11], v[0:1], 0xffffffe0
	v_floor_f64_e32 v[10:11], v[10:11]
	s_delay_alu instid0(VALU_DEP_1) | instskip(NEXT) | instid1(VALU_DEP_1)
	v_fma_f64 v[0:1], 0xc1f00000, v[10:11], v[0:1]
	v_cvt_u32_f64_e32 v0, v[0:1]
	s_branch .LBB158_1701
.LBB158_1699:
	s_mov_b32 s0, -1
                                        ; implicit-def: $vgpr0
	s_branch .LBB158_1704
.LBB158_1700:
	s_mov_b32 s0, -1
                                        ; implicit-def: $vgpr0
.LBB158_1701:
	s_delay_alu instid0(SALU_CYCLE_1)
	s_and_not1_b32 vcc_lo, exec_lo, s0
	s_cbranch_vccnz .LBB158_1703
; %bb.1702:
	global_load_b32 v0, v[2:3], off
	s_waitcnt vmcnt(0)
	v_trunc_f32_e32 v0, v0
	s_delay_alu instid0(VALU_DEP_1) | instskip(NEXT) | instid1(VALU_DEP_1)
	v_mul_f32_e64 v1, 0x2f800000, |v0|
	v_floor_f32_e32 v1, v1
	s_delay_alu instid0(VALU_DEP_1) | instskip(SKIP_1) | instid1(VALU_DEP_2)
	v_fma_f32 v1, 0xcf800000, v1, |v0|
	v_ashrrev_i32_e32 v0, 31, v0
	v_cvt_u32_f32_e32 v1, v1
	s_delay_alu instid0(VALU_DEP_1) | instskip(NEXT) | instid1(VALU_DEP_1)
	v_xor_b32_e32 v1, v1, v0
	v_sub_nc_u32_e32 v0, v1, v0
.LBB158_1703:
	s_mov_b32 s0, 0
.LBB158_1704:
	s_delay_alu instid0(SALU_CYCLE_1)
	s_and_not1_b32 vcc_lo, exec_lo, s0
	s_cbranch_vccnz .LBB158_1706
; %bb.1705:
	global_load_u16 v0, v[2:3], off
	s_waitcnt vmcnt(0)
	v_cvt_f32_f16_e32 v0, v0
	s_delay_alu instid0(VALU_DEP_1)
	v_cvt_i32_f32_e32 v0, v0
.LBB158_1706:
	s_cbranch_execnz .LBB158_1726
.LBB158_1707:
	v_cmp_gt_i16_e32 vcc_lo, 2, v9
	s_cbranch_vccnz .LBB158_1711
; %bb.1708:
	v_cmp_gt_i16_e32 vcc_lo, 3, v9
	s_cbranch_vccnz .LBB158_1712
; %bb.1709:
	v_cmp_lt_i16_e32 vcc_lo, 3, v9
	s_cbranch_vccz .LBB158_1713
; %bb.1710:
	global_load_b64 v[0:1], v[2:3], off
	s_mov_b32 s0, 0
	s_branch .LBB158_1714
.LBB158_1711:
	s_mov_b32 s0, -1
                                        ; implicit-def: $vgpr0
	s_branch .LBB158_1720
.LBB158_1712:
	s_mov_b32 s0, -1
                                        ; implicit-def: $vgpr0
	s_branch .LBB158_1717
.LBB158_1713:
	s_mov_b32 s0, -1
                                        ; implicit-def: $vgpr0
.LBB158_1714:
	s_delay_alu instid0(SALU_CYCLE_1)
	s_and_not1_b32 vcc_lo, exec_lo, s0
	s_cbranch_vccnz .LBB158_1716
; %bb.1715:
	global_load_b32 v0, v[2:3], off
.LBB158_1716:
	s_mov_b32 s0, 0
.LBB158_1717:
	s_delay_alu instid0(SALU_CYCLE_1)
	s_and_not1_b32 vcc_lo, exec_lo, s0
	s_cbranch_vccnz .LBB158_1719
; %bb.1718:
	global_load_u16 v0, v[2:3], off
.LBB158_1719:
	s_mov_b32 s0, 0
.LBB158_1720:
	s_delay_alu instid0(SALU_CYCLE_1)
	s_and_not1_b32 vcc_lo, exec_lo, s0
	s_cbranch_vccnz .LBB158_1726
; %bb.1721:
	v_cmp_lt_i16_e32 vcc_lo, 0, v9
	s_mov_b32 s0, 0
	s_cbranch_vccz .LBB158_1723
; %bb.1722:
	global_load_u8 v0, v[2:3], off
	s_branch .LBB158_1724
.LBB158_1723:
	s_mov_b32 s0, -1
                                        ; implicit-def: $vgpr0
.LBB158_1724:
	s_delay_alu instid0(SALU_CYCLE_1)
	s_and_not1_b32 vcc_lo, exec_lo, s0
	s_cbranch_vccnz .LBB158_1726
; %bb.1725:
	global_load_u8 v0, v[2:3], off
.LBB158_1726:
	s_branch .LBB158_1793
.LBB158_1727:
	s_trap 2
	s_sendmsg_rtn_b32 s0, sendmsg(MSG_RTN_GET_DOORBELL)
	s_mov_b32 ttmp2, m0
	s_waitcnt lgkmcnt(0)
	s_and_b32 s0, s0, 0x3ff
	s_delay_alu instid0(SALU_CYCLE_1) | instskip(NEXT) | instid1(SALU_CYCLE_1)
	s_bitset1_b32 s0, 10
	s_mov_b32 m0, s0
	s_sendmsg sendmsg(MSG_INTERRUPT)
	s_mov_b32 m0, ttmp2
.LBB158_1728:                           ; =>This Inner Loop Header: Depth=1
	s_sethalt 5
	s_branch .LBB158_1728
.LBB158_1729:
	s_mov_b32 s0, -1
	s_mov_b32 s14, 0
.LBB158_1730:
                                        ; implicit-def: $vgpr0
.LBB158_1731:
	s_and_b32 vcc_lo, exec_lo, s17
	s_cbranch_vccz .LBB158_1735
; %bb.1732:
	v_cmp_eq_u16_e32 vcc_lo, 44, v9
	s_cbranch_vccz .LBB158_1734
; %bb.1733:
	global_load_u8 v0, v[2:3], off
	s_mov_b32 s0, 0
	s_mov_b32 s14, -1
	s_waitcnt vmcnt(0)
	v_lshlrev_b32_e32 v1, 23, v0
	v_cmp_ne_u32_e32 vcc_lo, 0, v0
	s_delay_alu instid0(VALU_DEP_2) | instskip(NEXT) | instid1(VALU_DEP_1)
	v_trunc_f32_e32 v1, v1
	v_mul_f32_e64 v10, 0x2f800000, |v1|
	s_delay_alu instid0(VALU_DEP_1) | instskip(NEXT) | instid1(VALU_DEP_1)
	v_floor_f32_e32 v10, v10
	v_fma_f32 v10, 0xcf800000, v10, |v1|
	v_ashrrev_i32_e32 v1, 31, v1
	s_delay_alu instid0(VALU_DEP_2) | instskip(NEXT) | instid1(VALU_DEP_1)
	v_cvt_u32_f32_e32 v10, v10
	v_xor_b32_e32 v10, v10, v1
	s_delay_alu instid0(VALU_DEP_1) | instskip(NEXT) | instid1(VALU_DEP_1)
	v_sub_nc_u32_e32 v1, v10, v1
	v_cndmask_b32_e32 v0, 0, v1, vcc_lo
	s_branch .LBB158_1735
.LBB158_1734:
	s_mov_b32 s0, -1
                                        ; implicit-def: $vgpr0
.LBB158_1735:
	s_mov_b32 s17, 0
.LBB158_1736:
	s_delay_alu instid0(SALU_CYCLE_1)
	s_and_b32 vcc_lo, exec_lo, s17
	s_cbranch_vccz .LBB158_1740
; %bb.1737:
	v_cmp_eq_u16_e32 vcc_lo, 29, v9
	s_cbranch_vccz .LBB158_1739
; %bb.1738:
	global_load_b64 v[0:1], v[2:3], off
	s_mov_b32 s0, 0
	s_mov_b32 s14, -1
	s_branch .LBB158_1740
.LBB158_1739:
	s_mov_b32 s0, -1
                                        ; implicit-def: $vgpr0
.LBB158_1740:
	s_mov_b32 s17, 0
.LBB158_1741:
	s_delay_alu instid0(SALU_CYCLE_1)
	s_and_b32 vcc_lo, exec_lo, s17
	s_cbranch_vccz .LBB158_1757
; %bb.1742:
	v_cmp_gt_i16_e32 vcc_lo, 27, v9
	s_cbranch_vccnz .LBB158_1745
; %bb.1743:
	v_cmp_lt_i16_e32 vcc_lo, 27, v9
	s_cbranch_vccz .LBB158_1746
; %bb.1744:
	global_load_b32 v0, v[2:3], off
	s_mov_b32 s14, 0
	s_branch .LBB158_1747
.LBB158_1745:
	s_mov_b32 s14, -1
                                        ; implicit-def: $vgpr0
	s_branch .LBB158_1750
.LBB158_1746:
	s_mov_b32 s14, -1
                                        ; implicit-def: $vgpr0
.LBB158_1747:
	s_delay_alu instid0(SALU_CYCLE_1)
	s_and_not1_b32 vcc_lo, exec_lo, s14
	s_cbranch_vccnz .LBB158_1749
; %bb.1748:
	global_load_u16 v0, v[2:3], off
.LBB158_1749:
	s_mov_b32 s14, 0
.LBB158_1750:
	s_delay_alu instid0(SALU_CYCLE_1)
	s_and_not1_b32 vcc_lo, exec_lo, s14
	s_cbranch_vccnz .LBB158_1756
; %bb.1751:
	global_load_u8 v1, v[2:3], off
	s_mov_b32 s17, 0
	s_mov_b32 s14, exec_lo
                                        ; implicit-def: $sgpr18
	s_waitcnt vmcnt(0)
	v_cmpx_lt_i16_e32 0x7f, v1
	s_xor_b32 s14, exec_lo, s14
	s_cbranch_execz .LBB158_1767
; %bb.1752:
	v_cmp_ne_u16_e32 vcc_lo, 0x80, v1
	s_mov_b32 s18, 0
	s_and_b32 s17, vcc_lo, exec_lo
	s_or_saveexec_b32 s14, s14
	v_mov_b32_e32 v0, s18
	s_xor_b32 exec_lo, exec_lo, s14
	s_cbranch_execnz .LBB158_1768
.LBB158_1753:
	s_or_b32 exec_lo, exec_lo, s14
	s_and_saveexec_b32 s14, s17
	s_cbranch_execz .LBB158_1755
.LBB158_1754:
	v_and_b32_e32 v0, 0xffff, v1
	s_delay_alu instid0(VALU_DEP_1) | instskip(NEXT) | instid1(VALU_DEP_1)
	v_and_b32_e32 v10, 7, v0
	v_clz_i32_u32_e32 v11, v10
	s_delay_alu instid0(VALU_DEP_1) | instskip(NEXT) | instid1(VALU_DEP_1)
	v_min_u32_e32 v11, 32, v11
	v_subrev_nc_u32_e32 v12, 28, v11
	v_sub_nc_u32_e32 v11, 29, v11
	s_delay_alu instid0(VALU_DEP_2) | instskip(SKIP_1) | instid1(VALU_DEP_2)
	v_lshlrev_b32_e32 v12, v12, v0
	v_bfe_u32 v0, v0, 3, 4
	v_and_b32_e32 v12, 7, v12
	s_delay_alu instid0(VALU_DEP_2) | instskip(SKIP_1) | instid1(VALU_DEP_1)
	v_cmp_eq_u32_e32 vcc_lo, 0, v0
	v_dual_cndmask_b32 v0, v0, v11 :: v_dual_lshlrev_b32 v1, 24, v1
	v_dual_cndmask_b32 v10, v10, v12 :: v_dual_and_b32 v1, 0x80000000, v1
	s_delay_alu instid0(VALU_DEP_2) | instskip(NEXT) | instid1(VALU_DEP_2)
	v_lshl_add_u32 v0, v0, 23, 0x3b800000
	v_lshlrev_b32_e32 v10, 20, v10
	s_delay_alu instid0(VALU_DEP_1) | instskip(NEXT) | instid1(VALU_DEP_1)
	v_or3_b32 v0, v1, v0, v10
	v_trunc_f32_e32 v0, v0
	s_delay_alu instid0(VALU_DEP_1) | instskip(NEXT) | instid1(VALU_DEP_1)
	v_mul_f32_e64 v1, 0x2f800000, |v0|
	v_floor_f32_e32 v1, v1
	s_delay_alu instid0(VALU_DEP_1) | instskip(SKIP_1) | instid1(VALU_DEP_2)
	v_fma_f32 v1, 0xcf800000, v1, |v0|
	v_ashrrev_i32_e32 v0, 31, v0
	v_cvt_u32_f32_e32 v1, v1
	s_delay_alu instid0(VALU_DEP_1) | instskip(NEXT) | instid1(VALU_DEP_1)
	v_xor_b32_e32 v1, v1, v0
	v_sub_nc_u32_e32 v0, v1, v0
.LBB158_1755:
	s_or_b32 exec_lo, exec_lo, s14
.LBB158_1756:
	s_mov_b32 s14, -1
.LBB158_1757:
	s_branch .LBB158_1788
.LBB158_1758:
	v_cmp_lt_i16_e32 vcc_lo, 22, v9
	s_cbranch_vccz .LBB158_1766
; %bb.1759:
	v_cmp_gt_i16_e32 vcc_lo, 24, v9
	s_cbranch_vccnz .LBB158_1769
; %bb.1760:
	v_cmp_lt_i16_e32 vcc_lo, 24, v9
	s_cbranch_vccz .LBB158_1770
; %bb.1761:
	global_load_u8 v1, v[2:3], off
	s_mov_b32 s14, 0
	s_mov_b32 s1, exec_lo
                                        ; implicit-def: $sgpr17
	s_waitcnt vmcnt(0)
	v_cmpx_lt_i16_e32 0x7f, v1
	s_xor_b32 s1, exec_lo, s1
	s_cbranch_execz .LBB158_1782
; %bb.1762:
	v_cmp_ne_u16_e32 vcc_lo, 0x80, v1
	s_mov_b32 s17, 0
	s_and_b32 s14, vcc_lo, exec_lo
	s_or_saveexec_b32 s1, s1
	v_mov_b32_e32 v0, s17
	s_xor_b32 exec_lo, exec_lo, s1
	s_cbranch_execnz .LBB158_1783
.LBB158_1763:
	s_or_b32 exec_lo, exec_lo, s1
	s_and_saveexec_b32 s1, s14
	s_cbranch_execz .LBB158_1765
.LBB158_1764:
	v_and_b32_e32 v0, 0xffff, v1
	s_delay_alu instid0(VALU_DEP_1) | instskip(NEXT) | instid1(VALU_DEP_1)
	v_and_b32_e32 v10, 3, v0
	v_clz_i32_u32_e32 v11, v10
	s_delay_alu instid0(VALU_DEP_1) | instskip(NEXT) | instid1(VALU_DEP_1)
	v_min_u32_e32 v11, 32, v11
	v_subrev_nc_u32_e32 v12, 29, v11
	v_sub_nc_u32_e32 v11, 30, v11
	s_delay_alu instid0(VALU_DEP_2) | instskip(SKIP_1) | instid1(VALU_DEP_2)
	v_lshlrev_b32_e32 v12, v12, v0
	v_bfe_u32 v0, v0, 2, 5
	v_and_b32_e32 v12, 3, v12
	s_delay_alu instid0(VALU_DEP_2) | instskip(SKIP_1) | instid1(VALU_DEP_1)
	v_cmp_eq_u32_e32 vcc_lo, 0, v0
	v_dual_cndmask_b32 v0, v0, v11 :: v_dual_lshlrev_b32 v1, 24, v1
	v_dual_cndmask_b32 v10, v10, v12 :: v_dual_and_b32 v1, 0x80000000, v1
	s_delay_alu instid0(VALU_DEP_2) | instskip(NEXT) | instid1(VALU_DEP_2)
	v_lshl_add_u32 v0, v0, 23, 0x37800000
	v_lshlrev_b32_e32 v10, 21, v10
	s_delay_alu instid0(VALU_DEP_1) | instskip(NEXT) | instid1(VALU_DEP_1)
	v_or3_b32 v0, v1, v0, v10
	v_trunc_f32_e32 v0, v0
	s_delay_alu instid0(VALU_DEP_1) | instskip(NEXT) | instid1(VALU_DEP_1)
	v_mul_f32_e64 v1, 0x2f800000, |v0|
	v_floor_f32_e32 v1, v1
	s_delay_alu instid0(VALU_DEP_1) | instskip(SKIP_1) | instid1(VALU_DEP_2)
	v_fma_f32 v1, 0xcf800000, v1, |v0|
	v_ashrrev_i32_e32 v0, 31, v0
	v_cvt_u32_f32_e32 v1, v1
	s_delay_alu instid0(VALU_DEP_1) | instskip(NEXT) | instid1(VALU_DEP_1)
	v_xor_b32_e32 v1, v1, v0
	v_sub_nc_u32_e32 v0, v1, v0
.LBB158_1765:
	s_or_b32 exec_lo, exec_lo, s1
	s_mov_b32 s1, 0
	s_branch .LBB158_1771
.LBB158_1766:
	s_mov_b32 s1, -1
                                        ; implicit-def: $vgpr0
	s_branch .LBB158_1777
.LBB158_1767:
	s_or_saveexec_b32 s14, s14
	v_mov_b32_e32 v0, s18
	s_xor_b32 exec_lo, exec_lo, s14
	s_cbranch_execz .LBB158_1753
.LBB158_1768:
	v_cmp_ne_u16_e32 vcc_lo, 0, v1
	v_mov_b32_e32 v0, 0
	s_and_not1_b32 s17, s17, exec_lo
	s_and_b32 s18, vcc_lo, exec_lo
	s_delay_alu instid0(SALU_CYCLE_1)
	s_or_b32 s17, s17, s18
	s_or_b32 exec_lo, exec_lo, s14
	s_and_saveexec_b32 s14, s17
	s_cbranch_execnz .LBB158_1754
	s_branch .LBB158_1755
.LBB158_1769:
	s_mov_b32 s1, -1
                                        ; implicit-def: $vgpr0
	s_branch .LBB158_1774
.LBB158_1770:
	s_mov_b32 s1, -1
                                        ; implicit-def: $vgpr0
.LBB158_1771:
	s_delay_alu instid0(SALU_CYCLE_1)
	s_and_b32 vcc_lo, exec_lo, s1
	s_cbranch_vccz .LBB158_1773
; %bb.1772:
	global_load_u8 v0, v[2:3], off
	s_waitcnt vmcnt(0)
	v_lshlrev_b32_e32 v0, 24, v0
	s_delay_alu instid0(VALU_DEP_1) | instskip(NEXT) | instid1(VALU_DEP_1)
	v_and_b32_e32 v1, 0x7f000000, v0
	v_clz_i32_u32_e32 v10, v1
	v_add_nc_u32_e32 v12, 0x1000000, v1
	v_cmp_ne_u32_e32 vcc_lo, 0, v1
	s_delay_alu instid0(VALU_DEP_3) | instskip(NEXT) | instid1(VALU_DEP_1)
	v_min_u32_e32 v10, 32, v10
	v_sub_nc_u32_e64 v10, v10, 4 clamp
	s_delay_alu instid0(VALU_DEP_1) | instskip(SKIP_1) | instid1(VALU_DEP_2)
	v_lshlrev_b32_e32 v11, v10, v1
	v_lshlrev_b32_e32 v10, 23, v10
	v_lshrrev_b32_e32 v11, 4, v11
	s_delay_alu instid0(VALU_DEP_1) | instskip(SKIP_1) | instid1(VALU_DEP_2)
	v_sub_nc_u32_e32 v10, v11, v10
	v_ashrrev_i32_e32 v11, 8, v12
	v_add_nc_u32_e32 v10, 0x3c000000, v10
	s_delay_alu instid0(VALU_DEP_1) | instskip(NEXT) | instid1(VALU_DEP_1)
	v_and_or_b32 v10, 0x7f800000, v11, v10
	v_cndmask_b32_e32 v1, 0, v10, vcc_lo
	s_delay_alu instid0(VALU_DEP_1) | instskip(NEXT) | instid1(VALU_DEP_1)
	v_and_or_b32 v0, 0x80000000, v0, v1
	v_trunc_f32_e32 v0, v0
	s_delay_alu instid0(VALU_DEP_1) | instskip(NEXT) | instid1(VALU_DEP_1)
	v_mul_f32_e64 v1, 0x2f800000, |v0|
	v_floor_f32_e32 v1, v1
	s_delay_alu instid0(VALU_DEP_1) | instskip(SKIP_1) | instid1(VALU_DEP_2)
	v_fma_f32 v1, 0xcf800000, v1, |v0|
	v_ashrrev_i32_e32 v0, 31, v0
	v_cvt_u32_f32_e32 v1, v1
	s_delay_alu instid0(VALU_DEP_1) | instskip(NEXT) | instid1(VALU_DEP_1)
	v_xor_b32_e32 v1, v1, v0
	v_sub_nc_u32_e32 v0, v1, v0
.LBB158_1773:
	s_mov_b32 s1, 0
.LBB158_1774:
	s_delay_alu instid0(SALU_CYCLE_1)
	s_and_not1_b32 vcc_lo, exec_lo, s1
	s_cbranch_vccnz .LBB158_1776
; %bb.1775:
	global_load_u8 v0, v[2:3], off
	s_waitcnt vmcnt(0)
	v_lshlrev_b32_e32 v1, 25, v0
	v_lshlrev_b16 v0, 8, v0
	s_delay_alu instid0(VALU_DEP_2) | instskip(NEXT) | instid1(VALU_DEP_2)
	v_lshrrev_b32_e32 v10, 4, v1
	v_and_or_b32 v11, 0x7f00, v0, 0.5
	v_bfe_i32 v0, v0, 0, 16
	s_delay_alu instid0(VALU_DEP_3) | instskip(NEXT) | instid1(VALU_DEP_1)
	v_or_b32_e32 v10, 0x70000000, v10
	v_dual_add_f32 v11, -0.5, v11 :: v_dual_mul_f32 v10, 0x7800000, v10
	v_cmp_gt_u32_e32 vcc_lo, 0x8000000, v1
	s_delay_alu instid0(VALU_DEP_2) | instskip(NEXT) | instid1(VALU_DEP_1)
	v_cndmask_b32_e32 v1, v10, v11, vcc_lo
	v_and_or_b32 v0, 0x80000000, v0, v1
	s_delay_alu instid0(VALU_DEP_1) | instskip(NEXT) | instid1(VALU_DEP_1)
	v_trunc_f32_e32 v0, v0
	v_mul_f32_e64 v1, 0x2f800000, |v0|
	s_delay_alu instid0(VALU_DEP_1) | instskip(NEXT) | instid1(VALU_DEP_1)
	v_floor_f32_e32 v1, v1
	v_fma_f32 v1, 0xcf800000, v1, |v0|
	v_ashrrev_i32_e32 v0, 31, v0
	s_delay_alu instid0(VALU_DEP_2) | instskip(NEXT) | instid1(VALU_DEP_1)
	v_cvt_u32_f32_e32 v1, v1
	v_xor_b32_e32 v1, v1, v0
	s_delay_alu instid0(VALU_DEP_1)
	v_sub_nc_u32_e32 v0, v1, v0
.LBB158_1776:
	s_mov_b32 s1, 0
	s_mov_b32 s14, -1
.LBB158_1777:
	s_and_not1_b32 vcc_lo, exec_lo, s1
	s_mov_b32 s1, 0
	s_cbranch_vccnz .LBB158_1788
; %bb.1778:
	v_cmp_lt_i16_e32 vcc_lo, 14, v9
	s_cbranch_vccz .LBB158_1781
; %bb.1779:
	v_cmp_eq_u16_e32 vcc_lo, 15, v9
	s_cbranch_vccz .LBB158_1784
; %bb.1780:
	global_load_u16 v0, v[2:3], off
	s_mov_b32 s0, 0
	s_mov_b32 s14, -1
	s_waitcnt vmcnt(0)
	v_lshlrev_b32_e32 v0, 16, v0
	s_delay_alu instid0(VALU_DEP_1) | instskip(NEXT) | instid1(VALU_DEP_1)
	v_trunc_f32_e32 v0, v0
	v_mul_f32_e64 v1, 0x2f800000, |v0|
	s_delay_alu instid0(VALU_DEP_1) | instskip(NEXT) | instid1(VALU_DEP_1)
	v_floor_f32_e32 v1, v1
	v_fma_f32 v1, 0xcf800000, v1, |v0|
	v_ashrrev_i32_e32 v0, 31, v0
	s_delay_alu instid0(VALU_DEP_2) | instskip(NEXT) | instid1(VALU_DEP_1)
	v_cvt_u32_f32_e32 v1, v1
	v_xor_b32_e32 v1, v1, v0
	s_delay_alu instid0(VALU_DEP_1)
	v_sub_nc_u32_e32 v0, v1, v0
	s_branch .LBB158_1786
.LBB158_1781:
	s_mov_b32 s1, -1
	s_branch .LBB158_1785
.LBB158_1782:
	s_or_saveexec_b32 s1, s1
	v_mov_b32_e32 v0, s17
	s_xor_b32 exec_lo, exec_lo, s1
	s_cbranch_execz .LBB158_1763
.LBB158_1783:
	v_cmp_ne_u16_e32 vcc_lo, 0, v1
	v_mov_b32_e32 v0, 0
	s_and_not1_b32 s14, s14, exec_lo
	s_and_b32 s17, vcc_lo, exec_lo
	s_delay_alu instid0(SALU_CYCLE_1)
	s_or_b32 s14, s14, s17
	s_or_b32 exec_lo, exec_lo, s1
	s_and_saveexec_b32 s1, s14
	s_cbranch_execnz .LBB158_1764
	s_branch .LBB158_1765
.LBB158_1784:
	s_mov_b32 s0, -1
.LBB158_1785:
                                        ; implicit-def: $vgpr0
.LBB158_1786:
	s_and_b32 vcc_lo, exec_lo, s1
	s_mov_b32 s1, 0
	s_cbranch_vccz .LBB158_1788
; %bb.1787:
	v_cmp_ne_u16_e64 s0, 11, v9
	s_mov_b32 s1, -1
                                        ; implicit-def: $vgpr0
.LBB158_1788:
	s_delay_alu instid0(VALU_DEP_1)
	s_and_b32 vcc_lo, exec_lo, s0
	s_cbranch_vccnz .LBB158_1812
; %bb.1789:
	s_and_not1_b32 vcc_lo, exec_lo, s1
	s_cbranch_vccnz .LBB158_1791
.LBB158_1790:
	global_load_u8 v0, v[2:3], off
	s_mov_b32 s14, -1
	s_waitcnt vmcnt(0)
	v_cmp_ne_u16_e32 vcc_lo, 0, v0
	v_cndmask_b32_e64 v0, 0, 1, vcc_lo
.LBB158_1791:
.LBB158_1792:
	s_and_not1_b32 vcc_lo, exec_lo, s14
	s_cbranch_vccnz .LBB158_3021
.LBB158_1793:
	s_lshl_b32 s1, s9, 7
	v_cmp_gt_i16_e32 vcc_lo, 11, v6
	v_add_nc_u32_e32 v11, s1, v4
	s_and_b32 vcc_lo, exec_lo, vcc_lo
	s_delay_alu instid0(VALU_DEP_1) | instskip(SKIP_2) | instid1(VALU_DEP_1)
	v_ashrrev_i32_e32 v2, 31, v11
	s_waitcnt vmcnt(0)
	v_add_co_u32 v1, s0, s6, v11
	v_add_co_ci_u32_e64 v2, s0, s7, v2, s0
	s_cbranch_vccnz .LBB158_1800
; %bb.1794:
	v_cmp_lt_i16_e32 vcc_lo, 25, v6
	s_mov_b32 s9, 0
	s_cbranch_vccz .LBB158_1806
; %bb.1795:
	v_cmp_lt_i16_e32 vcc_lo, 28, v6
	s_cbranch_vccz .LBB158_1808
; %bb.1796:
	v_cmp_lt_i16_e32 vcc_lo, 43, v6
	;; [unrolled: 3-line block ×3, first 2 shown]
	s_cbranch_vccz .LBB158_1816
; %bb.1798:
	v_cmp_eq_u16_e32 vcc_lo, 46, v6
	s_mov_b32 s17, 0
	s_cbranch_vccz .LBB158_1859
; %bb.1799:
	global_load_b32 v3, v[1:2], off
	s_mov_b32 s0, 0
	s_mov_b32 s14, -1
	s_waitcnt vmcnt(0)
	v_lshlrev_b32_e32 v10, 16, v3
	s_branch .LBB158_1861
.LBB158_1800:
	s_mov_b32 s14, 0
                                        ; implicit-def: $vgpr10
	s_cbranch_execz .LBB158_1927
; %bb.1801:
	v_cmp_gt_i16_e32 vcc_lo, 5, v6
	s_cbranch_vccnz .LBB158_1807
; %bb.1802:
	v_cmp_gt_i16_e32 vcc_lo, 8, v6
	s_cbranch_vccnz .LBB158_1809
	;; [unrolled: 3-line block ×3, first 2 shown]
; %bb.1804:
	v_cmp_lt_i16_e32 vcc_lo, 9, v6
	s_cbranch_vccz .LBB158_1817
; %bb.1805:
	global_load_b64 v[3:4], v[1:2], off
	s_mov_b32 s0, 0
	s_waitcnt vmcnt(0)
	v_cvt_f32_f64_e32 v10, v[3:4]
	s_branch .LBB158_1818
.LBB158_1806:
	s_mov_b32 s17, -1
	s_mov_b32 s14, 0
	s_mov_b32 s0, 0
                                        ; implicit-def: $vgpr10
	s_branch .LBB158_1890
.LBB158_1807:
	s_mov_b32 s0, -1
                                        ; implicit-def: $vgpr10
	s_branch .LBB158_1836
.LBB158_1808:
	s_mov_b32 s17, -1
	s_mov_b32 s14, 0
	s_mov_b32 s0, 0
                                        ; implicit-def: $vgpr10
	s_branch .LBB158_1871
.LBB158_1809:
	s_mov_b32 s0, -1
                                        ; implicit-def: $vgpr10
	s_branch .LBB158_1824
.LBB158_1810:
	s_mov_b32 s17, -1
	s_mov_b32 s14, 0
	s_mov_b32 s0, 0
                                        ; implicit-def: $vgpr10
	s_branch .LBB158_1866
.LBB158_1811:
	s_mov_b32 s0, -1
                                        ; implicit-def: $vgpr10
	s_branch .LBB158_1821
.LBB158_1812:
	s_cbranch_execnz .LBB158_1857
; %bb.1813:
	s_or_b32 s13, s13, exec_lo
                                        ; implicit-def: $vgpr0
	s_cbranch_execz .LBB158_1790
	s_branch .LBB158_1791
.LBB158_1814:
	s_or_saveexec_b32 s22, s22
                                        ; implicit-def: $sgpr23
	s_delay_alu instid0(SALU_CYCLE_1)
	s_xor_b32 exec_lo, exec_lo, s22
	s_cbranch_execz .LBB158_1459
.LBB158_1815:
	v_add_f32_e64 v3, 0x42800000, |v2|
	s_and_not1_b32 s21, s21, exec_lo
	s_mov_b32 s23, 0
	s_delay_alu instid0(VALU_DEP_1) | instskip(NEXT) | instid1(VALU_DEP_1)
	v_and_b32_e32 v3, 0xff, v3
	v_cmp_ne_u32_e32 vcc_lo, 0, v3
	s_and_b32 s24, vcc_lo, exec_lo
	s_delay_alu instid0(SALU_CYCLE_1)
	s_or_b32 s21, s21, s24
	s_or_b32 exec_lo, exec_lo, s22
	v_mov_b32_e32 v5, s23
	s_and_saveexec_b32 s22, s21
	s_cbranch_execnz .LBB158_1460
	s_branch .LBB158_1461
.LBB158_1816:
	s_mov_b32 s17, -1
	s_mov_b32 s14, 0
	s_mov_b32 s0, 0
	s_branch .LBB158_1860
.LBB158_1817:
	s_mov_b32 s0, -1
                                        ; implicit-def: $vgpr10
.LBB158_1818:
	s_delay_alu instid0(SALU_CYCLE_1)
	s_and_not1_b32 vcc_lo, exec_lo, s0
	s_cbranch_vccnz .LBB158_1820
; %bb.1819:
	global_load_b32 v10, v[1:2], off
.LBB158_1820:
	s_mov_b32 s0, 0
.LBB158_1821:
	s_delay_alu instid0(SALU_CYCLE_1)
	s_and_not1_b32 vcc_lo, exec_lo, s0
	s_cbranch_vccnz .LBB158_1823
; %bb.1822:
	global_load_b32 v3, v[1:2], off
	s_waitcnt vmcnt(0)
	v_cvt_f32_f16_e32 v10, v3
.LBB158_1823:
	s_mov_b32 s0, 0
.LBB158_1824:
	s_delay_alu instid0(SALU_CYCLE_1)
	s_and_not1_b32 vcc_lo, exec_lo, s0
	s_cbranch_vccnz .LBB158_1835
; %bb.1825:
	v_cmp_gt_i16_e32 vcc_lo, 6, v6
	s_cbranch_vccnz .LBB158_1828
; %bb.1826:
	v_cmp_lt_i16_e32 vcc_lo, 6, v6
	s_cbranch_vccz .LBB158_1829
; %bb.1827:
	global_load_b64 v[3:4], v[1:2], off
	s_mov_b32 s0, 0
	s_waitcnt vmcnt(0)
	v_cvt_f32_f64_e32 v10, v[3:4]
	s_branch .LBB158_1830
.LBB158_1828:
	s_mov_b32 s0, -1
                                        ; implicit-def: $vgpr10
	s_branch .LBB158_1833
.LBB158_1829:
	s_mov_b32 s0, -1
                                        ; implicit-def: $vgpr10
.LBB158_1830:
	s_delay_alu instid0(SALU_CYCLE_1)
	s_and_not1_b32 vcc_lo, exec_lo, s0
	s_cbranch_vccnz .LBB158_1832
; %bb.1831:
	global_load_b32 v10, v[1:2], off
.LBB158_1832:
	s_mov_b32 s0, 0
.LBB158_1833:
	s_delay_alu instid0(SALU_CYCLE_1)
	s_and_not1_b32 vcc_lo, exec_lo, s0
	s_cbranch_vccnz .LBB158_1835
; %bb.1834:
	global_load_u16 v3, v[1:2], off
	s_waitcnt vmcnt(0)
	v_cvt_f32_f16_e32 v10, v3
.LBB158_1835:
	s_mov_b32 s0, 0
.LBB158_1836:
	s_delay_alu instid0(SALU_CYCLE_1)
	s_and_not1_b32 vcc_lo, exec_lo, s0
	s_cbranch_vccnz .LBB158_1856
; %bb.1837:
	v_cmp_gt_i16_e32 vcc_lo, 2, v6
	s_cbranch_vccnz .LBB158_1841
; %bb.1838:
	v_cmp_gt_i16_e32 vcc_lo, 3, v6
	s_cbranch_vccnz .LBB158_1842
; %bb.1839:
	v_cmp_lt_i16_e32 vcc_lo, 3, v6
	s_cbranch_vccz .LBB158_1843
; %bb.1840:
	global_load_b64 v[3:4], v[1:2], off
	s_mov_b32 s0, 0
	s_waitcnt vmcnt(0)
	v_xor_b32_e32 v10, v3, v4
	v_cls_i32_e32 v12, v4
	s_delay_alu instid0(VALU_DEP_2) | instskip(NEXT) | instid1(VALU_DEP_2)
	v_ashrrev_i32_e32 v10, 31, v10
	v_add_nc_u32_e32 v12, -1, v12
	s_delay_alu instid0(VALU_DEP_2) | instskip(NEXT) | instid1(VALU_DEP_1)
	v_add_nc_u32_e32 v10, 32, v10
	v_min_u32_e32 v10, v12, v10
	s_delay_alu instid0(VALU_DEP_1) | instskip(NEXT) | instid1(VALU_DEP_1)
	v_lshlrev_b64 v[3:4], v10, v[3:4]
	v_min_u32_e32 v3, 1, v3
	s_delay_alu instid0(VALU_DEP_1) | instskip(SKIP_1) | instid1(VALU_DEP_2)
	v_or_b32_e32 v3, v4, v3
	v_sub_nc_u32_e32 v4, 32, v10
	v_cvt_f32_i32_e32 v3, v3
	s_delay_alu instid0(VALU_DEP_1)
	v_ldexp_f32 v10, v3, v4
	s_branch .LBB158_1844
.LBB158_1841:
	s_mov_b32 s0, -1
                                        ; implicit-def: $vgpr10
	s_branch .LBB158_1850
.LBB158_1842:
	s_mov_b32 s0, -1
                                        ; implicit-def: $vgpr10
	s_branch .LBB158_1847
.LBB158_1843:
	s_mov_b32 s0, -1
                                        ; implicit-def: $vgpr10
.LBB158_1844:
	s_delay_alu instid0(SALU_CYCLE_1)
	s_and_not1_b32 vcc_lo, exec_lo, s0
	s_cbranch_vccnz .LBB158_1846
; %bb.1845:
	global_load_b32 v3, v[1:2], off
	s_waitcnt vmcnt(0)
	v_cvt_f32_i32_e32 v10, v3
.LBB158_1846:
	s_mov_b32 s0, 0
.LBB158_1847:
	s_delay_alu instid0(SALU_CYCLE_1)
	s_and_not1_b32 vcc_lo, exec_lo, s0
	s_cbranch_vccnz .LBB158_1849
; %bb.1848:
	global_load_i16 v3, v[1:2], off
	s_waitcnt vmcnt(0)
	v_cvt_f32_i32_e32 v10, v3
.LBB158_1849:
	s_mov_b32 s0, 0
.LBB158_1850:
	s_delay_alu instid0(SALU_CYCLE_1)
	s_and_not1_b32 vcc_lo, exec_lo, s0
	s_cbranch_vccnz .LBB158_1856
; %bb.1851:
	v_cmp_lt_i16_e32 vcc_lo, 0, v6
	s_mov_b32 s0, 0
	s_cbranch_vccz .LBB158_1853
; %bb.1852:
	global_load_i8 v3, v[1:2], off
	s_waitcnt vmcnt(0)
	v_cvt_f32_i32_e32 v10, v3
	s_branch .LBB158_1854
.LBB158_1853:
	s_mov_b32 s0, -1
                                        ; implicit-def: $vgpr10
.LBB158_1854:
	s_delay_alu instid0(SALU_CYCLE_1)
	s_and_not1_b32 vcc_lo, exec_lo, s0
	s_cbranch_vccnz .LBB158_1856
; %bb.1855:
	global_load_u8 v1, v[1:2], off
	s_waitcnt vmcnt(0)
	v_cvt_f32_ubyte0_e32 v10, v1
.LBB158_1856:
	s_branch .LBB158_1928
.LBB158_1857:
	s_trap 2
	s_sendmsg_rtn_b32 s0, sendmsg(MSG_RTN_GET_DOORBELL)
	s_mov_b32 ttmp2, m0
	s_waitcnt lgkmcnt(0)
	s_and_b32 s0, s0, 0x3ff
	s_delay_alu instid0(SALU_CYCLE_1) | instskip(NEXT) | instid1(SALU_CYCLE_1)
	s_bitset1_b32 s0, 10
	s_mov_b32 m0, s0
	s_sendmsg sendmsg(MSG_INTERRUPT)
	s_mov_b32 m0, ttmp2
.LBB158_1858:                           ; =>This Inner Loop Header: Depth=1
	s_sethalt 5
	s_branch .LBB158_1858
.LBB158_1859:
	s_mov_b32 s0, -1
	s_mov_b32 s14, 0
.LBB158_1860:
                                        ; implicit-def: $vgpr10
.LBB158_1861:
	s_and_b32 vcc_lo, exec_lo, s17
	s_cbranch_vccz .LBB158_1865
; %bb.1862:
	v_cmp_eq_u16_e32 vcc_lo, 44, v6
	s_cbranch_vccz .LBB158_1864
; %bb.1863:
	global_load_u8 v3, v[1:2], off
	s_mov_b32 s0, 0
	s_mov_b32 s14, -1
	s_waitcnt vmcnt(0)
	v_lshlrev_b32_e32 v4, 23, v3
	v_cmp_ne_u32_e32 vcc_lo, 0xff, v3
	s_delay_alu instid0(VALU_DEP_2) | instskip(SKIP_1) | instid1(VALU_DEP_2)
	v_cndmask_b32_e32 v4, 0x7f800001, v4, vcc_lo
	v_cmp_ne_u32_e32 vcc_lo, 0, v3
	v_cndmask_b32_e32 v10, 0x400000, v4, vcc_lo
	s_branch .LBB158_1865
.LBB158_1864:
	s_mov_b32 s0, -1
                                        ; implicit-def: $vgpr10
.LBB158_1865:
	s_mov_b32 s17, 0
.LBB158_1866:
	s_delay_alu instid0(SALU_CYCLE_1)
	s_and_b32 vcc_lo, exec_lo, s17
	s_cbranch_vccz .LBB158_1870
; %bb.1867:
	v_cmp_eq_u16_e32 vcc_lo, 29, v6
	s_cbranch_vccz .LBB158_1869
; %bb.1868:
	global_load_b64 v[3:4], v[1:2], off
	s_mov_b32 s0, 0
	s_mov_b32 s14, -1
	s_mov_b32 s17, 0
	s_waitcnt vmcnt(0)
	v_clz_i32_u32_e32 v10, v4
	s_delay_alu instid0(VALU_DEP_1) | instskip(NEXT) | instid1(VALU_DEP_1)
	v_min_u32_e32 v10, 32, v10
	v_lshlrev_b64 v[3:4], v10, v[3:4]
	s_delay_alu instid0(VALU_DEP_1) | instskip(NEXT) | instid1(VALU_DEP_1)
	v_min_u32_e32 v3, 1, v3
	v_or_b32_e32 v3, v4, v3
	v_sub_nc_u32_e32 v4, 32, v10
	s_delay_alu instid0(VALU_DEP_2) | instskip(NEXT) | instid1(VALU_DEP_1)
	v_cvt_f32_u32_e32 v3, v3
	v_ldexp_f32 v10, v3, v4
	s_branch .LBB158_1871
.LBB158_1869:
	s_mov_b32 s0, -1
                                        ; implicit-def: $vgpr10
.LBB158_1870:
	s_mov_b32 s17, 0
.LBB158_1871:
	s_delay_alu instid0(SALU_CYCLE_1)
	s_and_b32 vcc_lo, exec_lo, s17
	s_cbranch_vccz .LBB158_1889
; %bb.1872:
	v_cmp_gt_i16_e32 vcc_lo, 27, v6
	s_cbranch_vccnz .LBB158_1875
; %bb.1873:
	v_cmp_lt_i16_e32 vcc_lo, 27, v6
	s_cbranch_vccz .LBB158_1876
; %bb.1874:
	global_load_b32 v3, v[1:2], off
	s_mov_b32 s14, 0
	s_waitcnt vmcnt(0)
	v_cvt_f32_u32_e32 v10, v3
	s_branch .LBB158_1877
.LBB158_1875:
	s_mov_b32 s14, -1
                                        ; implicit-def: $vgpr10
	s_branch .LBB158_1880
.LBB158_1876:
	s_mov_b32 s14, -1
                                        ; implicit-def: $vgpr10
.LBB158_1877:
	s_delay_alu instid0(SALU_CYCLE_1)
	s_and_not1_b32 vcc_lo, exec_lo, s14
	s_cbranch_vccnz .LBB158_1879
; %bb.1878:
	global_load_u16 v3, v[1:2], off
	s_waitcnt vmcnt(0)
	v_cvt_f32_u32_e32 v10, v3
.LBB158_1879:
	s_mov_b32 s14, 0
.LBB158_1880:
	s_delay_alu instid0(SALU_CYCLE_1)
	s_and_not1_b32 vcc_lo, exec_lo, s14
	s_cbranch_vccnz .LBB158_1888
; %bb.1881:
	global_load_u8 v3, v[1:2], off
	s_mov_b32 s14, 0
	s_mov_b32 s18, exec_lo
                                        ; implicit-def: $sgpr17
	s_waitcnt vmcnt(0)
	v_cmpx_lt_i16_e32 0x7f, v3
	s_xor_b32 s18, exec_lo, s18
	s_cbranch_execz .LBB158_1902
; %bb.1882:
	s_mov_b32 s14, -1
	s_mov_b32 s19, exec_lo
                                        ; implicit-def: $sgpr17
	v_cmpx_eq_u16_e32 0x80, v3
; %bb.1883:
	s_mov_b32 s17, 0x7f800001
	s_xor_b32 s14, exec_lo, -1
; %bb.1884:
	s_or_b32 exec_lo, exec_lo, s19
	s_delay_alu instid0(SALU_CYCLE_1)
	s_and_b32 s14, s14, exec_lo
	s_or_saveexec_b32 s18, s18
	v_mov_b32_e32 v10, s17
	s_xor_b32 exec_lo, exec_lo, s18
	s_cbranch_execnz .LBB158_1903
.LBB158_1885:
	s_or_b32 exec_lo, exec_lo, s18
	s_and_saveexec_b32 s17, s14
	s_cbranch_execz .LBB158_1887
.LBB158_1886:
	v_and_b32_e32 v4, 0xffff, v3
	s_delay_alu instid0(VALU_DEP_1) | instskip(NEXT) | instid1(VALU_DEP_1)
	v_and_b32_e32 v10, 7, v4
	v_clz_i32_u32_e32 v12, v10
	s_delay_alu instid0(VALU_DEP_1) | instskip(NEXT) | instid1(VALU_DEP_1)
	v_min_u32_e32 v12, 32, v12
	v_subrev_nc_u32_e32 v13, 28, v12
	v_sub_nc_u32_e32 v12, 29, v12
	s_delay_alu instid0(VALU_DEP_2) | instskip(SKIP_1) | instid1(VALU_DEP_1)
	v_lshlrev_b32_e32 v13, v13, v4
	v_bfe_u32 v4, v4, 3, 4
	v_cmp_eq_u32_e32 vcc_lo, 0, v4
	s_delay_alu instid0(VALU_DEP_3) | instskip(NEXT) | instid1(VALU_DEP_1)
	v_dual_cndmask_b32 v4, v4, v12 :: v_dual_and_b32 v13, 7, v13
	v_dual_cndmask_b32 v10, v10, v13 :: v_dual_lshlrev_b32 v3, 24, v3
	s_delay_alu instid0(VALU_DEP_2) | instskip(NEXT) | instid1(VALU_DEP_2)
	v_lshl_add_u32 v4, v4, 23, 0x3b800000
	v_and_b32_e32 v3, 0x80000000, v3
	s_delay_alu instid0(VALU_DEP_3) | instskip(NEXT) | instid1(VALU_DEP_1)
	v_lshlrev_b32_e32 v10, 20, v10
	v_or3_b32 v10, v3, v4, v10
.LBB158_1887:
	s_or_b32 exec_lo, exec_lo, s17
.LBB158_1888:
	s_mov_b32 s14, -1
.LBB158_1889:
	s_mov_b32 s17, 0
.LBB158_1890:
	s_delay_alu instid0(SALU_CYCLE_1)
	s_and_b32 vcc_lo, exec_lo, s17
	s_cbranch_vccz .LBB158_1923
; %bb.1891:
	v_cmp_lt_i16_e32 vcc_lo, 22, v6
	s_cbranch_vccz .LBB158_1901
; %bb.1892:
	v_cmp_gt_i16_e32 vcc_lo, 24, v6
	s_cbranch_vccnz .LBB158_1904
; %bb.1893:
	v_cmp_lt_i16_e32 vcc_lo, 24, v6
	s_cbranch_vccz .LBB158_1905
; %bb.1894:
	global_load_u8 v3, v[1:2], off
	s_mov_b32 s17, exec_lo
                                        ; implicit-def: $sgpr14
	s_waitcnt vmcnt(0)
	v_cmpx_lt_i16_e32 0x7f, v3
	s_xor_b32 s17, exec_lo, s17
	s_cbranch_execz .LBB158_1917
; %bb.1895:
	s_mov_b32 s9, -1
	s_mov_b32 s18, exec_lo
                                        ; implicit-def: $sgpr14
	v_cmpx_eq_u16_e32 0x80, v3
; %bb.1896:
	s_mov_b32 s14, 0x7f800001
	s_xor_b32 s9, exec_lo, -1
; %bb.1897:
	s_or_b32 exec_lo, exec_lo, s18
	s_delay_alu instid0(SALU_CYCLE_1)
	s_and_b32 s9, s9, exec_lo
	s_or_saveexec_b32 s17, s17
	v_mov_b32_e32 v10, s14
	s_xor_b32 exec_lo, exec_lo, s17
	s_cbranch_execnz .LBB158_1918
.LBB158_1898:
	s_or_b32 exec_lo, exec_lo, s17
	s_and_saveexec_b32 s14, s9
	s_cbranch_execz .LBB158_1900
.LBB158_1899:
	v_and_b32_e32 v4, 0xffff, v3
	s_delay_alu instid0(VALU_DEP_1) | instskip(NEXT) | instid1(VALU_DEP_1)
	v_and_b32_e32 v10, 3, v4
	v_clz_i32_u32_e32 v12, v10
	s_delay_alu instid0(VALU_DEP_1) | instskip(NEXT) | instid1(VALU_DEP_1)
	v_min_u32_e32 v12, 32, v12
	v_subrev_nc_u32_e32 v13, 29, v12
	v_sub_nc_u32_e32 v12, 30, v12
	s_delay_alu instid0(VALU_DEP_2) | instskip(SKIP_1) | instid1(VALU_DEP_1)
	v_lshlrev_b32_e32 v13, v13, v4
	v_bfe_u32 v4, v4, 2, 5
	v_cmp_eq_u32_e32 vcc_lo, 0, v4
	s_delay_alu instid0(VALU_DEP_3) | instskip(NEXT) | instid1(VALU_DEP_1)
	v_dual_cndmask_b32 v4, v4, v12 :: v_dual_and_b32 v13, 3, v13
	v_dual_cndmask_b32 v10, v10, v13 :: v_dual_lshlrev_b32 v3, 24, v3
	s_delay_alu instid0(VALU_DEP_2) | instskip(NEXT) | instid1(VALU_DEP_2)
	v_lshl_add_u32 v4, v4, 23, 0x37800000
	v_and_b32_e32 v3, 0x80000000, v3
	s_delay_alu instid0(VALU_DEP_3) | instskip(NEXT) | instid1(VALU_DEP_1)
	v_lshlrev_b32_e32 v10, 21, v10
	v_or3_b32 v10, v3, v4, v10
.LBB158_1900:
	s_or_b32 exec_lo, exec_lo, s14
	s_mov_b32 s9, 0
	s_branch .LBB158_1906
.LBB158_1901:
	s_mov_b32 s9, -1
                                        ; implicit-def: $vgpr10
	s_branch .LBB158_1912
.LBB158_1902:
	s_or_saveexec_b32 s18, s18
	v_mov_b32_e32 v10, s17
	s_xor_b32 exec_lo, exec_lo, s18
	s_cbranch_execz .LBB158_1885
.LBB158_1903:
	v_cmp_ne_u16_e32 vcc_lo, 0, v3
	v_mov_b32_e32 v10, 0
	s_and_not1_b32 s14, s14, exec_lo
	s_and_b32 s17, vcc_lo, exec_lo
	s_delay_alu instid0(SALU_CYCLE_1)
	s_or_b32 s14, s14, s17
	s_or_b32 exec_lo, exec_lo, s18
	s_and_saveexec_b32 s17, s14
	s_cbranch_execnz .LBB158_1886
	s_branch .LBB158_1887
.LBB158_1904:
	s_mov_b32 s9, -1
                                        ; implicit-def: $vgpr10
	s_branch .LBB158_1909
.LBB158_1905:
	s_mov_b32 s9, -1
                                        ; implicit-def: $vgpr10
.LBB158_1906:
	s_delay_alu instid0(SALU_CYCLE_1)
	s_and_b32 vcc_lo, exec_lo, s9
	s_cbranch_vccz .LBB158_1908
; %bb.1907:
	global_load_u8 v3, v[1:2], off
	s_waitcnt vmcnt(0)
	v_lshlrev_b32_e32 v3, 24, v3
	s_delay_alu instid0(VALU_DEP_1) | instskip(NEXT) | instid1(VALU_DEP_1)
	v_and_b32_e32 v4, 0x7f000000, v3
	v_clz_i32_u32_e32 v10, v4
	v_add_nc_u32_e32 v13, 0x1000000, v4
	v_cmp_ne_u32_e32 vcc_lo, 0, v4
	s_delay_alu instid0(VALU_DEP_3) | instskip(NEXT) | instid1(VALU_DEP_1)
	v_min_u32_e32 v10, 32, v10
	v_sub_nc_u32_e64 v10, v10, 4 clamp
	s_delay_alu instid0(VALU_DEP_1) | instskip(SKIP_1) | instid1(VALU_DEP_2)
	v_lshlrev_b32_e32 v12, v10, v4
	v_lshlrev_b32_e32 v10, 23, v10
	v_lshrrev_b32_e32 v12, 4, v12
	s_delay_alu instid0(VALU_DEP_1) | instskip(SKIP_1) | instid1(VALU_DEP_2)
	v_sub_nc_u32_e32 v10, v12, v10
	v_ashrrev_i32_e32 v12, 8, v13
	v_add_nc_u32_e32 v10, 0x3c000000, v10
	s_delay_alu instid0(VALU_DEP_1) | instskip(NEXT) | instid1(VALU_DEP_1)
	v_and_or_b32 v10, 0x7f800000, v12, v10
	v_cndmask_b32_e32 v4, 0, v10, vcc_lo
	s_delay_alu instid0(VALU_DEP_1)
	v_and_or_b32 v10, 0x80000000, v3, v4
.LBB158_1908:
	s_mov_b32 s9, 0
.LBB158_1909:
	s_delay_alu instid0(SALU_CYCLE_1)
	s_and_not1_b32 vcc_lo, exec_lo, s9
	s_cbranch_vccnz .LBB158_1911
; %bb.1910:
	global_load_u8 v3, v[1:2], off
	s_waitcnt vmcnt(0)
	v_lshlrev_b32_e32 v4, 25, v3
	v_lshlrev_b16 v3, 8, v3
	s_delay_alu instid0(VALU_DEP_2) | instskip(NEXT) | instid1(VALU_DEP_2)
	v_lshrrev_b32_e32 v10, 4, v4
	v_and_or_b32 v12, 0x7f00, v3, 0.5
	v_cmp_gt_u32_e32 vcc_lo, 0x8000000, v4
	v_bfe_i32 v3, v3, 0, 16
	s_delay_alu instid0(VALU_DEP_4) | instskip(NEXT) | instid1(VALU_DEP_4)
	v_or_b32_e32 v10, 0x70000000, v10
	v_add_f32_e32 v12, -0.5, v12
	s_delay_alu instid0(VALU_DEP_2) | instskip(NEXT) | instid1(VALU_DEP_1)
	v_mul_f32_e32 v10, 0x7800000, v10
	v_cndmask_b32_e32 v4, v10, v12, vcc_lo
	s_delay_alu instid0(VALU_DEP_1)
	v_and_or_b32 v10, 0x80000000, v3, v4
.LBB158_1911:
	s_mov_b32 s9, 0
	s_mov_b32 s14, -1
.LBB158_1912:
	s_and_not1_b32 vcc_lo, exec_lo, s9
	s_mov_b32 s9, 0
	s_cbranch_vccnz .LBB158_1923
; %bb.1913:
	v_cmp_lt_i16_e32 vcc_lo, 14, v6
	s_cbranch_vccz .LBB158_1916
; %bb.1914:
	v_cmp_eq_u16_e32 vcc_lo, 15, v6
	s_cbranch_vccz .LBB158_1919
; %bb.1915:
	global_load_u16 v3, v[1:2], off
	s_mov_b32 s0, 0
	s_mov_b32 s14, -1
	s_waitcnt vmcnt(0)
	v_lshlrev_b32_e32 v10, 16, v3
	s_branch .LBB158_1921
.LBB158_1916:
	s_mov_b32 s9, -1
	s_branch .LBB158_1920
.LBB158_1917:
	s_or_saveexec_b32 s17, s17
	v_mov_b32_e32 v10, s14
	s_xor_b32 exec_lo, exec_lo, s17
	s_cbranch_execz .LBB158_1898
.LBB158_1918:
	v_cmp_ne_u16_e32 vcc_lo, 0, v3
	v_mov_b32_e32 v10, 0
	s_and_not1_b32 s9, s9, exec_lo
	s_and_b32 s14, vcc_lo, exec_lo
	s_delay_alu instid0(SALU_CYCLE_1)
	s_or_b32 s9, s9, s14
	s_or_b32 exec_lo, exec_lo, s17
	s_and_saveexec_b32 s14, s9
	s_cbranch_execnz .LBB158_1899
	s_branch .LBB158_1900
.LBB158_1919:
	s_mov_b32 s0, -1
.LBB158_1920:
                                        ; implicit-def: $vgpr10
.LBB158_1921:
	s_and_b32 vcc_lo, exec_lo, s9
	s_mov_b32 s9, 0
	s_cbranch_vccz .LBB158_1923
; %bb.1922:
	v_cmp_ne_u16_e64 s0, 11, v6
	s_mov_b32 s9, -1
                                        ; implicit-def: $vgpr10
.LBB158_1923:
	s_delay_alu instid0(VALU_DEP_1)
	s_and_b32 vcc_lo, exec_lo, s0
	s_cbranch_vccnz .LBB158_1939
; %bb.1924:
	s_and_not1_b32 vcc_lo, exec_lo, s9
	s_cbranch_vccnz .LBB158_1926
.LBB158_1925:
	global_load_u8 v3, v[1:2], off
	s_mov_b32 s14, -1
	s_waitcnt vmcnt(0)
	v_cmp_ne_u16_e32 vcc_lo, 0, v3
	v_cndmask_b32_e64 v10, 0, 1.0, vcc_lo
.LBB158_1926:
.LBB158_1927:
	s_and_not1_b32 vcc_lo, exec_lo, s14
	s_cbranch_vccnz .LBB158_3021
.LBB158_1928:
	s_lshl_b32 s9, s10, 7
	v_cmp_gt_i16_e32 vcc_lo, 11, v9
	v_add_nc_u32_e32 v5, s9, v5
	s_delay_alu instid0(VALU_DEP_1) | instskip(SKIP_1) | instid1(VALU_DEP_1)
	v_ashrrev_i32_e32 v1, 31, v5
	v_add_co_u32 v3, s0, s2, v5
	v_add_co_ci_u32_e64 v4, s0, s3, v1, s0
	s_cbranch_vccnz .LBB158_1935
; %bb.1929:
	v_cmp_lt_i16_e32 vcc_lo, 25, v9
	s_mov_b32 s10, 0
	s_cbranch_vccz .LBB158_1936
; %bb.1930:
	v_cmp_lt_i16_e32 vcc_lo, 28, v9
	s_cbranch_vccz .LBB158_1937
; %bb.1931:
	v_cmp_lt_i16_e32 vcc_lo, 43, v9
	;; [unrolled: 3-line block ×3, first 2 shown]
	s_cbranch_vccz .LBB158_1941
; %bb.1933:
	v_cmp_eq_u16_e32 vcc_lo, 46, v9
	s_mov_b32 s17, 0
	s_cbranch_vccz .LBB158_1944
; %bb.1934:
	global_load_b32 v1, v[3:4], off
	s_mov_b32 s0, 0
	s_mov_b32 s14, -1
	s_waitcnt vmcnt(0)
	v_lshlrev_b32_e32 v1, 16, v1
	s_delay_alu instid0(VALU_DEP_1) | instskip(NEXT) | instid1(VALU_DEP_1)
	v_trunc_f32_e32 v1, v1
	v_mul_f32_e64 v2, 0x2f800000, |v1|
	s_delay_alu instid0(VALU_DEP_1) | instskip(NEXT) | instid1(VALU_DEP_1)
	v_floor_f32_e32 v2, v2
	v_fma_f32 v2, 0xcf800000, v2, |v1|
	v_ashrrev_i32_e32 v1, 31, v1
	s_delay_alu instid0(VALU_DEP_2) | instskip(NEXT) | instid1(VALU_DEP_1)
	v_cvt_u32_f32_e32 v2, v2
	v_xor_b32_e32 v2, v2, v1
	s_delay_alu instid0(VALU_DEP_1)
	v_sub_nc_u32_e32 v1, v2, v1
	s_branch .LBB158_1946
.LBB158_1935:
	s_mov_b32 s0, -1
	s_mov_b32 s14, 0
                                        ; implicit-def: $vgpr1
	s_branch .LBB158_2008
.LBB158_1936:
	s_mov_b32 s17, -1
	s_mov_b32 s14, 0
	s_mov_b32 s0, 0
                                        ; implicit-def: $vgpr1
	s_branch .LBB158_1973
.LBB158_1937:
	s_mov_b32 s17, -1
	s_mov_b32 s14, 0
	s_mov_b32 s0, 0
                                        ; implicit-def: $vgpr1
	s_branch .LBB158_1956
.LBB158_1938:
	s_mov_b32 s17, -1
	s_mov_b32 s14, 0
	s_mov_b32 s0, 0
                                        ; implicit-def: $vgpr1
	s_branch .LBB158_1951
.LBB158_1939:
	s_cbranch_execnz .LBB158_1942
; %bb.1940:
	s_or_b32 s13, s13, exec_lo
                                        ; implicit-def: $vgpr10
	s_cbranch_execz .LBB158_1925
	s_branch .LBB158_1926
.LBB158_1941:
	s_mov_b32 s17, -1
	s_mov_b32 s14, 0
	s_mov_b32 s0, 0
	s_branch .LBB158_1945
.LBB158_1942:
	s_trap 2
	s_sendmsg_rtn_b32 s0, sendmsg(MSG_RTN_GET_DOORBELL)
	s_mov_b32 ttmp2, m0
	s_waitcnt lgkmcnt(0)
	s_and_b32 s0, s0, 0x3ff
	s_delay_alu instid0(SALU_CYCLE_1) | instskip(NEXT) | instid1(SALU_CYCLE_1)
	s_bitset1_b32 s0, 10
	s_mov_b32 m0, s0
	s_sendmsg sendmsg(MSG_INTERRUPT)
	s_mov_b32 m0, ttmp2
.LBB158_1943:                           ; =>This Inner Loop Header: Depth=1
	s_sethalt 5
	s_branch .LBB158_1943
.LBB158_1944:
	s_mov_b32 s0, -1
	s_mov_b32 s14, 0
.LBB158_1945:
                                        ; implicit-def: $vgpr1
.LBB158_1946:
	s_and_b32 vcc_lo, exec_lo, s17
	s_cbranch_vccz .LBB158_1950
; %bb.1947:
	v_cmp_eq_u16_e32 vcc_lo, 44, v9
	s_cbranch_vccz .LBB158_1949
; %bb.1948:
	global_load_u8 v1, v[3:4], off
	s_mov_b32 s0, 0
	s_mov_b32 s14, -1
	s_waitcnt vmcnt(0)
	v_lshlrev_b32_e32 v2, 23, v1
	v_cmp_ne_u32_e32 vcc_lo, 0, v1
	s_delay_alu instid0(VALU_DEP_2) | instskip(NEXT) | instid1(VALU_DEP_1)
	v_trunc_f32_e32 v2, v2
	v_mul_f32_e64 v12, 0x2f800000, |v2|
	s_delay_alu instid0(VALU_DEP_1) | instskip(NEXT) | instid1(VALU_DEP_1)
	v_floor_f32_e32 v12, v12
	v_fma_f32 v12, 0xcf800000, v12, |v2|
	v_ashrrev_i32_e32 v2, 31, v2
	s_delay_alu instid0(VALU_DEP_2) | instskip(NEXT) | instid1(VALU_DEP_1)
	v_cvt_u32_f32_e32 v12, v12
	v_xor_b32_e32 v12, v12, v2
	s_delay_alu instid0(VALU_DEP_1) | instskip(NEXT) | instid1(VALU_DEP_1)
	v_sub_nc_u32_e32 v2, v12, v2
	v_cndmask_b32_e32 v1, 0, v2, vcc_lo
	s_branch .LBB158_1950
.LBB158_1949:
	s_mov_b32 s0, -1
                                        ; implicit-def: $vgpr1
.LBB158_1950:
	s_mov_b32 s17, 0
.LBB158_1951:
	s_delay_alu instid0(SALU_CYCLE_1)
	s_and_b32 vcc_lo, exec_lo, s17
	s_cbranch_vccz .LBB158_1955
; %bb.1952:
	v_cmp_eq_u16_e32 vcc_lo, 29, v9
	s_cbranch_vccz .LBB158_1954
; %bb.1953:
	global_load_b64 v[1:2], v[3:4], off
	s_mov_b32 s0, 0
	s_mov_b32 s14, -1
	s_branch .LBB158_1955
.LBB158_1954:
	s_mov_b32 s0, -1
                                        ; implicit-def: $vgpr1
.LBB158_1955:
	s_mov_b32 s17, 0
.LBB158_1956:
	s_delay_alu instid0(SALU_CYCLE_1)
	s_and_b32 vcc_lo, exec_lo, s17
	s_cbranch_vccz .LBB158_1972
; %bb.1957:
	v_cmp_gt_i16_e32 vcc_lo, 27, v9
	s_cbranch_vccnz .LBB158_1960
; %bb.1958:
	v_cmp_lt_i16_e32 vcc_lo, 27, v9
	s_cbranch_vccz .LBB158_1961
; %bb.1959:
	global_load_b32 v1, v[3:4], off
	s_mov_b32 s14, 0
	s_branch .LBB158_1962
.LBB158_1960:
	s_mov_b32 s14, -1
                                        ; implicit-def: $vgpr1
	s_branch .LBB158_1965
.LBB158_1961:
	s_mov_b32 s14, -1
                                        ; implicit-def: $vgpr1
.LBB158_1962:
	s_delay_alu instid0(SALU_CYCLE_1)
	s_and_not1_b32 vcc_lo, exec_lo, s14
	s_cbranch_vccnz .LBB158_1964
; %bb.1963:
	global_load_u16 v1, v[3:4], off
.LBB158_1964:
	s_mov_b32 s14, 0
.LBB158_1965:
	s_delay_alu instid0(SALU_CYCLE_1)
	s_and_not1_b32 vcc_lo, exec_lo, s14
	s_cbranch_vccnz .LBB158_1971
; %bb.1966:
	global_load_u8 v2, v[3:4], off
	s_mov_b32 s17, 0
	s_mov_b32 s14, exec_lo
                                        ; implicit-def: $sgpr18
	s_waitcnt vmcnt(0)
	v_cmpx_lt_i16_e32 0x7f, v2
	s_xor_b32 s14, exec_lo, s14
	s_cbranch_execz .LBB158_1983
; %bb.1967:
	v_cmp_ne_u16_e32 vcc_lo, 0x80, v2
	s_mov_b32 s18, 0
	s_and_b32 s17, vcc_lo, exec_lo
	s_or_saveexec_b32 s14, s14
	v_mov_b32_e32 v1, s18
	s_xor_b32 exec_lo, exec_lo, s14
	s_cbranch_execnz .LBB158_1984
.LBB158_1968:
	s_or_b32 exec_lo, exec_lo, s14
	s_and_saveexec_b32 s14, s17
	s_cbranch_execz .LBB158_1970
.LBB158_1969:
	v_and_b32_e32 v1, 0xffff, v2
	v_lshlrev_b32_e32 v2, 24, v2
	s_delay_alu instid0(VALU_DEP_2) | instskip(NEXT) | instid1(VALU_DEP_2)
	v_and_b32_e32 v12, 7, v1
	v_and_b32_e32 v2, 0x80000000, v2
	s_delay_alu instid0(VALU_DEP_2) | instskip(NEXT) | instid1(VALU_DEP_1)
	v_clz_i32_u32_e32 v13, v12
	v_min_u32_e32 v13, 32, v13
	s_delay_alu instid0(VALU_DEP_1) | instskip(SKIP_1) | instid1(VALU_DEP_2)
	v_subrev_nc_u32_e32 v14, 28, v13
	v_sub_nc_u32_e32 v13, 29, v13
	v_lshlrev_b32_e32 v14, v14, v1
	v_bfe_u32 v1, v1, 3, 4
	s_delay_alu instid0(VALU_DEP_1) | instskip(NEXT) | instid1(VALU_DEP_3)
	v_cmp_eq_u32_e32 vcc_lo, 0, v1
	v_dual_cndmask_b32 v1, v1, v13 :: v_dual_and_b32 v14, 7, v14
	s_delay_alu instid0(VALU_DEP_1) | instskip(NEXT) | instid1(VALU_DEP_2)
	v_cndmask_b32_e32 v12, v12, v14, vcc_lo
	v_lshl_add_u32 v1, v1, 23, 0x3b800000
	s_delay_alu instid0(VALU_DEP_2) | instskip(NEXT) | instid1(VALU_DEP_1)
	v_lshlrev_b32_e32 v12, 20, v12
	v_or3_b32 v1, v2, v1, v12
	s_delay_alu instid0(VALU_DEP_1) | instskip(NEXT) | instid1(VALU_DEP_1)
	v_trunc_f32_e32 v1, v1
	v_mul_f32_e64 v2, 0x2f800000, |v1|
	s_delay_alu instid0(VALU_DEP_1) | instskip(NEXT) | instid1(VALU_DEP_1)
	v_floor_f32_e32 v2, v2
	v_fma_f32 v2, 0xcf800000, v2, |v1|
	v_ashrrev_i32_e32 v1, 31, v1
	s_delay_alu instid0(VALU_DEP_2) | instskip(NEXT) | instid1(VALU_DEP_1)
	v_cvt_u32_f32_e32 v2, v2
	v_xor_b32_e32 v2, v2, v1
	s_delay_alu instid0(VALU_DEP_1)
	v_sub_nc_u32_e32 v1, v2, v1
.LBB158_1970:
	s_or_b32 exec_lo, exec_lo, s14
.LBB158_1971:
	s_mov_b32 s14, -1
.LBB158_1972:
	s_mov_b32 s17, 0
.LBB158_1973:
	s_delay_alu instid0(SALU_CYCLE_1)
	s_and_b32 vcc_lo, exec_lo, s17
	s_cbranch_vccz .LBB158_2004
; %bb.1974:
	v_cmp_lt_i16_e32 vcc_lo, 22, v9
	s_cbranch_vccz .LBB158_1982
; %bb.1975:
	v_cmp_gt_i16_e32 vcc_lo, 24, v9
	s_cbranch_vccnz .LBB158_1985
; %bb.1976:
	v_cmp_lt_i16_e32 vcc_lo, 24, v9
	s_cbranch_vccz .LBB158_1986
; %bb.1977:
	global_load_u8 v2, v[3:4], off
	s_mov_b32 s14, 0
	s_mov_b32 s10, exec_lo
                                        ; implicit-def: $sgpr17
	s_waitcnt vmcnt(0)
	v_cmpx_lt_i16_e32 0x7f, v2
	s_xor_b32 s10, exec_lo, s10
	s_cbranch_execz .LBB158_1998
; %bb.1978:
	v_cmp_ne_u16_e32 vcc_lo, 0x80, v2
	s_mov_b32 s17, 0
	s_and_b32 s14, vcc_lo, exec_lo
	s_or_saveexec_b32 s10, s10
	v_mov_b32_e32 v1, s17
	s_xor_b32 exec_lo, exec_lo, s10
	s_cbranch_execnz .LBB158_1999
.LBB158_1979:
	s_or_b32 exec_lo, exec_lo, s10
	s_and_saveexec_b32 s10, s14
	s_cbranch_execz .LBB158_1981
.LBB158_1980:
	v_and_b32_e32 v1, 0xffff, v2
	v_lshlrev_b32_e32 v2, 24, v2
	s_delay_alu instid0(VALU_DEP_2) | instskip(NEXT) | instid1(VALU_DEP_2)
	v_and_b32_e32 v12, 3, v1
	v_and_b32_e32 v2, 0x80000000, v2
	s_delay_alu instid0(VALU_DEP_2) | instskip(NEXT) | instid1(VALU_DEP_1)
	v_clz_i32_u32_e32 v13, v12
	v_min_u32_e32 v13, 32, v13
	s_delay_alu instid0(VALU_DEP_1) | instskip(SKIP_1) | instid1(VALU_DEP_2)
	v_subrev_nc_u32_e32 v14, 29, v13
	v_sub_nc_u32_e32 v13, 30, v13
	v_lshlrev_b32_e32 v14, v14, v1
	v_bfe_u32 v1, v1, 2, 5
	s_delay_alu instid0(VALU_DEP_1) | instskip(NEXT) | instid1(VALU_DEP_3)
	v_cmp_eq_u32_e32 vcc_lo, 0, v1
	v_dual_cndmask_b32 v1, v1, v13 :: v_dual_and_b32 v14, 3, v14
	s_delay_alu instid0(VALU_DEP_1) | instskip(NEXT) | instid1(VALU_DEP_2)
	v_cndmask_b32_e32 v12, v12, v14, vcc_lo
	v_lshl_add_u32 v1, v1, 23, 0x37800000
	s_delay_alu instid0(VALU_DEP_2) | instskip(NEXT) | instid1(VALU_DEP_1)
	v_lshlrev_b32_e32 v12, 21, v12
	v_or3_b32 v1, v2, v1, v12
	s_delay_alu instid0(VALU_DEP_1) | instskip(NEXT) | instid1(VALU_DEP_1)
	v_trunc_f32_e32 v1, v1
	v_mul_f32_e64 v2, 0x2f800000, |v1|
	s_delay_alu instid0(VALU_DEP_1) | instskip(NEXT) | instid1(VALU_DEP_1)
	v_floor_f32_e32 v2, v2
	v_fma_f32 v2, 0xcf800000, v2, |v1|
	v_ashrrev_i32_e32 v1, 31, v1
	s_delay_alu instid0(VALU_DEP_2) | instskip(NEXT) | instid1(VALU_DEP_1)
	v_cvt_u32_f32_e32 v2, v2
	v_xor_b32_e32 v2, v2, v1
	s_delay_alu instid0(VALU_DEP_1)
	v_sub_nc_u32_e32 v1, v2, v1
.LBB158_1981:
	s_or_b32 exec_lo, exec_lo, s10
	s_mov_b32 s10, 0
	s_branch .LBB158_1987
.LBB158_1982:
	s_mov_b32 s10, -1
                                        ; implicit-def: $vgpr1
	s_branch .LBB158_1993
.LBB158_1983:
	s_or_saveexec_b32 s14, s14
	v_mov_b32_e32 v1, s18
	s_xor_b32 exec_lo, exec_lo, s14
	s_cbranch_execz .LBB158_1968
.LBB158_1984:
	v_cmp_ne_u16_e32 vcc_lo, 0, v2
	v_mov_b32_e32 v1, 0
	s_and_not1_b32 s17, s17, exec_lo
	s_and_b32 s18, vcc_lo, exec_lo
	s_delay_alu instid0(SALU_CYCLE_1)
	s_or_b32 s17, s17, s18
	s_or_b32 exec_lo, exec_lo, s14
	s_and_saveexec_b32 s14, s17
	s_cbranch_execnz .LBB158_1969
	s_branch .LBB158_1970
.LBB158_1985:
	s_mov_b32 s10, -1
                                        ; implicit-def: $vgpr1
	s_branch .LBB158_1990
.LBB158_1986:
	s_mov_b32 s10, -1
                                        ; implicit-def: $vgpr1
.LBB158_1987:
	s_delay_alu instid0(SALU_CYCLE_1)
	s_and_b32 vcc_lo, exec_lo, s10
	s_cbranch_vccz .LBB158_1989
; %bb.1988:
	global_load_u8 v1, v[3:4], off
	s_waitcnt vmcnt(0)
	v_lshlrev_b32_e32 v1, 24, v1
	s_delay_alu instid0(VALU_DEP_1) | instskip(NEXT) | instid1(VALU_DEP_1)
	v_and_b32_e32 v2, 0x7f000000, v1
	v_clz_i32_u32_e32 v12, v2
	v_add_nc_u32_e32 v14, 0x1000000, v2
	v_cmp_ne_u32_e32 vcc_lo, 0, v2
	s_delay_alu instid0(VALU_DEP_3) | instskip(NEXT) | instid1(VALU_DEP_1)
	v_min_u32_e32 v12, 32, v12
	v_sub_nc_u32_e64 v12, v12, 4 clamp
	s_delay_alu instid0(VALU_DEP_1) | instskip(SKIP_1) | instid1(VALU_DEP_2)
	v_lshlrev_b32_e32 v13, v12, v2
	v_lshlrev_b32_e32 v12, 23, v12
	v_lshrrev_b32_e32 v13, 4, v13
	s_delay_alu instid0(VALU_DEP_1) | instskip(SKIP_1) | instid1(VALU_DEP_2)
	v_sub_nc_u32_e32 v12, v13, v12
	v_ashrrev_i32_e32 v13, 8, v14
	v_add_nc_u32_e32 v12, 0x3c000000, v12
	s_delay_alu instid0(VALU_DEP_1) | instskip(NEXT) | instid1(VALU_DEP_1)
	v_and_or_b32 v12, 0x7f800000, v13, v12
	v_cndmask_b32_e32 v2, 0, v12, vcc_lo
	s_delay_alu instid0(VALU_DEP_1) | instskip(NEXT) | instid1(VALU_DEP_1)
	v_and_or_b32 v1, 0x80000000, v1, v2
	v_trunc_f32_e32 v1, v1
	s_delay_alu instid0(VALU_DEP_1) | instskip(NEXT) | instid1(VALU_DEP_1)
	v_mul_f32_e64 v2, 0x2f800000, |v1|
	v_floor_f32_e32 v2, v2
	s_delay_alu instid0(VALU_DEP_1) | instskip(SKIP_1) | instid1(VALU_DEP_2)
	v_fma_f32 v2, 0xcf800000, v2, |v1|
	v_ashrrev_i32_e32 v1, 31, v1
	v_cvt_u32_f32_e32 v2, v2
	s_delay_alu instid0(VALU_DEP_1) | instskip(NEXT) | instid1(VALU_DEP_1)
	v_xor_b32_e32 v2, v2, v1
	v_sub_nc_u32_e32 v1, v2, v1
.LBB158_1989:
	s_mov_b32 s10, 0
.LBB158_1990:
	s_delay_alu instid0(SALU_CYCLE_1)
	s_and_not1_b32 vcc_lo, exec_lo, s10
	s_cbranch_vccnz .LBB158_1992
; %bb.1991:
	global_load_u8 v1, v[3:4], off
	s_waitcnt vmcnt(0)
	v_lshlrev_b32_e32 v2, 25, v1
	v_lshlrev_b16 v1, 8, v1
	s_delay_alu instid0(VALU_DEP_2) | instskip(NEXT) | instid1(VALU_DEP_2)
	v_lshrrev_b32_e32 v12, 4, v2
	v_and_or_b32 v13, 0x7f00, v1, 0.5
	v_cmp_gt_u32_e32 vcc_lo, 0x8000000, v2
	v_bfe_i32 v1, v1, 0, 16
	s_delay_alu instid0(VALU_DEP_4) | instskip(NEXT) | instid1(VALU_DEP_1)
	v_or_b32_e32 v12, 0x70000000, v12
	v_dual_add_f32 v13, -0.5, v13 :: v_dual_mul_f32 v12, 0x7800000, v12
	s_delay_alu instid0(VALU_DEP_1) | instskip(NEXT) | instid1(VALU_DEP_1)
	v_cndmask_b32_e32 v2, v12, v13, vcc_lo
	v_and_or_b32 v1, 0x80000000, v1, v2
	s_delay_alu instid0(VALU_DEP_1) | instskip(NEXT) | instid1(VALU_DEP_1)
	v_trunc_f32_e32 v1, v1
	v_mul_f32_e64 v2, 0x2f800000, |v1|
	s_delay_alu instid0(VALU_DEP_1) | instskip(NEXT) | instid1(VALU_DEP_1)
	v_floor_f32_e32 v2, v2
	v_fma_f32 v2, 0xcf800000, v2, |v1|
	v_ashrrev_i32_e32 v1, 31, v1
	s_delay_alu instid0(VALU_DEP_2) | instskip(NEXT) | instid1(VALU_DEP_1)
	v_cvt_u32_f32_e32 v2, v2
	v_xor_b32_e32 v2, v2, v1
	s_delay_alu instid0(VALU_DEP_1)
	v_sub_nc_u32_e32 v1, v2, v1
.LBB158_1992:
	s_mov_b32 s10, 0
	s_mov_b32 s14, -1
.LBB158_1993:
	s_and_not1_b32 vcc_lo, exec_lo, s10
	s_mov_b32 s10, 0
	s_cbranch_vccnz .LBB158_2004
; %bb.1994:
	v_cmp_lt_i16_e32 vcc_lo, 14, v9
	s_cbranch_vccz .LBB158_1997
; %bb.1995:
	v_cmp_eq_u16_e32 vcc_lo, 15, v9
	s_cbranch_vccz .LBB158_2000
; %bb.1996:
	global_load_u16 v1, v[3:4], off
	s_mov_b32 s0, 0
	s_mov_b32 s14, -1
	s_waitcnt vmcnt(0)
	v_lshlrev_b32_e32 v1, 16, v1
	s_delay_alu instid0(VALU_DEP_1) | instskip(NEXT) | instid1(VALU_DEP_1)
	v_trunc_f32_e32 v1, v1
	v_mul_f32_e64 v2, 0x2f800000, |v1|
	s_delay_alu instid0(VALU_DEP_1) | instskip(NEXT) | instid1(VALU_DEP_1)
	v_floor_f32_e32 v2, v2
	v_fma_f32 v2, 0xcf800000, v2, |v1|
	v_ashrrev_i32_e32 v1, 31, v1
	s_delay_alu instid0(VALU_DEP_2) | instskip(NEXT) | instid1(VALU_DEP_1)
	v_cvt_u32_f32_e32 v2, v2
	v_xor_b32_e32 v2, v2, v1
	s_delay_alu instid0(VALU_DEP_1)
	v_sub_nc_u32_e32 v1, v2, v1
	s_branch .LBB158_2002
.LBB158_1997:
	s_mov_b32 s10, -1
	s_branch .LBB158_2001
.LBB158_1998:
	s_or_saveexec_b32 s10, s10
	v_mov_b32_e32 v1, s17
	s_xor_b32 exec_lo, exec_lo, s10
	s_cbranch_execz .LBB158_1979
.LBB158_1999:
	v_cmp_ne_u16_e32 vcc_lo, 0, v2
	v_mov_b32_e32 v1, 0
	s_and_not1_b32 s14, s14, exec_lo
	s_and_b32 s17, vcc_lo, exec_lo
	s_delay_alu instid0(SALU_CYCLE_1)
	s_or_b32 s14, s14, s17
	s_or_b32 exec_lo, exec_lo, s10
	s_and_saveexec_b32 s10, s14
	s_cbranch_execnz .LBB158_1980
	s_branch .LBB158_1981
.LBB158_2000:
	s_mov_b32 s0, -1
.LBB158_2001:
                                        ; implicit-def: $vgpr1
.LBB158_2002:
	s_and_b32 vcc_lo, exec_lo, s10
	s_mov_b32 s10, 0
	s_cbranch_vccz .LBB158_2004
; %bb.2003:
	v_cmp_ne_u16_e64 s0, 11, v9
	s_mov_b32 s10, -1
                                        ; implicit-def: $vgpr1
.LBB158_2004:
	s_delay_alu instid0(VALU_DEP_1)
	s_and_b32 vcc_lo, exec_lo, s0
	s_cbranch_vccnz .LBB158_2069
; %bb.2005:
	s_and_not1_b32 vcc_lo, exec_lo, s10
	s_cbranch_vccnz .LBB158_2007
.LBB158_2006:
	global_load_u8 v1, v[3:4], off
	s_mov_b32 s14, -1
	s_waitcnt vmcnt(0)
	v_cmp_ne_u16_e32 vcc_lo, 0, v1
	v_cndmask_b32_e64 v1, 0, 1, vcc_lo
.LBB158_2007:
	s_mov_b32 s0, 0
.LBB158_2008:
	s_delay_alu instid0(SALU_CYCLE_1)
	s_and_b32 vcc_lo, exec_lo, s0
	s_cbranch_vccz .LBB158_2057
; %bb.2009:
	v_cmp_gt_i16_e32 vcc_lo, 5, v9
	s_cbranch_vccnz .LBB158_2014
; %bb.2010:
	v_cmp_gt_i16_e32 vcc_lo, 8, v9
	s_cbranch_vccnz .LBB158_2015
	;; [unrolled: 3-line block ×3, first 2 shown]
; %bb.2012:
	v_cmp_lt_i16_e32 vcc_lo, 9, v9
	s_cbranch_vccz .LBB158_2017
; %bb.2013:
	global_load_b64 v[1:2], v[3:4], off
	s_mov_b32 s0, 0
	s_waitcnt vmcnt(0)
	v_trunc_f64_e32 v[1:2], v[1:2]
	s_delay_alu instid0(VALU_DEP_1) | instskip(NEXT) | instid1(VALU_DEP_1)
	v_ldexp_f64 v[12:13], v[1:2], 0xffffffe0
	v_floor_f64_e32 v[12:13], v[12:13]
	s_delay_alu instid0(VALU_DEP_1) | instskip(NEXT) | instid1(VALU_DEP_1)
	v_fma_f64 v[1:2], 0xc1f00000, v[12:13], v[1:2]
	v_cvt_u32_f64_e32 v1, v[1:2]
	s_branch .LBB158_2018
.LBB158_2014:
	s_mov_b32 s0, -1
                                        ; implicit-def: $vgpr1
	s_branch .LBB158_2036
.LBB158_2015:
	s_mov_b32 s0, -1
                                        ; implicit-def: $vgpr1
	s_branch .LBB158_2024
.LBB158_2016:
	s_mov_b32 s0, -1
                                        ; implicit-def: $vgpr1
	s_branch .LBB158_2021
.LBB158_2017:
	s_mov_b32 s0, -1
                                        ; implicit-def: $vgpr1
.LBB158_2018:
	s_delay_alu instid0(SALU_CYCLE_1)
	s_and_not1_b32 vcc_lo, exec_lo, s0
	s_cbranch_vccnz .LBB158_2020
; %bb.2019:
	global_load_b32 v1, v[3:4], off
	s_waitcnt vmcnt(0)
	v_trunc_f32_e32 v1, v1
	s_delay_alu instid0(VALU_DEP_1) | instskip(NEXT) | instid1(VALU_DEP_1)
	v_mul_f32_e64 v2, 0x2f800000, |v1|
	v_floor_f32_e32 v2, v2
	s_delay_alu instid0(VALU_DEP_1) | instskip(SKIP_1) | instid1(VALU_DEP_2)
	v_fma_f32 v2, 0xcf800000, v2, |v1|
	v_ashrrev_i32_e32 v1, 31, v1
	v_cvt_u32_f32_e32 v2, v2
	s_delay_alu instid0(VALU_DEP_1) | instskip(NEXT) | instid1(VALU_DEP_1)
	v_xor_b32_e32 v2, v2, v1
	v_sub_nc_u32_e32 v1, v2, v1
.LBB158_2020:
	s_mov_b32 s0, 0
.LBB158_2021:
	s_delay_alu instid0(SALU_CYCLE_1)
	s_and_not1_b32 vcc_lo, exec_lo, s0
	s_cbranch_vccnz .LBB158_2023
; %bb.2022:
	global_load_b32 v1, v[3:4], off
	s_waitcnt vmcnt(0)
	v_cvt_f32_f16_e32 v1, v1
	s_delay_alu instid0(VALU_DEP_1)
	v_cvt_i32_f32_e32 v1, v1
.LBB158_2023:
	s_mov_b32 s0, 0
.LBB158_2024:
	s_delay_alu instid0(SALU_CYCLE_1)
	s_and_not1_b32 vcc_lo, exec_lo, s0
	s_cbranch_vccnz .LBB158_2035
; %bb.2025:
	v_cmp_gt_i16_e32 vcc_lo, 6, v9
	s_cbranch_vccnz .LBB158_2028
; %bb.2026:
	v_cmp_lt_i16_e32 vcc_lo, 6, v9
	s_cbranch_vccz .LBB158_2029
; %bb.2027:
	global_load_b64 v[1:2], v[3:4], off
	s_mov_b32 s0, 0
	s_waitcnt vmcnt(0)
	v_trunc_f64_e32 v[1:2], v[1:2]
	s_delay_alu instid0(VALU_DEP_1) | instskip(NEXT) | instid1(VALU_DEP_1)
	v_ldexp_f64 v[12:13], v[1:2], 0xffffffe0
	v_floor_f64_e32 v[12:13], v[12:13]
	s_delay_alu instid0(VALU_DEP_1) | instskip(NEXT) | instid1(VALU_DEP_1)
	v_fma_f64 v[1:2], 0xc1f00000, v[12:13], v[1:2]
	v_cvt_u32_f64_e32 v1, v[1:2]
	s_branch .LBB158_2030
.LBB158_2028:
	s_mov_b32 s0, -1
                                        ; implicit-def: $vgpr1
	s_branch .LBB158_2033
.LBB158_2029:
	s_mov_b32 s0, -1
                                        ; implicit-def: $vgpr1
.LBB158_2030:
	s_delay_alu instid0(SALU_CYCLE_1)
	s_and_not1_b32 vcc_lo, exec_lo, s0
	s_cbranch_vccnz .LBB158_2032
; %bb.2031:
	global_load_b32 v1, v[3:4], off
	s_waitcnt vmcnt(0)
	v_trunc_f32_e32 v1, v1
	s_delay_alu instid0(VALU_DEP_1) | instskip(NEXT) | instid1(VALU_DEP_1)
	v_mul_f32_e64 v2, 0x2f800000, |v1|
	v_floor_f32_e32 v2, v2
	s_delay_alu instid0(VALU_DEP_1) | instskip(SKIP_1) | instid1(VALU_DEP_2)
	v_fma_f32 v2, 0xcf800000, v2, |v1|
	v_ashrrev_i32_e32 v1, 31, v1
	v_cvt_u32_f32_e32 v2, v2
	s_delay_alu instid0(VALU_DEP_1) | instskip(NEXT) | instid1(VALU_DEP_1)
	v_xor_b32_e32 v2, v2, v1
	v_sub_nc_u32_e32 v1, v2, v1
.LBB158_2032:
	s_mov_b32 s0, 0
.LBB158_2033:
	s_delay_alu instid0(SALU_CYCLE_1)
	s_and_not1_b32 vcc_lo, exec_lo, s0
	s_cbranch_vccnz .LBB158_2035
; %bb.2034:
	global_load_u16 v1, v[3:4], off
	s_waitcnt vmcnt(0)
	v_cvt_f32_f16_e32 v1, v1
	s_delay_alu instid0(VALU_DEP_1)
	v_cvt_i32_f32_e32 v1, v1
.LBB158_2035:
	s_mov_b32 s0, 0
.LBB158_2036:
	s_delay_alu instid0(SALU_CYCLE_1)
	s_and_not1_b32 vcc_lo, exec_lo, s0
	s_cbranch_vccnz .LBB158_2056
; %bb.2037:
	v_cmp_gt_i16_e32 vcc_lo, 2, v9
	s_cbranch_vccnz .LBB158_2041
; %bb.2038:
	v_cmp_gt_i16_e32 vcc_lo, 3, v9
	s_cbranch_vccnz .LBB158_2042
; %bb.2039:
	v_cmp_lt_i16_e32 vcc_lo, 3, v9
	s_cbranch_vccz .LBB158_2043
; %bb.2040:
	global_load_b64 v[1:2], v[3:4], off
	s_mov_b32 s0, 0
	s_branch .LBB158_2044
.LBB158_2041:
	s_mov_b32 s0, -1
                                        ; implicit-def: $vgpr1
	s_branch .LBB158_2050
.LBB158_2042:
	s_mov_b32 s0, -1
                                        ; implicit-def: $vgpr1
	s_branch .LBB158_2047
.LBB158_2043:
	s_mov_b32 s0, -1
                                        ; implicit-def: $vgpr1
.LBB158_2044:
	s_delay_alu instid0(SALU_CYCLE_1)
	s_and_not1_b32 vcc_lo, exec_lo, s0
	s_cbranch_vccnz .LBB158_2046
; %bb.2045:
	global_load_b32 v1, v[3:4], off
.LBB158_2046:
	s_mov_b32 s0, 0
.LBB158_2047:
	s_delay_alu instid0(SALU_CYCLE_1)
	s_and_not1_b32 vcc_lo, exec_lo, s0
	s_cbranch_vccnz .LBB158_2049
; %bb.2048:
	global_load_u16 v1, v[3:4], off
.LBB158_2049:
	s_mov_b32 s0, 0
.LBB158_2050:
	s_delay_alu instid0(SALU_CYCLE_1)
	s_and_not1_b32 vcc_lo, exec_lo, s0
	s_cbranch_vccnz .LBB158_2056
; %bb.2051:
	v_cmp_lt_i16_e32 vcc_lo, 0, v9
	s_mov_b32 s0, 0
	s_cbranch_vccz .LBB158_2053
; %bb.2052:
	global_load_u8 v1, v[3:4], off
	s_branch .LBB158_2054
.LBB158_2053:
	s_mov_b32 s0, -1
                                        ; implicit-def: $vgpr1
.LBB158_2054:
	s_delay_alu instid0(SALU_CYCLE_1)
	s_and_not1_b32 vcc_lo, exec_lo, s0
	s_cbranch_vccnz .LBB158_2056
; %bb.2055:
	global_load_u8 v1, v[3:4], off
.LBB158_2056:
	s_mov_b32 s14, -1
.LBB158_2057:
	s_delay_alu instid0(SALU_CYCLE_1)
	s_and_not1_b32 vcc_lo, exec_lo, s14
	s_cbranch_vccnz .LBB158_3021
; %bb.2058:
	v_add_nc_u32_e32 v12, s1, v11
	v_cmp_gt_i16_e32 vcc_lo, 11, v6
	s_delay_alu instid0(VALU_DEP_2) | instskip(SKIP_2) | instid1(VALU_DEP_1)
	v_ashrrev_i32_e32 v3, 31, v12
	s_waitcnt vmcnt(0)
	v_add_co_u32 v2, s0, s6, v12
	v_add_co_ci_u32_e64 v3, s0, s7, v3, s0
	s_cbranch_vccnz .LBB158_2065
; %bb.2059:
	v_cmp_lt_i16_e32 vcc_lo, 25, v6
	s_mov_b32 s10, 0
	s_cbranch_vccz .LBB158_2066
; %bb.2060:
	v_cmp_lt_i16_e32 vcc_lo, 28, v6
	s_cbranch_vccz .LBB158_2067
; %bb.2061:
	v_cmp_lt_i16_e32 vcc_lo, 43, v6
	;; [unrolled: 3-line block ×3, first 2 shown]
	s_cbranch_vccz .LBB158_2071
; %bb.2063:
	v_cmp_eq_u16_e32 vcc_lo, 46, v6
	s_mov_b32 s17, 0
	s_cbranch_vccz .LBB158_2074
; %bb.2064:
	global_load_b32 v4, v[2:3], off
	s_mov_b32 s0, 0
	s_mov_b32 s14, -1
	s_waitcnt vmcnt(0)
	v_lshlrev_b32_e32 v11, 16, v4
	s_branch .LBB158_2076
.LBB158_2065:
	s_mov_b32 s0, -1
	s_mov_b32 s14, 0
                                        ; implicit-def: $vgpr11
	s_branch .LBB158_2142
.LBB158_2066:
	s_mov_b32 s17, -1
	s_mov_b32 s14, 0
	s_mov_b32 s0, 0
                                        ; implicit-def: $vgpr11
	s_branch .LBB158_2105
.LBB158_2067:
	s_mov_b32 s17, -1
	s_mov_b32 s14, 0
	s_mov_b32 s0, 0
                                        ; implicit-def: $vgpr11
	s_branch .LBB158_2086
.LBB158_2068:
	s_mov_b32 s17, -1
	s_mov_b32 s14, 0
	s_mov_b32 s0, 0
                                        ; implicit-def: $vgpr11
	s_branch .LBB158_2081
.LBB158_2069:
	s_cbranch_execnz .LBB158_2072
; %bb.2070:
	s_or_b32 s13, s13, exec_lo
                                        ; implicit-def: $vgpr1
	s_cbranch_execz .LBB158_2006
	s_branch .LBB158_2007
.LBB158_2071:
	s_mov_b32 s17, -1
	s_mov_b32 s14, 0
	s_mov_b32 s0, 0
	s_branch .LBB158_2075
.LBB158_2072:
	s_trap 2
	s_sendmsg_rtn_b32 s0, sendmsg(MSG_RTN_GET_DOORBELL)
	s_mov_b32 ttmp2, m0
	s_waitcnt lgkmcnt(0)
	s_and_b32 s0, s0, 0x3ff
	s_delay_alu instid0(SALU_CYCLE_1) | instskip(NEXT) | instid1(SALU_CYCLE_1)
	s_bitset1_b32 s0, 10
	s_mov_b32 m0, s0
	s_sendmsg sendmsg(MSG_INTERRUPT)
	s_mov_b32 m0, ttmp2
.LBB158_2073:                           ; =>This Inner Loop Header: Depth=1
	s_sethalt 5
	s_branch .LBB158_2073
.LBB158_2074:
	s_mov_b32 s0, -1
	s_mov_b32 s14, 0
.LBB158_2075:
                                        ; implicit-def: $vgpr11
.LBB158_2076:
	s_and_b32 vcc_lo, exec_lo, s17
	s_cbranch_vccz .LBB158_2080
; %bb.2077:
	v_cmp_eq_u16_e32 vcc_lo, 44, v6
	s_cbranch_vccz .LBB158_2079
; %bb.2078:
	global_load_u8 v4, v[2:3], off
	s_mov_b32 s0, 0
	s_mov_b32 s14, -1
	s_waitcnt vmcnt(0)
	v_lshlrev_b32_e32 v11, 23, v4
	v_cmp_ne_u32_e32 vcc_lo, 0xff, v4
	s_delay_alu instid0(VALU_DEP_2) | instskip(SKIP_1) | instid1(VALU_DEP_2)
	v_cndmask_b32_e32 v11, 0x7f800001, v11, vcc_lo
	v_cmp_ne_u32_e32 vcc_lo, 0, v4
	v_cndmask_b32_e32 v11, 0x400000, v11, vcc_lo
	s_branch .LBB158_2080
.LBB158_2079:
	s_mov_b32 s0, -1
                                        ; implicit-def: $vgpr11
.LBB158_2080:
	s_mov_b32 s17, 0
.LBB158_2081:
	s_delay_alu instid0(SALU_CYCLE_1)
	s_and_b32 vcc_lo, exec_lo, s17
	s_cbranch_vccz .LBB158_2085
; %bb.2082:
	v_cmp_eq_u16_e32 vcc_lo, 29, v6
	s_cbranch_vccz .LBB158_2084
; %bb.2083:
	global_load_b64 v[13:14], v[2:3], off
	s_mov_b32 s0, 0
	s_mov_b32 s14, -1
	s_mov_b32 s17, 0
	s_waitcnt vmcnt(0)
	v_clz_i32_u32_e32 v4, v14
	s_delay_alu instid0(VALU_DEP_1) | instskip(NEXT) | instid1(VALU_DEP_1)
	v_min_u32_e32 v4, 32, v4
	v_lshlrev_b64 v[13:14], v4, v[13:14]
	v_sub_nc_u32_e32 v4, 32, v4
	s_delay_alu instid0(VALU_DEP_2) | instskip(NEXT) | instid1(VALU_DEP_1)
	v_min_u32_e32 v11, 1, v13
	v_or_b32_e32 v11, v14, v11
	s_delay_alu instid0(VALU_DEP_1) | instskip(NEXT) | instid1(VALU_DEP_1)
	v_cvt_f32_u32_e32 v11, v11
	v_ldexp_f32 v11, v11, v4
	s_branch .LBB158_2086
.LBB158_2084:
	s_mov_b32 s0, -1
                                        ; implicit-def: $vgpr11
.LBB158_2085:
	s_mov_b32 s17, 0
.LBB158_2086:
	s_delay_alu instid0(SALU_CYCLE_1)
	s_and_b32 vcc_lo, exec_lo, s17
	s_cbranch_vccz .LBB158_2104
; %bb.2087:
	v_cmp_gt_i16_e32 vcc_lo, 27, v6
	s_cbranch_vccnz .LBB158_2090
; %bb.2088:
	v_cmp_lt_i16_e32 vcc_lo, 27, v6
	s_cbranch_vccz .LBB158_2091
; %bb.2089:
	global_load_b32 v4, v[2:3], off
	s_mov_b32 s14, 0
	s_waitcnt vmcnt(0)
	v_cvt_f32_u32_e32 v11, v4
	s_branch .LBB158_2092
.LBB158_2090:
	s_mov_b32 s14, -1
                                        ; implicit-def: $vgpr11
	s_branch .LBB158_2095
.LBB158_2091:
	s_mov_b32 s14, -1
                                        ; implicit-def: $vgpr11
.LBB158_2092:
	s_delay_alu instid0(SALU_CYCLE_1)
	s_and_not1_b32 vcc_lo, exec_lo, s14
	s_cbranch_vccnz .LBB158_2094
; %bb.2093:
	global_load_u16 v4, v[2:3], off
	s_waitcnt vmcnt(0)
	v_cvt_f32_u32_e32 v11, v4
.LBB158_2094:
	s_mov_b32 s14, 0
.LBB158_2095:
	s_delay_alu instid0(SALU_CYCLE_1)
	s_and_not1_b32 vcc_lo, exec_lo, s14
	s_cbranch_vccnz .LBB158_2103
; %bb.2096:
	global_load_u8 v4, v[2:3], off
	s_mov_b32 s14, 0
	s_mov_b32 s18, exec_lo
                                        ; implicit-def: $sgpr17
	s_waitcnt vmcnt(0)
	v_cmpx_lt_i16_e32 0x7f, v4
	s_xor_b32 s18, exec_lo, s18
	s_cbranch_execz .LBB158_2117
; %bb.2097:
	s_mov_b32 s14, -1
	s_mov_b32 s19, exec_lo
                                        ; implicit-def: $sgpr17
	v_cmpx_eq_u16_e32 0x80, v4
; %bb.2098:
	s_mov_b32 s17, 0x7f800001
	s_xor_b32 s14, exec_lo, -1
; %bb.2099:
	s_or_b32 exec_lo, exec_lo, s19
	s_delay_alu instid0(SALU_CYCLE_1)
	s_and_b32 s14, s14, exec_lo
	s_or_saveexec_b32 s18, s18
	v_mov_b32_e32 v11, s17
	s_xor_b32 exec_lo, exec_lo, s18
	s_cbranch_execnz .LBB158_2118
.LBB158_2100:
	s_or_b32 exec_lo, exec_lo, s18
	s_and_saveexec_b32 s17, s14
	s_cbranch_execz .LBB158_2102
.LBB158_2101:
	v_and_b32_e32 v11, 0xffff, v4
	s_delay_alu instid0(VALU_DEP_1) | instskip(NEXT) | instid1(VALU_DEP_1)
	v_and_b32_e32 v13, 7, v11
	v_clz_i32_u32_e32 v14, v13
	s_delay_alu instid0(VALU_DEP_1) | instskip(NEXT) | instid1(VALU_DEP_1)
	v_min_u32_e32 v14, 32, v14
	v_subrev_nc_u32_e32 v15, 28, v14
	v_sub_nc_u32_e32 v14, 29, v14
	s_delay_alu instid0(VALU_DEP_2) | instskip(SKIP_1) | instid1(VALU_DEP_2)
	v_lshlrev_b32_e32 v15, v15, v11
	v_bfe_u32 v11, v11, 3, 4
	v_and_b32_e32 v15, 7, v15
	s_delay_alu instid0(VALU_DEP_2) | instskip(SKIP_1) | instid1(VALU_DEP_1)
	v_cmp_eq_u32_e32 vcc_lo, 0, v11
	v_dual_cndmask_b32 v11, v11, v14 :: v_dual_lshlrev_b32 v4, 24, v4
	v_dual_cndmask_b32 v13, v13, v15 :: v_dual_and_b32 v4, 0x80000000, v4
	s_delay_alu instid0(VALU_DEP_2) | instskip(NEXT) | instid1(VALU_DEP_2)
	v_lshl_add_u32 v11, v11, 23, 0x3b800000
	v_lshlrev_b32_e32 v13, 20, v13
	s_delay_alu instid0(VALU_DEP_1)
	v_or3_b32 v11, v4, v11, v13
.LBB158_2102:
	s_or_b32 exec_lo, exec_lo, s17
.LBB158_2103:
	s_mov_b32 s14, -1
.LBB158_2104:
	s_mov_b32 s17, 0
.LBB158_2105:
	s_delay_alu instid0(SALU_CYCLE_1)
	s_and_b32 vcc_lo, exec_lo, s17
	s_cbranch_vccz .LBB158_2138
; %bb.2106:
	v_cmp_lt_i16_e32 vcc_lo, 22, v6
	s_cbranch_vccz .LBB158_2116
; %bb.2107:
	v_cmp_gt_i16_e32 vcc_lo, 24, v6
	s_cbranch_vccnz .LBB158_2119
; %bb.2108:
	v_cmp_lt_i16_e32 vcc_lo, 24, v6
	s_cbranch_vccz .LBB158_2120
; %bb.2109:
	global_load_u8 v4, v[2:3], off
	s_mov_b32 s17, exec_lo
                                        ; implicit-def: $sgpr14
	s_waitcnt vmcnt(0)
	v_cmpx_lt_i16_e32 0x7f, v4
	s_xor_b32 s17, exec_lo, s17
	s_cbranch_execz .LBB158_2132
; %bb.2110:
	s_mov_b32 s10, -1
	s_mov_b32 s18, exec_lo
                                        ; implicit-def: $sgpr14
	v_cmpx_eq_u16_e32 0x80, v4
; %bb.2111:
	s_mov_b32 s14, 0x7f800001
	s_xor_b32 s10, exec_lo, -1
; %bb.2112:
	s_or_b32 exec_lo, exec_lo, s18
	s_delay_alu instid0(SALU_CYCLE_1)
	s_and_b32 s10, s10, exec_lo
	s_or_saveexec_b32 s17, s17
	v_mov_b32_e32 v11, s14
	s_xor_b32 exec_lo, exec_lo, s17
	s_cbranch_execnz .LBB158_2133
.LBB158_2113:
	s_or_b32 exec_lo, exec_lo, s17
	s_and_saveexec_b32 s14, s10
	s_cbranch_execz .LBB158_2115
.LBB158_2114:
	v_and_b32_e32 v11, 0xffff, v4
	s_delay_alu instid0(VALU_DEP_1) | instskip(NEXT) | instid1(VALU_DEP_1)
	v_and_b32_e32 v13, 3, v11
	v_clz_i32_u32_e32 v14, v13
	s_delay_alu instid0(VALU_DEP_1) | instskip(NEXT) | instid1(VALU_DEP_1)
	v_min_u32_e32 v14, 32, v14
	v_subrev_nc_u32_e32 v15, 29, v14
	v_sub_nc_u32_e32 v14, 30, v14
	s_delay_alu instid0(VALU_DEP_2) | instskip(SKIP_1) | instid1(VALU_DEP_2)
	v_lshlrev_b32_e32 v15, v15, v11
	v_bfe_u32 v11, v11, 2, 5
	v_and_b32_e32 v15, 3, v15
	s_delay_alu instid0(VALU_DEP_2) | instskip(SKIP_1) | instid1(VALU_DEP_1)
	v_cmp_eq_u32_e32 vcc_lo, 0, v11
	v_dual_cndmask_b32 v11, v11, v14 :: v_dual_lshlrev_b32 v4, 24, v4
	v_dual_cndmask_b32 v13, v13, v15 :: v_dual_and_b32 v4, 0x80000000, v4
	s_delay_alu instid0(VALU_DEP_2) | instskip(NEXT) | instid1(VALU_DEP_2)
	v_lshl_add_u32 v11, v11, 23, 0x37800000
	v_lshlrev_b32_e32 v13, 21, v13
	s_delay_alu instid0(VALU_DEP_1)
	v_or3_b32 v11, v4, v11, v13
.LBB158_2115:
	s_or_b32 exec_lo, exec_lo, s14
	s_mov_b32 s10, 0
	s_branch .LBB158_2121
.LBB158_2116:
	s_mov_b32 s10, -1
                                        ; implicit-def: $vgpr11
	s_branch .LBB158_2127
.LBB158_2117:
	s_or_saveexec_b32 s18, s18
	v_mov_b32_e32 v11, s17
	s_xor_b32 exec_lo, exec_lo, s18
	s_cbranch_execz .LBB158_2100
.LBB158_2118:
	v_cmp_ne_u16_e32 vcc_lo, 0, v4
	v_mov_b32_e32 v11, 0
	s_and_not1_b32 s14, s14, exec_lo
	s_and_b32 s17, vcc_lo, exec_lo
	s_delay_alu instid0(SALU_CYCLE_1)
	s_or_b32 s14, s14, s17
	s_or_b32 exec_lo, exec_lo, s18
	s_and_saveexec_b32 s17, s14
	s_cbranch_execnz .LBB158_2101
	s_branch .LBB158_2102
.LBB158_2119:
	s_mov_b32 s10, -1
                                        ; implicit-def: $vgpr11
	s_branch .LBB158_2124
.LBB158_2120:
	s_mov_b32 s10, -1
                                        ; implicit-def: $vgpr11
.LBB158_2121:
	s_delay_alu instid0(SALU_CYCLE_1)
	s_and_b32 vcc_lo, exec_lo, s10
	s_cbranch_vccz .LBB158_2123
; %bb.2122:
	global_load_u8 v4, v[2:3], off
	s_waitcnt vmcnt(0)
	v_lshlrev_b32_e32 v4, 24, v4
	s_delay_alu instid0(VALU_DEP_1) | instskip(NEXT) | instid1(VALU_DEP_1)
	v_and_b32_e32 v11, 0x7f000000, v4
	v_clz_i32_u32_e32 v13, v11
	v_add_nc_u32_e32 v15, 0x1000000, v11
	v_cmp_ne_u32_e32 vcc_lo, 0, v11
	s_delay_alu instid0(VALU_DEP_3) | instskip(NEXT) | instid1(VALU_DEP_1)
	v_min_u32_e32 v13, 32, v13
	v_sub_nc_u32_e64 v13, v13, 4 clamp
	s_delay_alu instid0(VALU_DEP_1) | instskip(SKIP_1) | instid1(VALU_DEP_2)
	v_lshlrev_b32_e32 v14, v13, v11
	v_lshlrev_b32_e32 v13, 23, v13
	v_lshrrev_b32_e32 v14, 4, v14
	s_delay_alu instid0(VALU_DEP_1) | instskip(SKIP_1) | instid1(VALU_DEP_2)
	v_sub_nc_u32_e32 v13, v14, v13
	v_ashrrev_i32_e32 v14, 8, v15
	v_add_nc_u32_e32 v13, 0x3c000000, v13
	s_delay_alu instid0(VALU_DEP_1) | instskip(NEXT) | instid1(VALU_DEP_1)
	v_and_or_b32 v13, 0x7f800000, v14, v13
	v_cndmask_b32_e32 v11, 0, v13, vcc_lo
	s_delay_alu instid0(VALU_DEP_1)
	v_and_or_b32 v11, 0x80000000, v4, v11
.LBB158_2123:
	s_mov_b32 s10, 0
.LBB158_2124:
	s_delay_alu instid0(SALU_CYCLE_1)
	s_and_not1_b32 vcc_lo, exec_lo, s10
	s_cbranch_vccnz .LBB158_2126
; %bb.2125:
	global_load_u8 v4, v[2:3], off
	s_waitcnt vmcnt(0)
	v_lshlrev_b32_e32 v11, 25, v4
	v_lshlrev_b16 v4, 8, v4
	s_delay_alu instid0(VALU_DEP_1) | instskip(SKIP_1) | instid1(VALU_DEP_2)
	v_and_or_b32 v14, 0x7f00, v4, 0.5
	v_bfe_i32 v4, v4, 0, 16
	v_add_f32_e32 v14, -0.5, v14
	v_lshrrev_b32_e32 v13, 4, v11
	v_cmp_gt_u32_e32 vcc_lo, 0x8000000, v11
	s_delay_alu instid0(VALU_DEP_2) | instskip(NEXT) | instid1(VALU_DEP_1)
	v_or_b32_e32 v13, 0x70000000, v13
	v_mul_f32_e32 v13, 0x7800000, v13
	s_delay_alu instid0(VALU_DEP_1) | instskip(NEXT) | instid1(VALU_DEP_1)
	v_cndmask_b32_e32 v11, v13, v14, vcc_lo
	v_and_or_b32 v11, 0x80000000, v4, v11
.LBB158_2126:
	s_mov_b32 s10, 0
	s_mov_b32 s14, -1
.LBB158_2127:
	s_and_not1_b32 vcc_lo, exec_lo, s10
	s_mov_b32 s10, 0
	s_cbranch_vccnz .LBB158_2138
; %bb.2128:
	v_cmp_lt_i16_e32 vcc_lo, 14, v6
	s_cbranch_vccz .LBB158_2131
; %bb.2129:
	v_cmp_eq_u16_e32 vcc_lo, 15, v6
	s_cbranch_vccz .LBB158_2134
; %bb.2130:
	global_load_u16 v4, v[2:3], off
	s_mov_b32 s0, 0
	s_mov_b32 s14, -1
	s_waitcnt vmcnt(0)
	v_lshlrev_b32_e32 v11, 16, v4
	s_branch .LBB158_2136
.LBB158_2131:
	s_mov_b32 s10, -1
	s_branch .LBB158_2135
.LBB158_2132:
	s_or_saveexec_b32 s17, s17
	v_mov_b32_e32 v11, s14
	s_xor_b32 exec_lo, exec_lo, s17
	s_cbranch_execz .LBB158_2113
.LBB158_2133:
	v_cmp_ne_u16_e32 vcc_lo, 0, v4
	v_mov_b32_e32 v11, 0
	s_and_not1_b32 s10, s10, exec_lo
	s_and_b32 s14, vcc_lo, exec_lo
	s_delay_alu instid0(SALU_CYCLE_1)
	s_or_b32 s10, s10, s14
	s_or_b32 exec_lo, exec_lo, s17
	s_and_saveexec_b32 s14, s10
	s_cbranch_execnz .LBB158_2114
	s_branch .LBB158_2115
.LBB158_2134:
	s_mov_b32 s0, -1
.LBB158_2135:
                                        ; implicit-def: $vgpr11
.LBB158_2136:
	s_and_b32 vcc_lo, exec_lo, s10
	s_mov_b32 s10, 0
	s_cbranch_vccz .LBB158_2138
; %bb.2137:
	v_cmp_ne_u16_e64 s0, 11, v6
	s_mov_b32 s10, -1
                                        ; implicit-def: $vgpr11
.LBB158_2138:
	s_delay_alu instid0(VALU_DEP_1)
	s_and_b32 vcc_lo, exec_lo, s0
	s_cbranch_vccnz .LBB158_2203
; %bb.2139:
	s_and_not1_b32 vcc_lo, exec_lo, s10
	s_cbranch_vccnz .LBB158_2141
.LBB158_2140:
	global_load_u8 v4, v[2:3], off
	s_mov_b32 s14, -1
	s_waitcnt vmcnt(0)
	v_cmp_ne_u16_e32 vcc_lo, 0, v4
	v_cndmask_b32_e64 v11, 0, 1.0, vcc_lo
.LBB158_2141:
	s_mov_b32 s0, 0
.LBB158_2142:
	s_delay_alu instid0(SALU_CYCLE_1)
	s_and_b32 vcc_lo, exec_lo, s0
	s_cbranch_vccz .LBB158_2191
; %bb.2143:
	v_cmp_gt_i16_e32 vcc_lo, 5, v6
	s_cbranch_vccnz .LBB158_2148
; %bb.2144:
	v_cmp_gt_i16_e32 vcc_lo, 8, v6
	s_cbranch_vccnz .LBB158_2149
	;; [unrolled: 3-line block ×3, first 2 shown]
; %bb.2146:
	v_cmp_lt_i16_e32 vcc_lo, 9, v6
	s_cbranch_vccz .LBB158_2151
; %bb.2147:
	global_load_b64 v[13:14], v[2:3], off
	s_mov_b32 s0, 0
	s_waitcnt vmcnt(0)
	v_cvt_f32_f64_e32 v11, v[13:14]
	s_branch .LBB158_2152
.LBB158_2148:
	s_mov_b32 s0, -1
                                        ; implicit-def: $vgpr11
	s_branch .LBB158_2170
.LBB158_2149:
	s_mov_b32 s0, -1
                                        ; implicit-def: $vgpr11
	s_branch .LBB158_2158
.LBB158_2150:
	s_mov_b32 s0, -1
                                        ; implicit-def: $vgpr11
	s_branch .LBB158_2155
.LBB158_2151:
	s_mov_b32 s0, -1
                                        ; implicit-def: $vgpr11
.LBB158_2152:
	s_delay_alu instid0(SALU_CYCLE_1)
	s_and_not1_b32 vcc_lo, exec_lo, s0
	s_cbranch_vccnz .LBB158_2154
; %bb.2153:
	global_load_b32 v11, v[2:3], off
.LBB158_2154:
	s_mov_b32 s0, 0
.LBB158_2155:
	s_delay_alu instid0(SALU_CYCLE_1)
	s_and_not1_b32 vcc_lo, exec_lo, s0
	s_cbranch_vccnz .LBB158_2157
; %bb.2156:
	global_load_b32 v4, v[2:3], off
	s_waitcnt vmcnt(0)
	v_cvt_f32_f16_e32 v11, v4
.LBB158_2157:
	s_mov_b32 s0, 0
.LBB158_2158:
	s_delay_alu instid0(SALU_CYCLE_1)
	s_and_not1_b32 vcc_lo, exec_lo, s0
	s_cbranch_vccnz .LBB158_2169
; %bb.2159:
	v_cmp_gt_i16_e32 vcc_lo, 6, v6
	s_cbranch_vccnz .LBB158_2162
; %bb.2160:
	v_cmp_lt_i16_e32 vcc_lo, 6, v6
	s_cbranch_vccz .LBB158_2163
; %bb.2161:
	global_load_b64 v[13:14], v[2:3], off
	s_mov_b32 s0, 0
	s_waitcnt vmcnt(0)
	v_cvt_f32_f64_e32 v11, v[13:14]
	s_branch .LBB158_2164
.LBB158_2162:
	s_mov_b32 s0, -1
                                        ; implicit-def: $vgpr11
	s_branch .LBB158_2167
.LBB158_2163:
	s_mov_b32 s0, -1
                                        ; implicit-def: $vgpr11
.LBB158_2164:
	s_delay_alu instid0(SALU_CYCLE_1)
	s_and_not1_b32 vcc_lo, exec_lo, s0
	s_cbranch_vccnz .LBB158_2166
; %bb.2165:
	global_load_b32 v11, v[2:3], off
.LBB158_2166:
	s_mov_b32 s0, 0
.LBB158_2167:
	s_delay_alu instid0(SALU_CYCLE_1)
	s_and_not1_b32 vcc_lo, exec_lo, s0
	s_cbranch_vccnz .LBB158_2169
; %bb.2168:
	global_load_u16 v4, v[2:3], off
	s_waitcnt vmcnt(0)
	v_cvt_f32_f16_e32 v11, v4
.LBB158_2169:
	s_mov_b32 s0, 0
.LBB158_2170:
	s_delay_alu instid0(SALU_CYCLE_1)
	s_and_not1_b32 vcc_lo, exec_lo, s0
	s_cbranch_vccnz .LBB158_2190
; %bb.2171:
	v_cmp_gt_i16_e32 vcc_lo, 2, v6
	s_cbranch_vccnz .LBB158_2175
; %bb.2172:
	v_cmp_gt_i16_e32 vcc_lo, 3, v6
	s_cbranch_vccnz .LBB158_2176
; %bb.2173:
	v_cmp_lt_i16_e32 vcc_lo, 3, v6
	s_cbranch_vccz .LBB158_2177
; %bb.2174:
	global_load_b64 v[13:14], v[2:3], off
	s_mov_b32 s0, 0
	s_waitcnt vmcnt(0)
	v_xor_b32_e32 v4, v13, v14
	v_cls_i32_e32 v11, v14
	s_delay_alu instid0(VALU_DEP_2) | instskip(NEXT) | instid1(VALU_DEP_2)
	v_ashrrev_i32_e32 v4, 31, v4
	v_add_nc_u32_e32 v11, -1, v11
	s_delay_alu instid0(VALU_DEP_2) | instskip(NEXT) | instid1(VALU_DEP_1)
	v_add_nc_u32_e32 v4, 32, v4
	v_min_u32_e32 v4, v11, v4
	s_delay_alu instid0(VALU_DEP_1) | instskip(SKIP_1) | instid1(VALU_DEP_2)
	v_lshlrev_b64 v[13:14], v4, v[13:14]
	v_sub_nc_u32_e32 v4, 32, v4
	v_min_u32_e32 v11, 1, v13
	s_delay_alu instid0(VALU_DEP_1) | instskip(NEXT) | instid1(VALU_DEP_1)
	v_or_b32_e32 v11, v14, v11
	v_cvt_f32_i32_e32 v11, v11
	s_delay_alu instid0(VALU_DEP_1)
	v_ldexp_f32 v11, v11, v4
	s_branch .LBB158_2178
.LBB158_2175:
	s_mov_b32 s0, -1
                                        ; implicit-def: $vgpr11
	s_branch .LBB158_2184
.LBB158_2176:
	s_mov_b32 s0, -1
                                        ; implicit-def: $vgpr11
	s_branch .LBB158_2181
.LBB158_2177:
	s_mov_b32 s0, -1
                                        ; implicit-def: $vgpr11
.LBB158_2178:
	s_delay_alu instid0(SALU_CYCLE_1)
	s_and_not1_b32 vcc_lo, exec_lo, s0
	s_cbranch_vccnz .LBB158_2180
; %bb.2179:
	global_load_b32 v4, v[2:3], off
	s_waitcnt vmcnt(0)
	v_cvt_f32_i32_e32 v11, v4
.LBB158_2180:
	s_mov_b32 s0, 0
.LBB158_2181:
	s_delay_alu instid0(SALU_CYCLE_1)
	s_and_not1_b32 vcc_lo, exec_lo, s0
	s_cbranch_vccnz .LBB158_2183
; %bb.2182:
	global_load_i16 v4, v[2:3], off
	s_waitcnt vmcnt(0)
	v_cvt_f32_i32_e32 v11, v4
.LBB158_2183:
	s_mov_b32 s0, 0
.LBB158_2184:
	s_delay_alu instid0(SALU_CYCLE_1)
	s_and_not1_b32 vcc_lo, exec_lo, s0
	s_cbranch_vccnz .LBB158_2190
; %bb.2185:
	v_cmp_lt_i16_e32 vcc_lo, 0, v6
	s_mov_b32 s0, 0
	s_cbranch_vccz .LBB158_2187
; %bb.2186:
	global_load_i8 v4, v[2:3], off
	s_waitcnt vmcnt(0)
	v_cvt_f32_i32_e32 v11, v4
	s_branch .LBB158_2188
.LBB158_2187:
	s_mov_b32 s0, -1
                                        ; implicit-def: $vgpr11
.LBB158_2188:
	s_delay_alu instid0(SALU_CYCLE_1)
	s_and_not1_b32 vcc_lo, exec_lo, s0
	s_cbranch_vccnz .LBB158_2190
; %bb.2189:
	global_load_u8 v2, v[2:3], off
	s_waitcnt vmcnt(0)
	v_cvt_f32_ubyte0_e32 v11, v2
.LBB158_2190:
	s_mov_b32 s14, -1
.LBB158_2191:
	s_delay_alu instid0(SALU_CYCLE_1)
	s_and_not1_b32 vcc_lo, exec_lo, s14
	s_cbranch_vccnz .LBB158_3021
; %bb.2192:
	v_add_nc_u32_e32 v13, s9, v5
	v_cmp_gt_i16_e32 vcc_lo, 11, v9
	s_delay_alu instid0(VALU_DEP_2) | instskip(SKIP_1) | instid1(VALU_DEP_1)
	v_ashrrev_i32_e32 v2, 31, v13
	v_add_co_u32 v4, s0, s2, v13
	v_add_co_ci_u32_e64 v5, s0, s3, v2, s0
	s_cbranch_vccnz .LBB158_2199
; %bb.2193:
	v_cmp_lt_i16_e32 vcc_lo, 25, v9
	s_mov_b32 s10, 0
	s_cbranch_vccz .LBB158_2200
; %bb.2194:
	v_cmp_lt_i16_e32 vcc_lo, 28, v9
	s_cbranch_vccz .LBB158_2201
; %bb.2195:
	v_cmp_lt_i16_e32 vcc_lo, 43, v9
	;; [unrolled: 3-line block ×3, first 2 shown]
	s_cbranch_vccz .LBB158_2205
; %bb.2197:
	v_cmp_eq_u16_e32 vcc_lo, 46, v9
	s_mov_b32 s17, 0
	s_cbranch_vccz .LBB158_2210
; %bb.2198:
	global_load_b32 v2, v[4:5], off
	s_mov_b32 s0, 0
	s_mov_b32 s14, -1
	s_waitcnt vmcnt(0)
	v_lshlrev_b32_e32 v2, 16, v2
	s_delay_alu instid0(VALU_DEP_1) | instskip(NEXT) | instid1(VALU_DEP_1)
	v_trunc_f32_e32 v2, v2
	v_mul_f32_e64 v3, 0x2f800000, |v2|
	s_delay_alu instid0(VALU_DEP_1) | instskip(NEXT) | instid1(VALU_DEP_1)
	v_floor_f32_e32 v3, v3
	v_fma_f32 v3, 0xcf800000, v3, |v2|
	v_ashrrev_i32_e32 v2, 31, v2
	s_delay_alu instid0(VALU_DEP_2) | instskip(NEXT) | instid1(VALU_DEP_1)
	v_cvt_u32_f32_e32 v3, v3
	v_xor_b32_e32 v3, v3, v2
	s_delay_alu instid0(VALU_DEP_1)
	v_sub_nc_u32_e32 v2, v3, v2
	s_branch .LBB158_2212
.LBB158_2199:
	s_mov_b32 s0, -1
	s_mov_b32 s14, 0
                                        ; implicit-def: $vgpr2
	s_branch .LBB158_2274
.LBB158_2200:
	s_mov_b32 s17, -1
	s_mov_b32 s14, 0
	s_mov_b32 s0, 0
                                        ; implicit-def: $vgpr2
	s_branch .LBB158_2239
.LBB158_2201:
	s_mov_b32 s17, -1
	s_mov_b32 s14, 0
	s_mov_b32 s0, 0
                                        ; implicit-def: $vgpr2
	s_branch .LBB158_2222
.LBB158_2202:
	s_mov_b32 s17, -1
	s_mov_b32 s14, 0
	s_mov_b32 s0, 0
                                        ; implicit-def: $vgpr2
	s_branch .LBB158_2217
.LBB158_2203:
	s_cbranch_execnz .LBB158_2206
; %bb.2204:
	s_or_b32 s13, s13, exec_lo
                                        ; implicit-def: $vgpr11
	s_cbranch_execz .LBB158_2140
	s_branch .LBB158_2141
.LBB158_2205:
	s_mov_b32 s17, -1
	s_mov_b32 s14, 0
	s_mov_b32 s0, 0
	s_branch .LBB158_2211
.LBB158_2206:
	s_trap 2
	s_sendmsg_rtn_b32 s0, sendmsg(MSG_RTN_GET_DOORBELL)
	s_mov_b32 ttmp2, m0
	s_waitcnt lgkmcnt(0)
	s_and_b32 s0, s0, 0x3ff
	s_delay_alu instid0(SALU_CYCLE_1) | instskip(NEXT) | instid1(SALU_CYCLE_1)
	s_bitset1_b32 s0, 10
	s_mov_b32 m0, s0
	s_sendmsg sendmsg(MSG_INTERRUPT)
	s_mov_b32 m0, ttmp2
.LBB158_2207:                           ; =>This Inner Loop Header: Depth=1
	s_sethalt 5
	s_branch .LBB158_2207
.LBB158_2208:
	s_or_saveexec_b32 s30, s30
                                        ; implicit-def: $sgpr31
	s_delay_alu instid0(SALU_CYCLE_1)
	s_xor_b32 exec_lo, exec_lo, s30
	s_cbranch_execz .LBB158_1072
.LBB158_2209:
	v_add_f32_e64 v3, 0x42800000, |v2|
	s_and_not1_b32 s29, s29, exec_lo
	s_mov_b32 s31, 0
	s_delay_alu instid0(VALU_DEP_1) | instskip(NEXT) | instid1(VALU_DEP_1)
	v_and_b32_e32 v3, 0xff, v3
	v_cmp_ne_u32_e32 vcc_lo, 0, v3
	s_and_b32 s33, vcc_lo, exec_lo
	s_delay_alu instid0(SALU_CYCLE_1)
	s_or_b32 s29, s29, s33
	s_or_b32 exec_lo, exec_lo, s30
	v_mov_b32_e32 v4, s31
	s_and_saveexec_b32 s30, s29
	s_cbranch_execnz .LBB158_1073
	s_branch .LBB158_1074
.LBB158_2210:
	s_mov_b32 s0, -1
	s_mov_b32 s14, 0
.LBB158_2211:
                                        ; implicit-def: $vgpr2
.LBB158_2212:
	s_and_b32 vcc_lo, exec_lo, s17
	s_cbranch_vccz .LBB158_2216
; %bb.2213:
	v_cmp_eq_u16_e32 vcc_lo, 44, v9
	s_cbranch_vccz .LBB158_2215
; %bb.2214:
	global_load_u8 v2, v[4:5], off
	s_mov_b32 s0, 0
	s_mov_b32 s14, -1
	s_waitcnt vmcnt(0)
	v_lshlrev_b32_e32 v3, 23, v2
	v_cmp_ne_u32_e32 vcc_lo, 0, v2
	s_delay_alu instid0(VALU_DEP_2) | instskip(NEXT) | instid1(VALU_DEP_1)
	v_trunc_f32_e32 v3, v3
	v_mul_f32_e64 v14, 0x2f800000, |v3|
	s_delay_alu instid0(VALU_DEP_1) | instskip(NEXT) | instid1(VALU_DEP_1)
	v_floor_f32_e32 v14, v14
	v_fma_f32 v14, 0xcf800000, v14, |v3|
	v_ashrrev_i32_e32 v3, 31, v3
	s_delay_alu instid0(VALU_DEP_2) | instskip(NEXT) | instid1(VALU_DEP_1)
	v_cvt_u32_f32_e32 v14, v14
	v_xor_b32_e32 v14, v14, v3
	s_delay_alu instid0(VALU_DEP_1) | instskip(NEXT) | instid1(VALU_DEP_1)
	v_sub_nc_u32_e32 v3, v14, v3
	v_cndmask_b32_e32 v2, 0, v3, vcc_lo
	s_branch .LBB158_2216
.LBB158_2215:
	s_mov_b32 s0, -1
                                        ; implicit-def: $vgpr2
.LBB158_2216:
	s_mov_b32 s17, 0
.LBB158_2217:
	s_delay_alu instid0(SALU_CYCLE_1)
	s_and_b32 vcc_lo, exec_lo, s17
	s_cbranch_vccz .LBB158_2221
; %bb.2218:
	v_cmp_eq_u16_e32 vcc_lo, 29, v9
	s_cbranch_vccz .LBB158_2220
; %bb.2219:
	global_load_b64 v[2:3], v[4:5], off
	s_mov_b32 s0, 0
	s_mov_b32 s14, -1
	s_branch .LBB158_2221
.LBB158_2220:
	s_mov_b32 s0, -1
                                        ; implicit-def: $vgpr2
.LBB158_2221:
	s_mov_b32 s17, 0
.LBB158_2222:
	s_delay_alu instid0(SALU_CYCLE_1)
	s_and_b32 vcc_lo, exec_lo, s17
	s_cbranch_vccz .LBB158_2238
; %bb.2223:
	v_cmp_gt_i16_e32 vcc_lo, 27, v9
	s_cbranch_vccnz .LBB158_2226
; %bb.2224:
	v_cmp_lt_i16_e32 vcc_lo, 27, v9
	s_cbranch_vccz .LBB158_2227
; %bb.2225:
	global_load_b32 v2, v[4:5], off
	s_mov_b32 s14, 0
	s_branch .LBB158_2228
.LBB158_2226:
	s_mov_b32 s14, -1
                                        ; implicit-def: $vgpr2
	s_branch .LBB158_2231
.LBB158_2227:
	s_mov_b32 s14, -1
                                        ; implicit-def: $vgpr2
.LBB158_2228:
	s_delay_alu instid0(SALU_CYCLE_1)
	s_and_not1_b32 vcc_lo, exec_lo, s14
	s_cbranch_vccnz .LBB158_2230
; %bb.2229:
	global_load_u16 v2, v[4:5], off
.LBB158_2230:
	s_mov_b32 s14, 0
.LBB158_2231:
	s_delay_alu instid0(SALU_CYCLE_1)
	s_and_not1_b32 vcc_lo, exec_lo, s14
	s_cbranch_vccnz .LBB158_2237
; %bb.2232:
	global_load_u8 v3, v[4:5], off
	s_mov_b32 s17, 0
	s_mov_b32 s14, exec_lo
                                        ; implicit-def: $sgpr18
	s_waitcnt vmcnt(0)
	v_cmpx_lt_i16_e32 0x7f, v3
	s_xor_b32 s14, exec_lo, s14
	s_cbranch_execz .LBB158_2249
; %bb.2233:
	v_cmp_ne_u16_e32 vcc_lo, 0x80, v3
	s_mov_b32 s18, 0
	s_and_b32 s17, vcc_lo, exec_lo
	s_or_saveexec_b32 s14, s14
	v_mov_b32_e32 v2, s18
	s_xor_b32 exec_lo, exec_lo, s14
	s_cbranch_execnz .LBB158_2250
.LBB158_2234:
	s_or_b32 exec_lo, exec_lo, s14
	s_and_saveexec_b32 s14, s17
	s_cbranch_execz .LBB158_2236
.LBB158_2235:
	v_and_b32_e32 v2, 0xffff, v3
	s_delay_alu instid0(VALU_DEP_1) | instskip(NEXT) | instid1(VALU_DEP_1)
	v_and_b32_e32 v14, 7, v2
	v_clz_i32_u32_e32 v15, v14
	s_delay_alu instid0(VALU_DEP_1) | instskip(NEXT) | instid1(VALU_DEP_1)
	v_min_u32_e32 v15, 32, v15
	v_subrev_nc_u32_e32 v16, 28, v15
	v_sub_nc_u32_e32 v15, 29, v15
	s_delay_alu instid0(VALU_DEP_2) | instskip(SKIP_1) | instid1(VALU_DEP_2)
	v_lshlrev_b32_e32 v16, v16, v2
	v_bfe_u32 v2, v2, 3, 4
	v_and_b32_e32 v16, 7, v16
	s_delay_alu instid0(VALU_DEP_2) | instskip(NEXT) | instid1(VALU_DEP_2)
	v_cmp_eq_u32_e32 vcc_lo, 0, v2
	v_dual_cndmask_b32 v14, v14, v16 :: v_dual_lshlrev_b32 v3, 24, v3
	v_cndmask_b32_e32 v2, v2, v15, vcc_lo
	s_delay_alu instid0(VALU_DEP_2) | instskip(NEXT) | instid1(VALU_DEP_3)
	v_and_b32_e32 v3, 0x80000000, v3
	v_lshlrev_b32_e32 v14, 20, v14
	s_delay_alu instid0(VALU_DEP_3) | instskip(NEXT) | instid1(VALU_DEP_1)
	v_lshl_add_u32 v2, v2, 23, 0x3b800000
	v_or3_b32 v2, v3, v2, v14
	s_delay_alu instid0(VALU_DEP_1) | instskip(NEXT) | instid1(VALU_DEP_1)
	v_trunc_f32_e32 v2, v2
	v_mul_f32_e64 v3, 0x2f800000, |v2|
	s_delay_alu instid0(VALU_DEP_1) | instskip(NEXT) | instid1(VALU_DEP_1)
	v_floor_f32_e32 v3, v3
	v_fma_f32 v3, 0xcf800000, v3, |v2|
	v_ashrrev_i32_e32 v2, 31, v2
	s_delay_alu instid0(VALU_DEP_2) | instskip(NEXT) | instid1(VALU_DEP_1)
	v_cvt_u32_f32_e32 v3, v3
	v_xor_b32_e32 v3, v3, v2
	s_delay_alu instid0(VALU_DEP_1)
	v_sub_nc_u32_e32 v2, v3, v2
.LBB158_2236:
	s_or_b32 exec_lo, exec_lo, s14
.LBB158_2237:
	s_mov_b32 s14, -1
.LBB158_2238:
	s_mov_b32 s17, 0
.LBB158_2239:
	s_delay_alu instid0(SALU_CYCLE_1)
	s_and_b32 vcc_lo, exec_lo, s17
	s_cbranch_vccz .LBB158_2270
; %bb.2240:
	v_cmp_lt_i16_e32 vcc_lo, 22, v9
	s_cbranch_vccz .LBB158_2248
; %bb.2241:
	v_cmp_gt_i16_e32 vcc_lo, 24, v9
	s_cbranch_vccnz .LBB158_2251
; %bb.2242:
	v_cmp_lt_i16_e32 vcc_lo, 24, v9
	s_cbranch_vccz .LBB158_2252
; %bb.2243:
	global_load_u8 v3, v[4:5], off
	s_mov_b32 s14, 0
	s_mov_b32 s10, exec_lo
                                        ; implicit-def: $sgpr17
	s_waitcnt vmcnt(0)
	v_cmpx_lt_i16_e32 0x7f, v3
	s_xor_b32 s10, exec_lo, s10
	s_cbranch_execz .LBB158_2264
; %bb.2244:
	v_cmp_ne_u16_e32 vcc_lo, 0x80, v3
	s_mov_b32 s17, 0
	s_and_b32 s14, vcc_lo, exec_lo
	s_or_saveexec_b32 s10, s10
	v_mov_b32_e32 v2, s17
	s_xor_b32 exec_lo, exec_lo, s10
	s_cbranch_execnz .LBB158_2265
.LBB158_2245:
	s_or_b32 exec_lo, exec_lo, s10
	s_and_saveexec_b32 s10, s14
	s_cbranch_execz .LBB158_2247
.LBB158_2246:
	v_and_b32_e32 v2, 0xffff, v3
	s_delay_alu instid0(VALU_DEP_1) | instskip(NEXT) | instid1(VALU_DEP_1)
	v_and_b32_e32 v14, 3, v2
	v_clz_i32_u32_e32 v15, v14
	s_delay_alu instid0(VALU_DEP_1) | instskip(NEXT) | instid1(VALU_DEP_1)
	v_min_u32_e32 v15, 32, v15
	v_subrev_nc_u32_e32 v16, 29, v15
	v_sub_nc_u32_e32 v15, 30, v15
	s_delay_alu instid0(VALU_DEP_2) | instskip(SKIP_1) | instid1(VALU_DEP_2)
	v_lshlrev_b32_e32 v16, v16, v2
	v_bfe_u32 v2, v2, 2, 5
	v_and_b32_e32 v16, 3, v16
	s_delay_alu instid0(VALU_DEP_2) | instskip(NEXT) | instid1(VALU_DEP_2)
	v_cmp_eq_u32_e32 vcc_lo, 0, v2
	v_dual_cndmask_b32 v14, v14, v16 :: v_dual_lshlrev_b32 v3, 24, v3
	v_cndmask_b32_e32 v2, v2, v15, vcc_lo
	s_delay_alu instid0(VALU_DEP_2) | instskip(NEXT) | instid1(VALU_DEP_3)
	v_and_b32_e32 v3, 0x80000000, v3
	v_lshlrev_b32_e32 v14, 21, v14
	s_delay_alu instid0(VALU_DEP_3) | instskip(NEXT) | instid1(VALU_DEP_1)
	v_lshl_add_u32 v2, v2, 23, 0x37800000
	v_or3_b32 v2, v3, v2, v14
	s_delay_alu instid0(VALU_DEP_1) | instskip(NEXT) | instid1(VALU_DEP_1)
	v_trunc_f32_e32 v2, v2
	v_mul_f32_e64 v3, 0x2f800000, |v2|
	s_delay_alu instid0(VALU_DEP_1) | instskip(NEXT) | instid1(VALU_DEP_1)
	v_floor_f32_e32 v3, v3
	v_fma_f32 v3, 0xcf800000, v3, |v2|
	v_ashrrev_i32_e32 v2, 31, v2
	s_delay_alu instid0(VALU_DEP_2) | instskip(NEXT) | instid1(VALU_DEP_1)
	v_cvt_u32_f32_e32 v3, v3
	v_xor_b32_e32 v3, v3, v2
	s_delay_alu instid0(VALU_DEP_1)
	v_sub_nc_u32_e32 v2, v3, v2
.LBB158_2247:
	s_or_b32 exec_lo, exec_lo, s10
	s_mov_b32 s10, 0
	s_branch .LBB158_2253
.LBB158_2248:
	s_mov_b32 s10, -1
                                        ; implicit-def: $vgpr2
	s_branch .LBB158_2259
.LBB158_2249:
	s_or_saveexec_b32 s14, s14
	v_mov_b32_e32 v2, s18
	s_xor_b32 exec_lo, exec_lo, s14
	s_cbranch_execz .LBB158_2234
.LBB158_2250:
	v_cmp_ne_u16_e32 vcc_lo, 0, v3
	v_mov_b32_e32 v2, 0
	s_and_not1_b32 s17, s17, exec_lo
	s_and_b32 s18, vcc_lo, exec_lo
	s_delay_alu instid0(SALU_CYCLE_1)
	s_or_b32 s17, s17, s18
	s_or_b32 exec_lo, exec_lo, s14
	s_and_saveexec_b32 s14, s17
	s_cbranch_execnz .LBB158_2235
	s_branch .LBB158_2236
.LBB158_2251:
	s_mov_b32 s10, -1
                                        ; implicit-def: $vgpr2
	s_branch .LBB158_2256
.LBB158_2252:
	s_mov_b32 s10, -1
                                        ; implicit-def: $vgpr2
.LBB158_2253:
	s_delay_alu instid0(SALU_CYCLE_1)
	s_and_b32 vcc_lo, exec_lo, s10
	s_cbranch_vccz .LBB158_2255
; %bb.2254:
	global_load_u8 v2, v[4:5], off
	s_waitcnt vmcnt(0)
	v_lshlrev_b32_e32 v2, 24, v2
	s_delay_alu instid0(VALU_DEP_1) | instskip(NEXT) | instid1(VALU_DEP_1)
	v_and_b32_e32 v3, 0x7f000000, v2
	v_clz_i32_u32_e32 v14, v3
	v_cmp_ne_u32_e32 vcc_lo, 0, v3
	v_add_nc_u32_e32 v16, 0x1000000, v3
	s_delay_alu instid0(VALU_DEP_3) | instskip(NEXT) | instid1(VALU_DEP_1)
	v_min_u32_e32 v14, 32, v14
	v_sub_nc_u32_e64 v14, v14, 4 clamp
	s_delay_alu instid0(VALU_DEP_1) | instskip(SKIP_1) | instid1(VALU_DEP_2)
	v_lshlrev_b32_e32 v15, v14, v3
	v_lshlrev_b32_e32 v14, 23, v14
	v_lshrrev_b32_e32 v15, 4, v15
	s_delay_alu instid0(VALU_DEP_1) | instskip(SKIP_1) | instid1(VALU_DEP_2)
	v_sub_nc_u32_e32 v14, v15, v14
	v_ashrrev_i32_e32 v15, 8, v16
	v_add_nc_u32_e32 v14, 0x3c000000, v14
	s_delay_alu instid0(VALU_DEP_1) | instskip(NEXT) | instid1(VALU_DEP_1)
	v_and_or_b32 v14, 0x7f800000, v15, v14
	v_cndmask_b32_e32 v3, 0, v14, vcc_lo
	s_delay_alu instid0(VALU_DEP_1) | instskip(NEXT) | instid1(VALU_DEP_1)
	v_and_or_b32 v2, 0x80000000, v2, v3
	v_trunc_f32_e32 v2, v2
	s_delay_alu instid0(VALU_DEP_1) | instskip(NEXT) | instid1(VALU_DEP_1)
	v_mul_f32_e64 v3, 0x2f800000, |v2|
	v_floor_f32_e32 v3, v3
	s_delay_alu instid0(VALU_DEP_1) | instskip(SKIP_1) | instid1(VALU_DEP_2)
	v_fma_f32 v3, 0xcf800000, v3, |v2|
	v_ashrrev_i32_e32 v2, 31, v2
	v_cvt_u32_f32_e32 v3, v3
	s_delay_alu instid0(VALU_DEP_1) | instskip(NEXT) | instid1(VALU_DEP_1)
	v_xor_b32_e32 v3, v3, v2
	v_sub_nc_u32_e32 v2, v3, v2
.LBB158_2255:
	s_mov_b32 s10, 0
.LBB158_2256:
	s_delay_alu instid0(SALU_CYCLE_1)
	s_and_not1_b32 vcc_lo, exec_lo, s10
	s_cbranch_vccnz .LBB158_2258
; %bb.2257:
	global_load_u8 v2, v[4:5], off
	s_waitcnt vmcnt(0)
	v_lshlrev_b32_e32 v3, 25, v2
	v_lshlrev_b16 v2, 8, v2
	s_delay_alu instid0(VALU_DEP_2) | instskip(NEXT) | instid1(VALU_DEP_2)
	v_lshrrev_b32_e32 v14, 4, v3
	v_and_or_b32 v15, 0x7f00, v2, 0.5
	v_cmp_gt_u32_e32 vcc_lo, 0x8000000, v3
	v_bfe_i32 v2, v2, 0, 16
	s_delay_alu instid0(VALU_DEP_4) | instskip(NEXT) | instid1(VALU_DEP_1)
	v_or_b32_e32 v14, 0x70000000, v14
	v_dual_add_f32 v15, -0.5, v15 :: v_dual_mul_f32 v14, 0x7800000, v14
	s_delay_alu instid0(VALU_DEP_1) | instskip(NEXT) | instid1(VALU_DEP_1)
	v_cndmask_b32_e32 v3, v14, v15, vcc_lo
	v_and_or_b32 v2, 0x80000000, v2, v3
	s_delay_alu instid0(VALU_DEP_1) | instskip(NEXT) | instid1(VALU_DEP_1)
	v_trunc_f32_e32 v2, v2
	v_mul_f32_e64 v3, 0x2f800000, |v2|
	s_delay_alu instid0(VALU_DEP_1) | instskip(NEXT) | instid1(VALU_DEP_1)
	v_floor_f32_e32 v3, v3
	v_fma_f32 v3, 0xcf800000, v3, |v2|
	v_ashrrev_i32_e32 v2, 31, v2
	s_delay_alu instid0(VALU_DEP_2) | instskip(NEXT) | instid1(VALU_DEP_1)
	v_cvt_u32_f32_e32 v3, v3
	v_xor_b32_e32 v3, v3, v2
	s_delay_alu instid0(VALU_DEP_1)
	v_sub_nc_u32_e32 v2, v3, v2
.LBB158_2258:
	s_mov_b32 s10, 0
	s_mov_b32 s14, -1
.LBB158_2259:
	s_and_not1_b32 vcc_lo, exec_lo, s10
	s_mov_b32 s10, 0
	s_cbranch_vccnz .LBB158_2270
; %bb.2260:
	v_cmp_lt_i16_e32 vcc_lo, 14, v9
	s_cbranch_vccz .LBB158_2263
; %bb.2261:
	v_cmp_eq_u16_e32 vcc_lo, 15, v9
	s_cbranch_vccz .LBB158_2266
; %bb.2262:
	global_load_u16 v2, v[4:5], off
	s_mov_b32 s0, 0
	s_mov_b32 s14, -1
	s_waitcnt vmcnt(0)
	v_lshlrev_b32_e32 v2, 16, v2
	s_delay_alu instid0(VALU_DEP_1) | instskip(NEXT) | instid1(VALU_DEP_1)
	v_trunc_f32_e32 v2, v2
	v_mul_f32_e64 v3, 0x2f800000, |v2|
	s_delay_alu instid0(VALU_DEP_1) | instskip(NEXT) | instid1(VALU_DEP_1)
	v_floor_f32_e32 v3, v3
	v_fma_f32 v3, 0xcf800000, v3, |v2|
	v_ashrrev_i32_e32 v2, 31, v2
	s_delay_alu instid0(VALU_DEP_2) | instskip(NEXT) | instid1(VALU_DEP_1)
	v_cvt_u32_f32_e32 v3, v3
	v_xor_b32_e32 v3, v3, v2
	s_delay_alu instid0(VALU_DEP_1)
	v_sub_nc_u32_e32 v2, v3, v2
	s_branch .LBB158_2268
.LBB158_2263:
	s_mov_b32 s10, -1
	s_branch .LBB158_2267
.LBB158_2264:
	s_or_saveexec_b32 s10, s10
	v_mov_b32_e32 v2, s17
	s_xor_b32 exec_lo, exec_lo, s10
	s_cbranch_execz .LBB158_2245
.LBB158_2265:
	v_cmp_ne_u16_e32 vcc_lo, 0, v3
	v_mov_b32_e32 v2, 0
	s_and_not1_b32 s14, s14, exec_lo
	s_and_b32 s17, vcc_lo, exec_lo
	s_delay_alu instid0(SALU_CYCLE_1)
	s_or_b32 s14, s14, s17
	s_or_b32 exec_lo, exec_lo, s10
	s_and_saveexec_b32 s10, s14
	s_cbranch_execnz .LBB158_2246
	s_branch .LBB158_2247
.LBB158_2266:
	s_mov_b32 s0, -1
.LBB158_2267:
                                        ; implicit-def: $vgpr2
.LBB158_2268:
	s_and_b32 vcc_lo, exec_lo, s10
	s_mov_b32 s10, 0
	s_cbranch_vccz .LBB158_2270
; %bb.2269:
	v_cmp_ne_u16_e64 s0, 11, v9
	s_mov_b32 s10, -1
                                        ; implicit-def: $vgpr2
.LBB158_2270:
	s_delay_alu instid0(VALU_DEP_1)
	s_and_b32 vcc_lo, exec_lo, s0
	s_cbranch_vccnz .LBB158_2335
; %bb.2271:
	s_and_not1_b32 vcc_lo, exec_lo, s10
	s_cbranch_vccnz .LBB158_2273
.LBB158_2272:
	global_load_u8 v2, v[4:5], off
	s_mov_b32 s14, -1
	s_waitcnt vmcnt(0)
	v_cmp_ne_u16_e32 vcc_lo, 0, v2
	v_cndmask_b32_e64 v2, 0, 1, vcc_lo
.LBB158_2273:
	s_mov_b32 s0, 0
.LBB158_2274:
	s_delay_alu instid0(SALU_CYCLE_1)
	s_and_b32 vcc_lo, exec_lo, s0
	s_cbranch_vccz .LBB158_2323
; %bb.2275:
	v_cmp_gt_i16_e32 vcc_lo, 5, v9
	s_cbranch_vccnz .LBB158_2280
; %bb.2276:
	v_cmp_gt_i16_e32 vcc_lo, 8, v9
	s_cbranch_vccnz .LBB158_2281
	;; [unrolled: 3-line block ×3, first 2 shown]
; %bb.2278:
	v_cmp_lt_i16_e32 vcc_lo, 9, v9
	s_cbranch_vccz .LBB158_2283
; %bb.2279:
	global_load_b64 v[2:3], v[4:5], off
	s_mov_b32 s0, 0
	s_waitcnt vmcnt(0)
	v_trunc_f64_e32 v[2:3], v[2:3]
	s_delay_alu instid0(VALU_DEP_1) | instskip(NEXT) | instid1(VALU_DEP_1)
	v_ldexp_f64 v[14:15], v[2:3], 0xffffffe0
	v_floor_f64_e32 v[14:15], v[14:15]
	s_delay_alu instid0(VALU_DEP_1) | instskip(NEXT) | instid1(VALU_DEP_1)
	v_fma_f64 v[2:3], 0xc1f00000, v[14:15], v[2:3]
	v_cvt_u32_f64_e32 v2, v[2:3]
	s_branch .LBB158_2284
.LBB158_2280:
	s_mov_b32 s0, -1
                                        ; implicit-def: $vgpr2
	s_branch .LBB158_2302
.LBB158_2281:
	s_mov_b32 s0, -1
                                        ; implicit-def: $vgpr2
	s_branch .LBB158_2290
.LBB158_2282:
	s_mov_b32 s0, -1
                                        ; implicit-def: $vgpr2
	s_branch .LBB158_2287
.LBB158_2283:
	s_mov_b32 s0, -1
                                        ; implicit-def: $vgpr2
.LBB158_2284:
	s_delay_alu instid0(SALU_CYCLE_1)
	s_and_not1_b32 vcc_lo, exec_lo, s0
	s_cbranch_vccnz .LBB158_2286
; %bb.2285:
	global_load_b32 v2, v[4:5], off
	s_waitcnt vmcnt(0)
	v_trunc_f32_e32 v2, v2
	s_delay_alu instid0(VALU_DEP_1) | instskip(NEXT) | instid1(VALU_DEP_1)
	v_mul_f32_e64 v3, 0x2f800000, |v2|
	v_floor_f32_e32 v3, v3
	s_delay_alu instid0(VALU_DEP_1) | instskip(SKIP_1) | instid1(VALU_DEP_2)
	v_fma_f32 v3, 0xcf800000, v3, |v2|
	v_ashrrev_i32_e32 v2, 31, v2
	v_cvt_u32_f32_e32 v3, v3
	s_delay_alu instid0(VALU_DEP_1) | instskip(NEXT) | instid1(VALU_DEP_1)
	v_xor_b32_e32 v3, v3, v2
	v_sub_nc_u32_e32 v2, v3, v2
.LBB158_2286:
	s_mov_b32 s0, 0
.LBB158_2287:
	s_delay_alu instid0(SALU_CYCLE_1)
	s_and_not1_b32 vcc_lo, exec_lo, s0
	s_cbranch_vccnz .LBB158_2289
; %bb.2288:
	global_load_b32 v2, v[4:5], off
	s_waitcnt vmcnt(0)
	v_cvt_f32_f16_e32 v2, v2
	s_delay_alu instid0(VALU_DEP_1)
	v_cvt_i32_f32_e32 v2, v2
.LBB158_2289:
	s_mov_b32 s0, 0
.LBB158_2290:
	s_delay_alu instid0(SALU_CYCLE_1)
	s_and_not1_b32 vcc_lo, exec_lo, s0
	s_cbranch_vccnz .LBB158_2301
; %bb.2291:
	v_cmp_gt_i16_e32 vcc_lo, 6, v9
	s_cbranch_vccnz .LBB158_2294
; %bb.2292:
	v_cmp_lt_i16_e32 vcc_lo, 6, v9
	s_cbranch_vccz .LBB158_2295
; %bb.2293:
	global_load_b64 v[2:3], v[4:5], off
	s_mov_b32 s0, 0
	s_waitcnt vmcnt(0)
	v_trunc_f64_e32 v[2:3], v[2:3]
	s_delay_alu instid0(VALU_DEP_1) | instskip(NEXT) | instid1(VALU_DEP_1)
	v_ldexp_f64 v[14:15], v[2:3], 0xffffffe0
	v_floor_f64_e32 v[14:15], v[14:15]
	s_delay_alu instid0(VALU_DEP_1) | instskip(NEXT) | instid1(VALU_DEP_1)
	v_fma_f64 v[2:3], 0xc1f00000, v[14:15], v[2:3]
	v_cvt_u32_f64_e32 v2, v[2:3]
	s_branch .LBB158_2296
.LBB158_2294:
	s_mov_b32 s0, -1
                                        ; implicit-def: $vgpr2
	s_branch .LBB158_2299
.LBB158_2295:
	s_mov_b32 s0, -1
                                        ; implicit-def: $vgpr2
.LBB158_2296:
	s_delay_alu instid0(SALU_CYCLE_1)
	s_and_not1_b32 vcc_lo, exec_lo, s0
	s_cbranch_vccnz .LBB158_2298
; %bb.2297:
	global_load_b32 v2, v[4:5], off
	s_waitcnt vmcnt(0)
	v_trunc_f32_e32 v2, v2
	s_delay_alu instid0(VALU_DEP_1) | instskip(NEXT) | instid1(VALU_DEP_1)
	v_mul_f32_e64 v3, 0x2f800000, |v2|
	v_floor_f32_e32 v3, v3
	s_delay_alu instid0(VALU_DEP_1) | instskip(SKIP_1) | instid1(VALU_DEP_2)
	v_fma_f32 v3, 0xcf800000, v3, |v2|
	v_ashrrev_i32_e32 v2, 31, v2
	v_cvt_u32_f32_e32 v3, v3
	s_delay_alu instid0(VALU_DEP_1) | instskip(NEXT) | instid1(VALU_DEP_1)
	v_xor_b32_e32 v3, v3, v2
	v_sub_nc_u32_e32 v2, v3, v2
.LBB158_2298:
	s_mov_b32 s0, 0
.LBB158_2299:
	s_delay_alu instid0(SALU_CYCLE_1)
	s_and_not1_b32 vcc_lo, exec_lo, s0
	s_cbranch_vccnz .LBB158_2301
; %bb.2300:
	global_load_u16 v2, v[4:5], off
	s_waitcnt vmcnt(0)
	v_cvt_f32_f16_e32 v2, v2
	s_delay_alu instid0(VALU_DEP_1)
	v_cvt_i32_f32_e32 v2, v2
.LBB158_2301:
	s_mov_b32 s0, 0
.LBB158_2302:
	s_delay_alu instid0(SALU_CYCLE_1)
	s_and_not1_b32 vcc_lo, exec_lo, s0
	s_cbranch_vccnz .LBB158_2322
; %bb.2303:
	v_cmp_gt_i16_e32 vcc_lo, 2, v9
	s_cbranch_vccnz .LBB158_2307
; %bb.2304:
	v_cmp_gt_i16_e32 vcc_lo, 3, v9
	s_cbranch_vccnz .LBB158_2308
; %bb.2305:
	v_cmp_lt_i16_e32 vcc_lo, 3, v9
	s_cbranch_vccz .LBB158_2309
; %bb.2306:
	global_load_b64 v[2:3], v[4:5], off
	s_mov_b32 s0, 0
	s_branch .LBB158_2310
.LBB158_2307:
	s_mov_b32 s0, -1
                                        ; implicit-def: $vgpr2
	s_branch .LBB158_2316
.LBB158_2308:
	s_mov_b32 s0, -1
                                        ; implicit-def: $vgpr2
	s_branch .LBB158_2313
.LBB158_2309:
	s_mov_b32 s0, -1
                                        ; implicit-def: $vgpr2
.LBB158_2310:
	s_delay_alu instid0(SALU_CYCLE_1)
	s_and_not1_b32 vcc_lo, exec_lo, s0
	s_cbranch_vccnz .LBB158_2312
; %bb.2311:
	global_load_b32 v2, v[4:5], off
.LBB158_2312:
	s_mov_b32 s0, 0
.LBB158_2313:
	s_delay_alu instid0(SALU_CYCLE_1)
	s_and_not1_b32 vcc_lo, exec_lo, s0
	s_cbranch_vccnz .LBB158_2315
; %bb.2314:
	global_load_u16 v2, v[4:5], off
.LBB158_2315:
	s_mov_b32 s0, 0
.LBB158_2316:
	s_delay_alu instid0(SALU_CYCLE_1)
	s_and_not1_b32 vcc_lo, exec_lo, s0
	s_cbranch_vccnz .LBB158_2322
; %bb.2317:
	v_cmp_lt_i16_e32 vcc_lo, 0, v9
	s_mov_b32 s0, 0
	s_cbranch_vccz .LBB158_2319
; %bb.2318:
	global_load_u8 v2, v[4:5], off
	s_branch .LBB158_2320
.LBB158_2319:
	s_mov_b32 s0, -1
                                        ; implicit-def: $vgpr2
.LBB158_2320:
	s_delay_alu instid0(SALU_CYCLE_1)
	s_and_not1_b32 vcc_lo, exec_lo, s0
	s_cbranch_vccnz .LBB158_2322
; %bb.2321:
	global_load_u8 v2, v[4:5], off
.LBB158_2322:
	s_mov_b32 s14, -1
.LBB158_2323:
	s_delay_alu instid0(SALU_CYCLE_1)
	s_and_not1_b32 vcc_lo, exec_lo, s14
	s_cbranch_vccnz .LBB158_3021
; %bb.2324:
	s_waitcnt vmcnt(0)
	v_add_nc_u32_e32 v3, s1, v12
	v_cmp_gt_i16_e32 vcc_lo, 11, v6
	s_delay_alu instid0(VALU_DEP_2) | instskip(SKIP_1) | instid1(VALU_DEP_1)
	v_ashrrev_i32_e32 v4, 31, v3
	v_add_co_u32 v3, s0, s6, v3
	v_add_co_ci_u32_e64 v4, s0, s7, v4, s0
	s_cbranch_vccnz .LBB158_2331
; %bb.2325:
	v_cmp_lt_i16_e32 vcc_lo, 25, v6
	s_mov_b32 s1, 0
	s_cbranch_vccz .LBB158_2332
; %bb.2326:
	v_cmp_lt_i16_e32 vcc_lo, 28, v6
	s_cbranch_vccz .LBB158_2333
; %bb.2327:
	v_cmp_lt_i16_e32 vcc_lo, 43, v6
	;; [unrolled: 3-line block ×3, first 2 shown]
	s_cbranch_vccz .LBB158_2337
; %bb.2329:
	v_cmp_eq_u16_e32 vcc_lo, 46, v6
	s_mov_b32 s7, 0
	s_cbranch_vccz .LBB158_2340
; %bb.2330:
	global_load_b32 v5, v[3:4], off
	s_mov_b32 s0, 0
	s_mov_b32 s6, -1
	s_waitcnt vmcnt(0)
	v_lshlrev_b32_e32 v12, 16, v5
	s_branch .LBB158_2342
.LBB158_2331:
	s_mov_b32 s0, -1
	s_mov_b32 s6, 0
                                        ; implicit-def: $vgpr12
	s_branch .LBB158_2408
.LBB158_2332:
	s_mov_b32 s7, -1
	s_mov_b32 s6, 0
	s_mov_b32 s0, 0
                                        ; implicit-def: $vgpr12
	s_branch .LBB158_2371
.LBB158_2333:
	s_mov_b32 s7, -1
	s_mov_b32 s6, 0
	s_mov_b32 s0, 0
                                        ; implicit-def: $vgpr12
	s_branch .LBB158_2352
.LBB158_2334:
	s_mov_b32 s7, -1
	s_mov_b32 s6, 0
	s_mov_b32 s0, 0
                                        ; implicit-def: $vgpr12
	s_branch .LBB158_2347
.LBB158_2335:
	s_cbranch_execnz .LBB158_2338
; %bb.2336:
	s_or_b32 s13, s13, exec_lo
                                        ; implicit-def: $vgpr2
	s_cbranch_execz .LBB158_2272
	s_branch .LBB158_2273
.LBB158_2337:
	s_mov_b32 s7, -1
	s_mov_b32 s6, 0
	s_mov_b32 s0, 0
	s_branch .LBB158_2341
.LBB158_2338:
	s_trap 2
	s_sendmsg_rtn_b32 s0, sendmsg(MSG_RTN_GET_DOORBELL)
	s_mov_b32 ttmp2, m0
	s_waitcnt lgkmcnt(0)
	s_and_b32 s0, s0, 0x3ff
	s_delay_alu instid0(SALU_CYCLE_1) | instskip(NEXT) | instid1(SALU_CYCLE_1)
	s_bitset1_b32 s0, 10
	s_mov_b32 m0, s0
	s_sendmsg sendmsg(MSG_INTERRUPT)
	s_mov_b32 m0, ttmp2
.LBB158_2339:                           ; =>This Inner Loop Header: Depth=1
	s_sethalt 5
	s_branch .LBB158_2339
.LBB158_2340:
	s_mov_b32 s0, -1
	s_mov_b32 s6, 0
.LBB158_2341:
                                        ; implicit-def: $vgpr12
.LBB158_2342:
	s_and_b32 vcc_lo, exec_lo, s7
	s_cbranch_vccz .LBB158_2346
; %bb.2343:
	v_cmp_eq_u16_e32 vcc_lo, 44, v6
	s_cbranch_vccz .LBB158_2345
; %bb.2344:
	global_load_u8 v5, v[3:4], off
	s_mov_b32 s0, 0
	s_mov_b32 s6, -1
	s_waitcnt vmcnt(0)
	v_lshlrev_b32_e32 v12, 23, v5
	v_cmp_ne_u32_e32 vcc_lo, 0xff, v5
	s_delay_alu instid0(VALU_DEP_2) | instskip(SKIP_1) | instid1(VALU_DEP_2)
	v_cndmask_b32_e32 v12, 0x7f800001, v12, vcc_lo
	v_cmp_ne_u32_e32 vcc_lo, 0, v5
	v_cndmask_b32_e32 v12, 0x400000, v12, vcc_lo
	s_branch .LBB158_2346
.LBB158_2345:
	s_mov_b32 s0, -1
                                        ; implicit-def: $vgpr12
.LBB158_2346:
	s_mov_b32 s7, 0
.LBB158_2347:
	s_delay_alu instid0(SALU_CYCLE_1)
	s_and_b32 vcc_lo, exec_lo, s7
	s_cbranch_vccz .LBB158_2351
; %bb.2348:
	v_cmp_eq_u16_e32 vcc_lo, 29, v6
	s_cbranch_vccz .LBB158_2350
; %bb.2349:
	global_load_b64 v[14:15], v[3:4], off
	s_mov_b32 s0, 0
	s_mov_b32 s6, -1
	s_mov_b32 s7, 0
	s_waitcnt vmcnt(0)
	v_clz_i32_u32_e32 v5, v15
	s_delay_alu instid0(VALU_DEP_1) | instskip(NEXT) | instid1(VALU_DEP_1)
	v_min_u32_e32 v5, 32, v5
	v_lshlrev_b64 v[14:15], v5, v[14:15]
	v_sub_nc_u32_e32 v5, 32, v5
	s_delay_alu instid0(VALU_DEP_2) | instskip(NEXT) | instid1(VALU_DEP_1)
	v_min_u32_e32 v12, 1, v14
	v_or_b32_e32 v12, v15, v12
	s_delay_alu instid0(VALU_DEP_1) | instskip(NEXT) | instid1(VALU_DEP_1)
	v_cvt_f32_u32_e32 v12, v12
	v_ldexp_f32 v12, v12, v5
	s_branch .LBB158_2352
.LBB158_2350:
	s_mov_b32 s0, -1
                                        ; implicit-def: $vgpr12
.LBB158_2351:
	s_mov_b32 s7, 0
.LBB158_2352:
	s_delay_alu instid0(SALU_CYCLE_1)
	s_and_b32 vcc_lo, exec_lo, s7
	s_cbranch_vccz .LBB158_2370
; %bb.2353:
	v_cmp_gt_i16_e32 vcc_lo, 27, v6
	s_cbranch_vccnz .LBB158_2356
; %bb.2354:
	v_cmp_lt_i16_e32 vcc_lo, 27, v6
	s_cbranch_vccz .LBB158_2357
; %bb.2355:
	global_load_b32 v5, v[3:4], off
	s_mov_b32 s6, 0
	s_waitcnt vmcnt(0)
	v_cvt_f32_u32_e32 v12, v5
	s_branch .LBB158_2358
.LBB158_2356:
	s_mov_b32 s6, -1
                                        ; implicit-def: $vgpr12
	s_branch .LBB158_2361
.LBB158_2357:
	s_mov_b32 s6, -1
                                        ; implicit-def: $vgpr12
.LBB158_2358:
	s_delay_alu instid0(SALU_CYCLE_1)
	s_and_not1_b32 vcc_lo, exec_lo, s6
	s_cbranch_vccnz .LBB158_2360
; %bb.2359:
	global_load_u16 v5, v[3:4], off
	s_waitcnt vmcnt(0)
	v_cvt_f32_u32_e32 v12, v5
.LBB158_2360:
	s_mov_b32 s6, 0
.LBB158_2361:
	s_delay_alu instid0(SALU_CYCLE_1)
	s_and_not1_b32 vcc_lo, exec_lo, s6
	s_cbranch_vccnz .LBB158_2369
; %bb.2362:
	global_load_u8 v5, v[3:4], off
	s_mov_b32 s6, 0
	s_mov_b32 s10, exec_lo
                                        ; implicit-def: $sgpr7
	s_waitcnt vmcnt(0)
	v_cmpx_lt_i16_e32 0x7f, v5
	s_xor_b32 s10, exec_lo, s10
	s_cbranch_execz .LBB158_2383
; %bb.2363:
	s_mov_b32 s6, -1
	s_mov_b32 s14, exec_lo
                                        ; implicit-def: $sgpr7
	v_cmpx_eq_u16_e32 0x80, v5
; %bb.2364:
	s_mov_b32 s7, 0x7f800001
	s_xor_b32 s6, exec_lo, -1
; %bb.2365:
	s_or_b32 exec_lo, exec_lo, s14
	s_delay_alu instid0(SALU_CYCLE_1)
	s_and_b32 s6, s6, exec_lo
	s_or_saveexec_b32 s10, s10
	v_mov_b32_e32 v12, s7
	s_xor_b32 exec_lo, exec_lo, s10
	s_cbranch_execnz .LBB158_2384
.LBB158_2366:
	s_or_b32 exec_lo, exec_lo, s10
	s_and_saveexec_b32 s7, s6
	s_cbranch_execz .LBB158_2368
.LBB158_2367:
	v_and_b32_e32 v12, 0xffff, v5
	s_delay_alu instid0(VALU_DEP_1) | instskip(NEXT) | instid1(VALU_DEP_1)
	v_and_b32_e32 v14, 7, v12
	v_clz_i32_u32_e32 v15, v14
	s_delay_alu instid0(VALU_DEP_1) | instskip(NEXT) | instid1(VALU_DEP_1)
	v_min_u32_e32 v15, 32, v15
	v_subrev_nc_u32_e32 v16, 28, v15
	v_sub_nc_u32_e32 v15, 29, v15
	s_delay_alu instid0(VALU_DEP_2) | instskip(SKIP_1) | instid1(VALU_DEP_2)
	v_lshlrev_b32_e32 v16, v16, v12
	v_bfe_u32 v12, v12, 3, 4
	v_and_b32_e32 v16, 7, v16
	s_delay_alu instid0(VALU_DEP_2) | instskip(SKIP_1) | instid1(VALU_DEP_1)
	v_cmp_eq_u32_e32 vcc_lo, 0, v12
	v_dual_cndmask_b32 v12, v12, v15 :: v_dual_lshlrev_b32 v5, 24, v5
	v_dual_cndmask_b32 v14, v14, v16 :: v_dual_and_b32 v5, 0x80000000, v5
	s_delay_alu instid0(VALU_DEP_2) | instskip(NEXT) | instid1(VALU_DEP_2)
	v_lshl_add_u32 v12, v12, 23, 0x3b800000
	v_lshlrev_b32_e32 v14, 20, v14
	s_delay_alu instid0(VALU_DEP_1)
	v_or3_b32 v12, v5, v12, v14
.LBB158_2368:
	s_or_b32 exec_lo, exec_lo, s7
.LBB158_2369:
	s_mov_b32 s6, -1
.LBB158_2370:
	s_mov_b32 s7, 0
.LBB158_2371:
	s_delay_alu instid0(SALU_CYCLE_1)
	s_and_b32 vcc_lo, exec_lo, s7
	s_cbranch_vccz .LBB158_2404
; %bb.2372:
	v_cmp_lt_i16_e32 vcc_lo, 22, v6
	s_cbranch_vccz .LBB158_2382
; %bb.2373:
	v_cmp_gt_i16_e32 vcc_lo, 24, v6
	s_cbranch_vccnz .LBB158_2385
; %bb.2374:
	v_cmp_lt_i16_e32 vcc_lo, 24, v6
	s_cbranch_vccz .LBB158_2386
; %bb.2375:
	global_load_u8 v5, v[3:4], off
	s_mov_b32 s7, exec_lo
                                        ; implicit-def: $sgpr6
	s_waitcnt vmcnt(0)
	v_cmpx_lt_i16_e32 0x7f, v5
	s_xor_b32 s7, exec_lo, s7
	s_cbranch_execz .LBB158_2398
; %bb.2376:
	s_mov_b32 s1, -1
	s_mov_b32 s10, exec_lo
                                        ; implicit-def: $sgpr6
	v_cmpx_eq_u16_e32 0x80, v5
; %bb.2377:
	s_mov_b32 s6, 0x7f800001
	s_xor_b32 s1, exec_lo, -1
; %bb.2378:
	s_or_b32 exec_lo, exec_lo, s10
	s_delay_alu instid0(SALU_CYCLE_1)
	s_and_b32 s1, s1, exec_lo
	s_or_saveexec_b32 s7, s7
	v_mov_b32_e32 v12, s6
	s_xor_b32 exec_lo, exec_lo, s7
	s_cbranch_execnz .LBB158_2399
.LBB158_2379:
	s_or_b32 exec_lo, exec_lo, s7
	s_and_saveexec_b32 s6, s1
	s_cbranch_execz .LBB158_2381
.LBB158_2380:
	v_and_b32_e32 v12, 0xffff, v5
	s_delay_alu instid0(VALU_DEP_1) | instskip(NEXT) | instid1(VALU_DEP_1)
	v_and_b32_e32 v14, 3, v12
	v_clz_i32_u32_e32 v15, v14
	s_delay_alu instid0(VALU_DEP_1) | instskip(NEXT) | instid1(VALU_DEP_1)
	v_min_u32_e32 v15, 32, v15
	v_subrev_nc_u32_e32 v16, 29, v15
	v_sub_nc_u32_e32 v15, 30, v15
	s_delay_alu instid0(VALU_DEP_2) | instskip(SKIP_1) | instid1(VALU_DEP_2)
	v_lshlrev_b32_e32 v16, v16, v12
	v_bfe_u32 v12, v12, 2, 5
	v_and_b32_e32 v16, 3, v16
	s_delay_alu instid0(VALU_DEP_2) | instskip(SKIP_1) | instid1(VALU_DEP_1)
	v_cmp_eq_u32_e32 vcc_lo, 0, v12
	v_dual_cndmask_b32 v12, v12, v15 :: v_dual_lshlrev_b32 v5, 24, v5
	v_dual_cndmask_b32 v14, v14, v16 :: v_dual_and_b32 v5, 0x80000000, v5
	s_delay_alu instid0(VALU_DEP_2) | instskip(NEXT) | instid1(VALU_DEP_2)
	v_lshl_add_u32 v12, v12, 23, 0x37800000
	v_lshlrev_b32_e32 v14, 21, v14
	s_delay_alu instid0(VALU_DEP_1)
	v_or3_b32 v12, v5, v12, v14
.LBB158_2381:
	s_or_b32 exec_lo, exec_lo, s6
	s_mov_b32 s1, 0
	s_branch .LBB158_2387
.LBB158_2382:
	s_mov_b32 s1, -1
                                        ; implicit-def: $vgpr12
	s_branch .LBB158_2393
.LBB158_2383:
	s_or_saveexec_b32 s10, s10
	v_mov_b32_e32 v12, s7
	s_xor_b32 exec_lo, exec_lo, s10
	s_cbranch_execz .LBB158_2366
.LBB158_2384:
	v_cmp_ne_u16_e32 vcc_lo, 0, v5
	v_mov_b32_e32 v12, 0
	s_and_not1_b32 s6, s6, exec_lo
	s_and_b32 s7, vcc_lo, exec_lo
	s_delay_alu instid0(SALU_CYCLE_1)
	s_or_b32 s6, s6, s7
	s_or_b32 exec_lo, exec_lo, s10
	s_and_saveexec_b32 s7, s6
	s_cbranch_execnz .LBB158_2367
	s_branch .LBB158_2368
.LBB158_2385:
	s_mov_b32 s1, -1
                                        ; implicit-def: $vgpr12
	s_branch .LBB158_2390
.LBB158_2386:
	s_mov_b32 s1, -1
                                        ; implicit-def: $vgpr12
.LBB158_2387:
	s_delay_alu instid0(SALU_CYCLE_1)
	s_and_b32 vcc_lo, exec_lo, s1
	s_cbranch_vccz .LBB158_2389
; %bb.2388:
	global_load_u8 v5, v[3:4], off
	s_waitcnt vmcnt(0)
	v_lshlrev_b32_e32 v5, 24, v5
	s_delay_alu instid0(VALU_DEP_1) | instskip(NEXT) | instid1(VALU_DEP_1)
	v_and_b32_e32 v12, 0x7f000000, v5
	v_clz_i32_u32_e32 v14, v12
	v_add_nc_u32_e32 v16, 0x1000000, v12
	v_cmp_ne_u32_e32 vcc_lo, 0, v12
	s_delay_alu instid0(VALU_DEP_3) | instskip(NEXT) | instid1(VALU_DEP_1)
	v_min_u32_e32 v14, 32, v14
	v_sub_nc_u32_e64 v14, v14, 4 clamp
	s_delay_alu instid0(VALU_DEP_1) | instskip(SKIP_1) | instid1(VALU_DEP_2)
	v_lshlrev_b32_e32 v15, v14, v12
	v_lshlrev_b32_e32 v14, 23, v14
	v_lshrrev_b32_e32 v15, 4, v15
	s_delay_alu instid0(VALU_DEP_1) | instskip(SKIP_1) | instid1(VALU_DEP_2)
	v_sub_nc_u32_e32 v14, v15, v14
	v_ashrrev_i32_e32 v15, 8, v16
	v_add_nc_u32_e32 v14, 0x3c000000, v14
	s_delay_alu instid0(VALU_DEP_1) | instskip(NEXT) | instid1(VALU_DEP_1)
	v_and_or_b32 v14, 0x7f800000, v15, v14
	v_cndmask_b32_e32 v12, 0, v14, vcc_lo
	s_delay_alu instid0(VALU_DEP_1)
	v_and_or_b32 v12, 0x80000000, v5, v12
.LBB158_2389:
	s_mov_b32 s1, 0
.LBB158_2390:
	s_delay_alu instid0(SALU_CYCLE_1)
	s_and_not1_b32 vcc_lo, exec_lo, s1
	s_cbranch_vccnz .LBB158_2392
; %bb.2391:
	global_load_u8 v5, v[3:4], off
	s_waitcnt vmcnt(0)
	v_lshlrev_b32_e32 v12, 25, v5
	v_lshlrev_b16 v5, 8, v5
	s_delay_alu instid0(VALU_DEP_1) | instskip(SKIP_1) | instid1(VALU_DEP_2)
	v_and_or_b32 v15, 0x7f00, v5, 0.5
	v_bfe_i32 v5, v5, 0, 16
	v_add_f32_e32 v15, -0.5, v15
	v_lshrrev_b32_e32 v14, 4, v12
	v_cmp_gt_u32_e32 vcc_lo, 0x8000000, v12
	s_delay_alu instid0(VALU_DEP_2) | instskip(NEXT) | instid1(VALU_DEP_1)
	v_or_b32_e32 v14, 0x70000000, v14
	v_mul_f32_e32 v14, 0x7800000, v14
	s_delay_alu instid0(VALU_DEP_1) | instskip(NEXT) | instid1(VALU_DEP_1)
	v_cndmask_b32_e32 v12, v14, v15, vcc_lo
	v_and_or_b32 v12, 0x80000000, v5, v12
.LBB158_2392:
	s_mov_b32 s1, 0
	s_mov_b32 s6, -1
.LBB158_2393:
	s_and_not1_b32 vcc_lo, exec_lo, s1
	s_mov_b32 s1, 0
	s_cbranch_vccnz .LBB158_2404
; %bb.2394:
	v_cmp_lt_i16_e32 vcc_lo, 14, v6
	s_cbranch_vccz .LBB158_2397
; %bb.2395:
	v_cmp_eq_u16_e32 vcc_lo, 15, v6
	s_cbranch_vccz .LBB158_2400
; %bb.2396:
	global_load_u16 v5, v[3:4], off
	s_mov_b32 s0, 0
	s_mov_b32 s6, -1
	s_waitcnt vmcnt(0)
	v_lshlrev_b32_e32 v12, 16, v5
	s_branch .LBB158_2402
.LBB158_2397:
	s_mov_b32 s1, -1
	s_branch .LBB158_2401
.LBB158_2398:
	s_or_saveexec_b32 s7, s7
	v_mov_b32_e32 v12, s6
	s_xor_b32 exec_lo, exec_lo, s7
	s_cbranch_execz .LBB158_2379
.LBB158_2399:
	v_cmp_ne_u16_e32 vcc_lo, 0, v5
	v_mov_b32_e32 v12, 0
	s_and_not1_b32 s1, s1, exec_lo
	s_and_b32 s6, vcc_lo, exec_lo
	s_delay_alu instid0(SALU_CYCLE_1)
	s_or_b32 s1, s1, s6
	s_or_b32 exec_lo, exec_lo, s7
	s_and_saveexec_b32 s6, s1
	s_cbranch_execnz .LBB158_2380
	s_branch .LBB158_2381
.LBB158_2400:
	s_mov_b32 s0, -1
.LBB158_2401:
                                        ; implicit-def: $vgpr12
.LBB158_2402:
	s_and_b32 vcc_lo, exec_lo, s1
	s_mov_b32 s1, 0
	s_cbranch_vccz .LBB158_2404
; %bb.2403:
	v_cmp_ne_u16_e64 s0, 11, v6
	s_mov_b32 s1, -1
                                        ; implicit-def: $vgpr12
.LBB158_2404:
	s_delay_alu instid0(VALU_DEP_1)
	s_and_b32 vcc_lo, exec_lo, s0
	s_cbranch_vccnz .LBB158_2469
; %bb.2405:
	s_and_not1_b32 vcc_lo, exec_lo, s1
	s_cbranch_vccnz .LBB158_2407
.LBB158_2406:
	global_load_u8 v5, v[3:4], off
	s_mov_b32 s6, -1
	s_waitcnt vmcnt(0)
	v_cmp_ne_u16_e32 vcc_lo, 0, v5
	v_cndmask_b32_e64 v12, 0, 1.0, vcc_lo
.LBB158_2407:
	s_mov_b32 s0, 0
.LBB158_2408:
	s_delay_alu instid0(SALU_CYCLE_1)
	s_and_b32 vcc_lo, exec_lo, s0
	s_cbranch_vccz .LBB158_2457
; %bb.2409:
	v_cmp_gt_i16_e32 vcc_lo, 5, v6
	s_cbranch_vccnz .LBB158_2414
; %bb.2410:
	v_cmp_gt_i16_e32 vcc_lo, 8, v6
	s_cbranch_vccnz .LBB158_2415
	;; [unrolled: 3-line block ×3, first 2 shown]
; %bb.2412:
	v_cmp_lt_i16_e32 vcc_lo, 9, v6
	s_cbranch_vccz .LBB158_2417
; %bb.2413:
	global_load_b64 v[14:15], v[3:4], off
	s_mov_b32 s0, 0
	s_waitcnt vmcnt(0)
	v_cvt_f32_f64_e32 v12, v[14:15]
	s_branch .LBB158_2418
.LBB158_2414:
	s_mov_b32 s0, -1
                                        ; implicit-def: $vgpr12
	s_branch .LBB158_2436
.LBB158_2415:
	s_mov_b32 s0, -1
                                        ; implicit-def: $vgpr12
	s_branch .LBB158_2424
.LBB158_2416:
	s_mov_b32 s0, -1
                                        ; implicit-def: $vgpr12
	s_branch .LBB158_2421
.LBB158_2417:
	s_mov_b32 s0, -1
                                        ; implicit-def: $vgpr12
.LBB158_2418:
	s_delay_alu instid0(SALU_CYCLE_1)
	s_and_not1_b32 vcc_lo, exec_lo, s0
	s_cbranch_vccnz .LBB158_2420
; %bb.2419:
	global_load_b32 v12, v[3:4], off
.LBB158_2420:
	s_mov_b32 s0, 0
.LBB158_2421:
	s_delay_alu instid0(SALU_CYCLE_1)
	s_and_not1_b32 vcc_lo, exec_lo, s0
	s_cbranch_vccnz .LBB158_2423
; %bb.2422:
	global_load_b32 v5, v[3:4], off
	s_waitcnt vmcnt(0)
	v_cvt_f32_f16_e32 v12, v5
.LBB158_2423:
	s_mov_b32 s0, 0
.LBB158_2424:
	s_delay_alu instid0(SALU_CYCLE_1)
	s_and_not1_b32 vcc_lo, exec_lo, s0
	s_cbranch_vccnz .LBB158_2435
; %bb.2425:
	v_cmp_gt_i16_e32 vcc_lo, 6, v6
	s_cbranch_vccnz .LBB158_2428
; %bb.2426:
	v_cmp_lt_i16_e32 vcc_lo, 6, v6
	s_cbranch_vccz .LBB158_2429
; %bb.2427:
	global_load_b64 v[14:15], v[3:4], off
	s_mov_b32 s0, 0
	s_waitcnt vmcnt(0)
	v_cvt_f32_f64_e32 v12, v[14:15]
	s_branch .LBB158_2430
.LBB158_2428:
	s_mov_b32 s0, -1
                                        ; implicit-def: $vgpr12
	s_branch .LBB158_2433
.LBB158_2429:
	s_mov_b32 s0, -1
                                        ; implicit-def: $vgpr12
.LBB158_2430:
	s_delay_alu instid0(SALU_CYCLE_1)
	s_and_not1_b32 vcc_lo, exec_lo, s0
	s_cbranch_vccnz .LBB158_2432
; %bb.2431:
	global_load_b32 v12, v[3:4], off
.LBB158_2432:
	s_mov_b32 s0, 0
.LBB158_2433:
	s_delay_alu instid0(SALU_CYCLE_1)
	s_and_not1_b32 vcc_lo, exec_lo, s0
	s_cbranch_vccnz .LBB158_2435
; %bb.2434:
	global_load_u16 v5, v[3:4], off
	s_waitcnt vmcnt(0)
	v_cvt_f32_f16_e32 v12, v5
.LBB158_2435:
	s_mov_b32 s0, 0
.LBB158_2436:
	s_delay_alu instid0(SALU_CYCLE_1)
	s_and_not1_b32 vcc_lo, exec_lo, s0
	s_cbranch_vccnz .LBB158_2456
; %bb.2437:
	v_cmp_gt_i16_e32 vcc_lo, 2, v6
	s_cbranch_vccnz .LBB158_2441
; %bb.2438:
	v_cmp_gt_i16_e32 vcc_lo, 3, v6
	s_cbranch_vccnz .LBB158_2442
; %bb.2439:
	v_cmp_lt_i16_e32 vcc_lo, 3, v6
	s_cbranch_vccz .LBB158_2443
; %bb.2440:
	global_load_b64 v[14:15], v[3:4], off
	s_mov_b32 s0, 0
	s_waitcnt vmcnt(0)
	v_xor_b32_e32 v5, v14, v15
	v_cls_i32_e32 v12, v15
	s_delay_alu instid0(VALU_DEP_2) | instskip(NEXT) | instid1(VALU_DEP_2)
	v_ashrrev_i32_e32 v5, 31, v5
	v_add_nc_u32_e32 v12, -1, v12
	s_delay_alu instid0(VALU_DEP_2) | instskip(NEXT) | instid1(VALU_DEP_1)
	v_add_nc_u32_e32 v5, 32, v5
	v_min_u32_e32 v5, v12, v5
	s_delay_alu instid0(VALU_DEP_1) | instskip(SKIP_1) | instid1(VALU_DEP_2)
	v_lshlrev_b64 v[14:15], v5, v[14:15]
	v_sub_nc_u32_e32 v5, 32, v5
	v_min_u32_e32 v12, 1, v14
	s_delay_alu instid0(VALU_DEP_1) | instskip(NEXT) | instid1(VALU_DEP_1)
	v_or_b32_e32 v12, v15, v12
	v_cvt_f32_i32_e32 v12, v12
	s_delay_alu instid0(VALU_DEP_1)
	v_ldexp_f32 v12, v12, v5
	s_branch .LBB158_2444
.LBB158_2441:
	s_mov_b32 s0, -1
                                        ; implicit-def: $vgpr12
	s_branch .LBB158_2450
.LBB158_2442:
	s_mov_b32 s0, -1
                                        ; implicit-def: $vgpr12
	s_branch .LBB158_2447
.LBB158_2443:
	s_mov_b32 s0, -1
                                        ; implicit-def: $vgpr12
.LBB158_2444:
	s_delay_alu instid0(SALU_CYCLE_1)
	s_and_not1_b32 vcc_lo, exec_lo, s0
	s_cbranch_vccnz .LBB158_2446
; %bb.2445:
	global_load_b32 v5, v[3:4], off
	s_waitcnt vmcnt(0)
	v_cvt_f32_i32_e32 v12, v5
.LBB158_2446:
	s_mov_b32 s0, 0
.LBB158_2447:
	s_delay_alu instid0(SALU_CYCLE_1)
	s_and_not1_b32 vcc_lo, exec_lo, s0
	s_cbranch_vccnz .LBB158_2449
; %bb.2448:
	global_load_i16 v5, v[3:4], off
	s_waitcnt vmcnt(0)
	v_cvt_f32_i32_e32 v12, v5
.LBB158_2449:
	s_mov_b32 s0, 0
.LBB158_2450:
	s_delay_alu instid0(SALU_CYCLE_1)
	s_and_not1_b32 vcc_lo, exec_lo, s0
	s_cbranch_vccnz .LBB158_2456
; %bb.2451:
	v_cmp_lt_i16_e32 vcc_lo, 0, v6
	s_mov_b32 s0, 0
	s_cbranch_vccz .LBB158_2453
; %bb.2452:
	global_load_i8 v5, v[3:4], off
	s_waitcnt vmcnt(0)
	v_cvt_f32_i32_e32 v12, v5
	s_branch .LBB158_2454
.LBB158_2453:
	s_mov_b32 s0, -1
                                        ; implicit-def: $vgpr12
.LBB158_2454:
	s_delay_alu instid0(SALU_CYCLE_1)
	s_and_not1_b32 vcc_lo, exec_lo, s0
	s_cbranch_vccnz .LBB158_2456
; %bb.2455:
	global_load_u8 v3, v[3:4], off
	s_waitcnt vmcnt(0)
	v_cvt_f32_ubyte0_e32 v12, v3
.LBB158_2456:
	s_mov_b32 s6, -1
.LBB158_2457:
	s_delay_alu instid0(SALU_CYCLE_1)
	s_and_not1_b32 vcc_lo, exec_lo, s6
	s_cbranch_vccnz .LBB158_3021
; %bb.2458:
	v_add_nc_u32_e32 v3, s9, v13
	v_cmp_gt_i16_e32 vcc_lo, 11, v9
	s_delay_alu instid0(VALU_DEP_2) | instskip(SKIP_1) | instid1(VALU_DEP_1)
	v_ashrrev_i32_e32 v4, 31, v3
	v_add_co_u32 v5, s0, s2, v3
	v_add_co_ci_u32_e64 v6, s0, s3, v4, s0
	s_cbranch_vccnz .LBB158_2465
; %bb.2459:
	v_cmp_lt_i16_e32 vcc_lo, 25, v9
	s_mov_b32 s1, 0
	s_cbranch_vccz .LBB158_2466
; %bb.2460:
	v_cmp_lt_i16_e32 vcc_lo, 28, v9
	s_cbranch_vccz .LBB158_2467
; %bb.2461:
	v_cmp_lt_i16_e32 vcc_lo, 43, v9
	;; [unrolled: 3-line block ×3, first 2 shown]
	s_cbranch_vccz .LBB158_2471
; %bb.2463:
	v_cmp_eq_u16_e32 vcc_lo, 46, v9
	s_mov_b32 s3, 0
	s_cbranch_vccz .LBB158_2474
; %bb.2464:
	global_load_b32 v3, v[5:6], off
	s_mov_b32 s0, 0
	s_mov_b32 s2, -1
	s_waitcnt vmcnt(0)
	v_lshlrev_b32_e32 v3, 16, v3
	s_delay_alu instid0(VALU_DEP_1) | instskip(NEXT) | instid1(VALU_DEP_1)
	v_trunc_f32_e32 v3, v3
	v_mul_f32_e64 v4, 0x2f800000, |v3|
	s_delay_alu instid0(VALU_DEP_1) | instskip(NEXT) | instid1(VALU_DEP_1)
	v_floor_f32_e32 v4, v4
	v_fma_f32 v4, 0xcf800000, v4, |v3|
	v_ashrrev_i32_e32 v3, 31, v3
	s_delay_alu instid0(VALU_DEP_2) | instskip(NEXT) | instid1(VALU_DEP_1)
	v_cvt_u32_f32_e32 v4, v4
	v_xor_b32_e32 v4, v4, v3
	s_delay_alu instid0(VALU_DEP_1)
	v_sub_nc_u32_e32 v3, v4, v3
	s_branch .LBB158_2476
.LBB158_2465:
	s_mov_b32 s0, -1
	s_mov_b32 s2, 0
                                        ; implicit-def: $vgpr3
	s_branch .LBB158_2538
.LBB158_2466:
	s_mov_b32 s3, -1
	s_mov_b32 s2, 0
	s_mov_b32 s0, 0
                                        ; implicit-def: $vgpr3
	s_branch .LBB158_2503
.LBB158_2467:
	s_mov_b32 s3, -1
	s_mov_b32 s2, 0
	s_mov_b32 s0, 0
                                        ; implicit-def: $vgpr3
	s_branch .LBB158_2486
.LBB158_2468:
	s_mov_b32 s3, -1
	s_mov_b32 s2, 0
	s_mov_b32 s0, 0
                                        ; implicit-def: $vgpr3
	s_branch .LBB158_2481
.LBB158_2469:
	s_cbranch_execnz .LBB158_2472
; %bb.2470:
	s_or_b32 s13, s13, exec_lo
                                        ; implicit-def: $vgpr12
	s_cbranch_execz .LBB158_2406
	s_branch .LBB158_2407
.LBB158_2471:
	s_mov_b32 s3, -1
	s_mov_b32 s2, 0
	s_mov_b32 s0, 0
	s_branch .LBB158_2475
.LBB158_2472:
	s_trap 2
	s_sendmsg_rtn_b32 s0, sendmsg(MSG_RTN_GET_DOORBELL)
	s_mov_b32 ttmp2, m0
	s_waitcnt lgkmcnt(0)
	s_and_b32 s0, s0, 0x3ff
	s_delay_alu instid0(SALU_CYCLE_1) | instskip(NEXT) | instid1(SALU_CYCLE_1)
	s_bitset1_b32 s0, 10
	s_mov_b32 m0, s0
	s_sendmsg sendmsg(MSG_INTERRUPT)
	s_mov_b32 m0, ttmp2
.LBB158_2473:                           ; =>This Inner Loop Header: Depth=1
	s_sethalt 5
	s_branch .LBB158_2473
.LBB158_2474:
	s_mov_b32 s0, -1
	s_mov_b32 s2, 0
.LBB158_2475:
                                        ; implicit-def: $vgpr3
.LBB158_2476:
	s_and_b32 vcc_lo, exec_lo, s3
	s_cbranch_vccz .LBB158_2480
; %bb.2477:
	v_cmp_eq_u16_e32 vcc_lo, 44, v9
	s_cbranch_vccz .LBB158_2479
; %bb.2478:
	global_load_u8 v3, v[5:6], off
	s_mov_b32 s0, 0
	s_mov_b32 s2, -1
	s_waitcnt vmcnt(0)
	v_lshlrev_b32_e32 v4, 23, v3
	v_cmp_ne_u32_e32 vcc_lo, 0, v3
	s_delay_alu instid0(VALU_DEP_2) | instskip(NEXT) | instid1(VALU_DEP_1)
	v_trunc_f32_e32 v4, v4
	v_mul_f32_e64 v13, 0x2f800000, |v4|
	s_delay_alu instid0(VALU_DEP_1) | instskip(NEXT) | instid1(VALU_DEP_1)
	v_floor_f32_e32 v13, v13
	v_fma_f32 v13, 0xcf800000, v13, |v4|
	v_ashrrev_i32_e32 v4, 31, v4
	s_delay_alu instid0(VALU_DEP_2) | instskip(NEXT) | instid1(VALU_DEP_1)
	v_cvt_u32_f32_e32 v13, v13
	v_xor_b32_e32 v13, v13, v4
	s_delay_alu instid0(VALU_DEP_1) | instskip(NEXT) | instid1(VALU_DEP_1)
	v_sub_nc_u32_e32 v4, v13, v4
	v_cndmask_b32_e32 v3, 0, v4, vcc_lo
	s_branch .LBB158_2480
.LBB158_2479:
	s_mov_b32 s0, -1
                                        ; implicit-def: $vgpr3
.LBB158_2480:
	s_mov_b32 s3, 0
.LBB158_2481:
	s_delay_alu instid0(SALU_CYCLE_1)
	s_and_b32 vcc_lo, exec_lo, s3
	s_cbranch_vccz .LBB158_2485
; %bb.2482:
	v_cmp_eq_u16_e32 vcc_lo, 29, v9
	s_cbranch_vccz .LBB158_2484
; %bb.2483:
	global_load_b64 v[3:4], v[5:6], off
	s_mov_b32 s0, 0
	s_mov_b32 s2, -1
	s_branch .LBB158_2485
.LBB158_2484:
	s_mov_b32 s0, -1
                                        ; implicit-def: $vgpr3
.LBB158_2485:
	s_mov_b32 s3, 0
.LBB158_2486:
	s_delay_alu instid0(SALU_CYCLE_1)
	s_and_b32 vcc_lo, exec_lo, s3
	s_cbranch_vccz .LBB158_2502
; %bb.2487:
	v_cmp_gt_i16_e32 vcc_lo, 27, v9
	s_cbranch_vccnz .LBB158_2490
; %bb.2488:
	v_cmp_lt_i16_e32 vcc_lo, 27, v9
	s_cbranch_vccz .LBB158_2491
; %bb.2489:
	global_load_b32 v3, v[5:6], off
	s_mov_b32 s2, 0
	s_branch .LBB158_2492
.LBB158_2490:
	s_mov_b32 s2, -1
                                        ; implicit-def: $vgpr3
	s_branch .LBB158_2495
.LBB158_2491:
	s_mov_b32 s2, -1
                                        ; implicit-def: $vgpr3
.LBB158_2492:
	s_delay_alu instid0(SALU_CYCLE_1)
	s_and_not1_b32 vcc_lo, exec_lo, s2
	s_cbranch_vccnz .LBB158_2494
; %bb.2493:
	global_load_u16 v3, v[5:6], off
.LBB158_2494:
	s_mov_b32 s2, 0
.LBB158_2495:
	s_delay_alu instid0(SALU_CYCLE_1)
	s_and_not1_b32 vcc_lo, exec_lo, s2
	s_cbranch_vccnz .LBB158_2501
; %bb.2496:
	global_load_u8 v4, v[5:6], off
	s_mov_b32 s3, 0
	s_mov_b32 s2, exec_lo
                                        ; implicit-def: $sgpr6
	s_waitcnt vmcnt(0)
	v_cmpx_lt_i16_e32 0x7f, v4
	s_xor_b32 s2, exec_lo, s2
	s_cbranch_execz .LBB158_2513
; %bb.2497:
	v_cmp_ne_u16_e32 vcc_lo, 0x80, v4
	s_mov_b32 s6, 0
	s_and_b32 s3, vcc_lo, exec_lo
	s_or_saveexec_b32 s2, s2
	v_mov_b32_e32 v3, s6
	s_xor_b32 exec_lo, exec_lo, s2
	s_cbranch_execnz .LBB158_2514
.LBB158_2498:
	s_or_b32 exec_lo, exec_lo, s2
	s_and_saveexec_b32 s2, s3
	s_cbranch_execz .LBB158_2500
.LBB158_2499:
	v_and_b32_e32 v3, 0xffff, v4
	s_delay_alu instid0(VALU_DEP_1) | instskip(NEXT) | instid1(VALU_DEP_1)
	v_and_b32_e32 v13, 7, v3
	v_clz_i32_u32_e32 v14, v13
	s_delay_alu instid0(VALU_DEP_1) | instskip(NEXT) | instid1(VALU_DEP_1)
	v_min_u32_e32 v14, 32, v14
	v_subrev_nc_u32_e32 v15, 28, v14
	v_sub_nc_u32_e32 v14, 29, v14
	s_delay_alu instid0(VALU_DEP_2) | instskip(SKIP_1) | instid1(VALU_DEP_2)
	v_lshlrev_b32_e32 v15, v15, v3
	v_bfe_u32 v3, v3, 3, 4
	v_and_b32_e32 v15, 7, v15
	s_delay_alu instid0(VALU_DEP_2) | instskip(SKIP_1) | instid1(VALU_DEP_1)
	v_cmp_eq_u32_e32 vcc_lo, 0, v3
	v_dual_cndmask_b32 v3, v3, v14 :: v_dual_lshlrev_b32 v4, 24, v4
	v_dual_cndmask_b32 v13, v13, v15 :: v_dual_and_b32 v4, 0x80000000, v4
	s_delay_alu instid0(VALU_DEP_2) | instskip(NEXT) | instid1(VALU_DEP_2)
	v_lshl_add_u32 v3, v3, 23, 0x3b800000
	v_lshlrev_b32_e32 v13, 20, v13
	s_delay_alu instid0(VALU_DEP_1) | instskip(NEXT) | instid1(VALU_DEP_1)
	v_or3_b32 v3, v4, v3, v13
	v_trunc_f32_e32 v3, v3
	s_delay_alu instid0(VALU_DEP_1) | instskip(NEXT) | instid1(VALU_DEP_1)
	v_mul_f32_e64 v4, 0x2f800000, |v3|
	v_floor_f32_e32 v4, v4
	s_delay_alu instid0(VALU_DEP_1) | instskip(SKIP_1) | instid1(VALU_DEP_2)
	v_fma_f32 v4, 0xcf800000, v4, |v3|
	v_ashrrev_i32_e32 v3, 31, v3
	v_cvt_u32_f32_e32 v4, v4
	s_delay_alu instid0(VALU_DEP_1) | instskip(NEXT) | instid1(VALU_DEP_1)
	v_xor_b32_e32 v4, v4, v3
	v_sub_nc_u32_e32 v3, v4, v3
.LBB158_2500:
	s_or_b32 exec_lo, exec_lo, s2
.LBB158_2501:
	s_mov_b32 s2, -1
.LBB158_2502:
	s_mov_b32 s3, 0
.LBB158_2503:
	s_delay_alu instid0(SALU_CYCLE_1)
	s_and_b32 vcc_lo, exec_lo, s3
	s_cbranch_vccz .LBB158_2534
; %bb.2504:
	v_cmp_lt_i16_e32 vcc_lo, 22, v9
	s_cbranch_vccz .LBB158_2512
; %bb.2505:
	v_cmp_gt_i16_e32 vcc_lo, 24, v9
	s_cbranch_vccnz .LBB158_2515
; %bb.2506:
	v_cmp_lt_i16_e32 vcc_lo, 24, v9
	s_cbranch_vccz .LBB158_2516
; %bb.2507:
	global_load_u8 v4, v[5:6], off
	s_mov_b32 s2, 0
	s_mov_b32 s1, exec_lo
                                        ; implicit-def: $sgpr3
	s_waitcnt vmcnt(0)
	v_cmpx_lt_i16_e32 0x7f, v4
	s_xor_b32 s1, exec_lo, s1
	s_cbranch_execz .LBB158_2528
; %bb.2508:
	v_cmp_ne_u16_e32 vcc_lo, 0x80, v4
	s_mov_b32 s3, 0
	s_and_b32 s2, vcc_lo, exec_lo
	s_or_saveexec_b32 s1, s1
	v_mov_b32_e32 v3, s3
	s_xor_b32 exec_lo, exec_lo, s1
	s_cbranch_execnz .LBB158_2529
.LBB158_2509:
	s_or_b32 exec_lo, exec_lo, s1
	s_and_saveexec_b32 s1, s2
	s_cbranch_execz .LBB158_2511
.LBB158_2510:
	v_and_b32_e32 v3, 0xffff, v4
	s_delay_alu instid0(VALU_DEP_1) | instskip(NEXT) | instid1(VALU_DEP_1)
	v_and_b32_e32 v13, 3, v3
	v_clz_i32_u32_e32 v14, v13
	s_delay_alu instid0(VALU_DEP_1) | instskip(NEXT) | instid1(VALU_DEP_1)
	v_min_u32_e32 v14, 32, v14
	v_subrev_nc_u32_e32 v15, 29, v14
	v_sub_nc_u32_e32 v14, 30, v14
	s_delay_alu instid0(VALU_DEP_2) | instskip(SKIP_1) | instid1(VALU_DEP_2)
	v_lshlrev_b32_e32 v15, v15, v3
	v_bfe_u32 v3, v3, 2, 5
	v_and_b32_e32 v15, 3, v15
	s_delay_alu instid0(VALU_DEP_2) | instskip(SKIP_1) | instid1(VALU_DEP_1)
	v_cmp_eq_u32_e32 vcc_lo, 0, v3
	v_dual_cndmask_b32 v3, v3, v14 :: v_dual_lshlrev_b32 v4, 24, v4
	v_dual_cndmask_b32 v13, v13, v15 :: v_dual_and_b32 v4, 0x80000000, v4
	s_delay_alu instid0(VALU_DEP_2) | instskip(NEXT) | instid1(VALU_DEP_2)
	v_lshl_add_u32 v3, v3, 23, 0x37800000
	v_lshlrev_b32_e32 v13, 21, v13
	s_delay_alu instid0(VALU_DEP_1) | instskip(NEXT) | instid1(VALU_DEP_1)
	v_or3_b32 v3, v4, v3, v13
	v_trunc_f32_e32 v3, v3
	s_delay_alu instid0(VALU_DEP_1) | instskip(NEXT) | instid1(VALU_DEP_1)
	v_mul_f32_e64 v4, 0x2f800000, |v3|
	v_floor_f32_e32 v4, v4
	s_delay_alu instid0(VALU_DEP_1) | instskip(SKIP_1) | instid1(VALU_DEP_2)
	v_fma_f32 v4, 0xcf800000, v4, |v3|
	v_ashrrev_i32_e32 v3, 31, v3
	v_cvt_u32_f32_e32 v4, v4
	s_delay_alu instid0(VALU_DEP_1) | instskip(NEXT) | instid1(VALU_DEP_1)
	v_xor_b32_e32 v4, v4, v3
	v_sub_nc_u32_e32 v3, v4, v3
.LBB158_2511:
	s_or_b32 exec_lo, exec_lo, s1
	s_mov_b32 s1, 0
	s_branch .LBB158_2517
.LBB158_2512:
	s_mov_b32 s1, -1
                                        ; implicit-def: $vgpr3
	s_branch .LBB158_2523
.LBB158_2513:
	s_or_saveexec_b32 s2, s2
	v_mov_b32_e32 v3, s6
	s_xor_b32 exec_lo, exec_lo, s2
	s_cbranch_execz .LBB158_2498
.LBB158_2514:
	v_cmp_ne_u16_e32 vcc_lo, 0, v4
	v_mov_b32_e32 v3, 0
	s_and_not1_b32 s3, s3, exec_lo
	s_and_b32 s6, vcc_lo, exec_lo
	s_delay_alu instid0(SALU_CYCLE_1)
	s_or_b32 s3, s3, s6
	s_or_b32 exec_lo, exec_lo, s2
	s_and_saveexec_b32 s2, s3
	s_cbranch_execnz .LBB158_2499
	s_branch .LBB158_2500
.LBB158_2515:
	s_mov_b32 s1, -1
                                        ; implicit-def: $vgpr3
	s_branch .LBB158_2520
.LBB158_2516:
	s_mov_b32 s1, -1
                                        ; implicit-def: $vgpr3
.LBB158_2517:
	s_delay_alu instid0(SALU_CYCLE_1)
	s_and_b32 vcc_lo, exec_lo, s1
	s_cbranch_vccz .LBB158_2519
; %bb.2518:
	global_load_u8 v3, v[5:6], off
	s_waitcnt vmcnt(0)
	v_lshlrev_b32_e32 v3, 24, v3
	s_delay_alu instid0(VALU_DEP_1) | instskip(NEXT) | instid1(VALU_DEP_1)
	v_and_b32_e32 v4, 0x7f000000, v3
	v_clz_i32_u32_e32 v13, v4
	v_add_nc_u32_e32 v15, 0x1000000, v4
	v_cmp_ne_u32_e32 vcc_lo, 0, v4
	s_delay_alu instid0(VALU_DEP_3) | instskip(NEXT) | instid1(VALU_DEP_1)
	v_min_u32_e32 v13, 32, v13
	v_sub_nc_u32_e64 v13, v13, 4 clamp
	s_delay_alu instid0(VALU_DEP_1) | instskip(SKIP_1) | instid1(VALU_DEP_2)
	v_lshlrev_b32_e32 v14, v13, v4
	v_lshlrev_b32_e32 v13, 23, v13
	v_lshrrev_b32_e32 v14, 4, v14
	s_delay_alu instid0(VALU_DEP_1) | instskip(SKIP_1) | instid1(VALU_DEP_2)
	v_sub_nc_u32_e32 v13, v14, v13
	v_ashrrev_i32_e32 v14, 8, v15
	v_add_nc_u32_e32 v13, 0x3c000000, v13
	s_delay_alu instid0(VALU_DEP_1) | instskip(NEXT) | instid1(VALU_DEP_1)
	v_and_or_b32 v13, 0x7f800000, v14, v13
	v_cndmask_b32_e32 v4, 0, v13, vcc_lo
	s_delay_alu instid0(VALU_DEP_1) | instskip(NEXT) | instid1(VALU_DEP_1)
	v_and_or_b32 v3, 0x80000000, v3, v4
	v_trunc_f32_e32 v3, v3
	s_delay_alu instid0(VALU_DEP_1) | instskip(NEXT) | instid1(VALU_DEP_1)
	v_mul_f32_e64 v4, 0x2f800000, |v3|
	v_floor_f32_e32 v4, v4
	s_delay_alu instid0(VALU_DEP_1) | instskip(SKIP_1) | instid1(VALU_DEP_2)
	v_fma_f32 v4, 0xcf800000, v4, |v3|
	v_ashrrev_i32_e32 v3, 31, v3
	v_cvt_u32_f32_e32 v4, v4
	s_delay_alu instid0(VALU_DEP_1) | instskip(NEXT) | instid1(VALU_DEP_1)
	v_xor_b32_e32 v4, v4, v3
	v_sub_nc_u32_e32 v3, v4, v3
.LBB158_2519:
	s_mov_b32 s1, 0
.LBB158_2520:
	s_delay_alu instid0(SALU_CYCLE_1)
	s_and_not1_b32 vcc_lo, exec_lo, s1
	s_cbranch_vccnz .LBB158_2522
; %bb.2521:
	global_load_u8 v3, v[5:6], off
	s_waitcnt vmcnt(0)
	v_lshlrev_b32_e32 v4, 25, v3
	v_lshlrev_b16 v3, 8, v3
	s_delay_alu instid0(VALU_DEP_2) | instskip(NEXT) | instid1(VALU_DEP_2)
	v_lshrrev_b32_e32 v13, 4, v4
	v_and_or_b32 v14, 0x7f00, v3, 0.5
	v_bfe_i32 v3, v3, 0, 16
	s_delay_alu instid0(VALU_DEP_3) | instskip(NEXT) | instid1(VALU_DEP_1)
	v_or_b32_e32 v13, 0x70000000, v13
	v_dual_add_f32 v14, -0.5, v14 :: v_dual_mul_f32 v13, 0x7800000, v13
	v_cmp_gt_u32_e32 vcc_lo, 0x8000000, v4
	s_delay_alu instid0(VALU_DEP_2) | instskip(NEXT) | instid1(VALU_DEP_1)
	v_cndmask_b32_e32 v4, v13, v14, vcc_lo
	v_and_or_b32 v3, 0x80000000, v3, v4
	s_delay_alu instid0(VALU_DEP_1) | instskip(NEXT) | instid1(VALU_DEP_1)
	v_trunc_f32_e32 v3, v3
	v_mul_f32_e64 v4, 0x2f800000, |v3|
	s_delay_alu instid0(VALU_DEP_1) | instskip(NEXT) | instid1(VALU_DEP_1)
	v_floor_f32_e32 v4, v4
	v_fma_f32 v4, 0xcf800000, v4, |v3|
	v_ashrrev_i32_e32 v3, 31, v3
	s_delay_alu instid0(VALU_DEP_2) | instskip(NEXT) | instid1(VALU_DEP_1)
	v_cvt_u32_f32_e32 v4, v4
	v_xor_b32_e32 v4, v4, v3
	s_delay_alu instid0(VALU_DEP_1)
	v_sub_nc_u32_e32 v3, v4, v3
.LBB158_2522:
	s_mov_b32 s1, 0
	s_mov_b32 s2, -1
.LBB158_2523:
	s_and_not1_b32 vcc_lo, exec_lo, s1
	s_mov_b32 s1, 0
	s_cbranch_vccnz .LBB158_2534
; %bb.2524:
	v_cmp_lt_i16_e32 vcc_lo, 14, v9
	s_cbranch_vccz .LBB158_2527
; %bb.2525:
	v_cmp_eq_u16_e32 vcc_lo, 15, v9
	s_cbranch_vccz .LBB158_2530
; %bb.2526:
	global_load_u16 v3, v[5:6], off
	s_mov_b32 s0, 0
	s_mov_b32 s2, -1
	s_waitcnt vmcnt(0)
	v_lshlrev_b32_e32 v3, 16, v3
	s_delay_alu instid0(VALU_DEP_1) | instskip(NEXT) | instid1(VALU_DEP_1)
	v_trunc_f32_e32 v3, v3
	v_mul_f32_e64 v4, 0x2f800000, |v3|
	s_delay_alu instid0(VALU_DEP_1) | instskip(NEXT) | instid1(VALU_DEP_1)
	v_floor_f32_e32 v4, v4
	v_fma_f32 v4, 0xcf800000, v4, |v3|
	v_ashrrev_i32_e32 v3, 31, v3
	s_delay_alu instid0(VALU_DEP_2) | instskip(NEXT) | instid1(VALU_DEP_1)
	v_cvt_u32_f32_e32 v4, v4
	v_xor_b32_e32 v4, v4, v3
	s_delay_alu instid0(VALU_DEP_1)
	v_sub_nc_u32_e32 v3, v4, v3
	s_branch .LBB158_2532
.LBB158_2527:
	s_mov_b32 s1, -1
	s_branch .LBB158_2531
.LBB158_2528:
	s_or_saveexec_b32 s1, s1
	v_mov_b32_e32 v3, s3
	s_xor_b32 exec_lo, exec_lo, s1
	s_cbranch_execz .LBB158_2509
.LBB158_2529:
	v_cmp_ne_u16_e32 vcc_lo, 0, v4
	v_mov_b32_e32 v3, 0
	s_and_not1_b32 s2, s2, exec_lo
	s_and_b32 s3, vcc_lo, exec_lo
	s_delay_alu instid0(SALU_CYCLE_1)
	s_or_b32 s2, s2, s3
	s_or_b32 exec_lo, exec_lo, s1
	s_and_saveexec_b32 s1, s2
	s_cbranch_execnz .LBB158_2510
	s_branch .LBB158_2511
.LBB158_2530:
	s_mov_b32 s0, -1
.LBB158_2531:
                                        ; implicit-def: $vgpr3
.LBB158_2532:
	s_and_b32 vcc_lo, exec_lo, s1
	s_mov_b32 s1, 0
	s_cbranch_vccz .LBB158_2534
; %bb.2533:
	v_cmp_ne_u16_e64 s0, 11, v9
	s_mov_b32 s1, -1
                                        ; implicit-def: $vgpr3
.LBB158_2534:
	s_delay_alu instid0(VALU_DEP_1)
	s_and_b32 vcc_lo, exec_lo, s0
	s_cbranch_vccnz .LBB158_3067
; %bb.2535:
	s_and_not1_b32 vcc_lo, exec_lo, s1
	s_cbranch_vccnz .LBB158_2537
.LBB158_2536:
	global_load_u8 v3, v[5:6], off
	s_mov_b32 s2, -1
	s_waitcnt vmcnt(0)
	v_cmp_ne_u16_e32 vcc_lo, 0, v3
	v_cndmask_b32_e64 v3, 0, 1, vcc_lo
.LBB158_2537:
	s_mov_b32 s0, 0
.LBB158_2538:
	s_delay_alu instid0(SALU_CYCLE_1)
	s_and_b32 vcc_lo, exec_lo, s0
	s_cbranch_vccz .LBB158_2587
; %bb.2539:
	v_cmp_gt_i16_e32 vcc_lo, 5, v9
	s_cbranch_vccnz .LBB158_2544
; %bb.2540:
	v_cmp_gt_i16_e32 vcc_lo, 8, v9
	s_cbranch_vccnz .LBB158_2545
	;; [unrolled: 3-line block ×3, first 2 shown]
; %bb.2542:
	v_cmp_lt_i16_e32 vcc_lo, 9, v9
	s_cbranch_vccz .LBB158_2547
; %bb.2543:
	global_load_b64 v[3:4], v[5:6], off
	s_mov_b32 s0, 0
	s_waitcnt vmcnt(0)
	v_trunc_f64_e32 v[3:4], v[3:4]
	s_delay_alu instid0(VALU_DEP_1) | instskip(NEXT) | instid1(VALU_DEP_1)
	v_ldexp_f64 v[13:14], v[3:4], 0xffffffe0
	v_floor_f64_e32 v[13:14], v[13:14]
	s_delay_alu instid0(VALU_DEP_1) | instskip(NEXT) | instid1(VALU_DEP_1)
	v_fma_f64 v[3:4], 0xc1f00000, v[13:14], v[3:4]
	v_cvt_u32_f64_e32 v3, v[3:4]
	s_branch .LBB158_2548
.LBB158_2544:
	s_mov_b32 s0, -1
                                        ; implicit-def: $vgpr3
	s_branch .LBB158_2566
.LBB158_2545:
	s_mov_b32 s0, -1
                                        ; implicit-def: $vgpr3
	s_branch .LBB158_2554
.LBB158_2546:
	s_mov_b32 s0, -1
                                        ; implicit-def: $vgpr3
	s_branch .LBB158_2551
.LBB158_2547:
	s_mov_b32 s0, -1
                                        ; implicit-def: $vgpr3
.LBB158_2548:
	s_delay_alu instid0(SALU_CYCLE_1)
	s_and_not1_b32 vcc_lo, exec_lo, s0
	s_cbranch_vccnz .LBB158_2550
; %bb.2549:
	global_load_b32 v3, v[5:6], off
	s_waitcnt vmcnt(0)
	v_trunc_f32_e32 v3, v3
	s_delay_alu instid0(VALU_DEP_1) | instskip(NEXT) | instid1(VALU_DEP_1)
	v_mul_f32_e64 v4, 0x2f800000, |v3|
	v_floor_f32_e32 v4, v4
	s_delay_alu instid0(VALU_DEP_1) | instskip(SKIP_1) | instid1(VALU_DEP_2)
	v_fma_f32 v4, 0xcf800000, v4, |v3|
	v_ashrrev_i32_e32 v3, 31, v3
	v_cvt_u32_f32_e32 v4, v4
	s_delay_alu instid0(VALU_DEP_1) | instskip(NEXT) | instid1(VALU_DEP_1)
	v_xor_b32_e32 v4, v4, v3
	v_sub_nc_u32_e32 v3, v4, v3
.LBB158_2550:
	s_mov_b32 s0, 0
.LBB158_2551:
	s_delay_alu instid0(SALU_CYCLE_1)
	s_and_not1_b32 vcc_lo, exec_lo, s0
	s_cbranch_vccnz .LBB158_2553
; %bb.2552:
	global_load_b32 v3, v[5:6], off
	s_waitcnt vmcnt(0)
	v_cvt_f32_f16_e32 v3, v3
	s_delay_alu instid0(VALU_DEP_1)
	v_cvt_i32_f32_e32 v3, v3
.LBB158_2553:
	s_mov_b32 s0, 0
.LBB158_2554:
	s_delay_alu instid0(SALU_CYCLE_1)
	s_and_not1_b32 vcc_lo, exec_lo, s0
	s_cbranch_vccnz .LBB158_2565
; %bb.2555:
	v_cmp_gt_i16_e32 vcc_lo, 6, v9
	s_cbranch_vccnz .LBB158_2558
; %bb.2556:
	v_cmp_lt_i16_e32 vcc_lo, 6, v9
	s_cbranch_vccz .LBB158_2559
; %bb.2557:
	global_load_b64 v[3:4], v[5:6], off
	s_mov_b32 s0, 0
	s_waitcnt vmcnt(0)
	v_trunc_f64_e32 v[3:4], v[3:4]
	s_delay_alu instid0(VALU_DEP_1) | instskip(NEXT) | instid1(VALU_DEP_1)
	v_ldexp_f64 v[13:14], v[3:4], 0xffffffe0
	v_floor_f64_e32 v[13:14], v[13:14]
	s_delay_alu instid0(VALU_DEP_1) | instskip(NEXT) | instid1(VALU_DEP_1)
	v_fma_f64 v[3:4], 0xc1f00000, v[13:14], v[3:4]
	v_cvt_u32_f64_e32 v3, v[3:4]
	s_branch .LBB158_2560
.LBB158_2558:
	s_mov_b32 s0, -1
                                        ; implicit-def: $vgpr3
	s_branch .LBB158_2563
.LBB158_2559:
	s_mov_b32 s0, -1
                                        ; implicit-def: $vgpr3
.LBB158_2560:
	s_delay_alu instid0(SALU_CYCLE_1)
	s_and_not1_b32 vcc_lo, exec_lo, s0
	s_cbranch_vccnz .LBB158_2562
; %bb.2561:
	global_load_b32 v3, v[5:6], off
	s_waitcnt vmcnt(0)
	v_trunc_f32_e32 v3, v3
	s_delay_alu instid0(VALU_DEP_1) | instskip(NEXT) | instid1(VALU_DEP_1)
	v_mul_f32_e64 v4, 0x2f800000, |v3|
	v_floor_f32_e32 v4, v4
	s_delay_alu instid0(VALU_DEP_1) | instskip(SKIP_1) | instid1(VALU_DEP_2)
	v_fma_f32 v4, 0xcf800000, v4, |v3|
	v_ashrrev_i32_e32 v3, 31, v3
	v_cvt_u32_f32_e32 v4, v4
	s_delay_alu instid0(VALU_DEP_1) | instskip(NEXT) | instid1(VALU_DEP_1)
	v_xor_b32_e32 v4, v4, v3
	v_sub_nc_u32_e32 v3, v4, v3
.LBB158_2562:
	s_mov_b32 s0, 0
.LBB158_2563:
	s_delay_alu instid0(SALU_CYCLE_1)
	s_and_not1_b32 vcc_lo, exec_lo, s0
	s_cbranch_vccnz .LBB158_2565
; %bb.2564:
	global_load_u16 v3, v[5:6], off
	s_waitcnt vmcnt(0)
	v_cvt_f32_f16_e32 v3, v3
	s_delay_alu instid0(VALU_DEP_1)
	v_cvt_i32_f32_e32 v3, v3
.LBB158_2565:
	s_mov_b32 s0, 0
.LBB158_2566:
	s_delay_alu instid0(SALU_CYCLE_1)
	s_and_not1_b32 vcc_lo, exec_lo, s0
	s_cbranch_vccnz .LBB158_2586
; %bb.2567:
	v_cmp_gt_i16_e32 vcc_lo, 2, v9
	s_cbranch_vccnz .LBB158_2571
; %bb.2568:
	v_cmp_gt_i16_e32 vcc_lo, 3, v9
	s_cbranch_vccnz .LBB158_2572
; %bb.2569:
	v_cmp_lt_i16_e32 vcc_lo, 3, v9
	s_cbranch_vccz .LBB158_2573
; %bb.2570:
	global_load_b64 v[3:4], v[5:6], off
	s_mov_b32 s0, 0
	s_branch .LBB158_2574
.LBB158_2571:
	s_mov_b32 s0, -1
                                        ; implicit-def: $vgpr3
	s_branch .LBB158_2580
.LBB158_2572:
	s_mov_b32 s0, -1
                                        ; implicit-def: $vgpr3
	s_branch .LBB158_2577
.LBB158_2573:
	s_mov_b32 s0, -1
                                        ; implicit-def: $vgpr3
.LBB158_2574:
	s_delay_alu instid0(SALU_CYCLE_1)
	s_and_not1_b32 vcc_lo, exec_lo, s0
	s_cbranch_vccnz .LBB158_2576
; %bb.2575:
	global_load_b32 v3, v[5:6], off
.LBB158_2576:
	s_mov_b32 s0, 0
.LBB158_2577:
	s_delay_alu instid0(SALU_CYCLE_1)
	s_and_not1_b32 vcc_lo, exec_lo, s0
	s_cbranch_vccnz .LBB158_2579
; %bb.2578:
	global_load_u16 v3, v[5:6], off
.LBB158_2579:
	s_mov_b32 s0, 0
.LBB158_2580:
	s_delay_alu instid0(SALU_CYCLE_1)
	s_and_not1_b32 vcc_lo, exec_lo, s0
	s_cbranch_vccnz .LBB158_2586
; %bb.2581:
	v_cmp_lt_i16_e32 vcc_lo, 0, v9
	s_mov_b32 s0, 0
	s_cbranch_vccz .LBB158_2583
; %bb.2582:
	global_load_u8 v3, v[5:6], off
	s_branch .LBB158_2584
.LBB158_2583:
	s_mov_b32 s0, -1
                                        ; implicit-def: $vgpr3
.LBB158_2584:
	s_delay_alu instid0(SALU_CYCLE_1)
	s_and_not1_b32 vcc_lo, exec_lo, s0
	s_cbranch_vccnz .LBB158_2586
; %bb.2585:
	global_load_u8 v3, v[5:6], off
.LBB158_2586:
	s_mov_b32 s2, -1
.LBB158_2587:
	s_delay_alu instid0(SALU_CYCLE_1)
	s_and_not1_b32 vcc_lo, exec_lo, s2
	s_cbranch_vccnz .LBB158_3021
; %bb.2588:
	s_waitcnt vmcnt(0)
	v_cvt_f32_ubyte0_e32 v4, v0
	v_mul_lo_u32 v0, s8, v7
	v_and_b32_e64 v9, 0xff, s12
	s_delay_alu instid0(VALU_DEP_3) | instskip(NEXT) | instid1(VALU_DEP_2)
	v_mul_f32_e32 v4, v8, v4
	v_cmp_gt_i16_e32 vcc_lo, 11, v9
	s_delay_alu instid0(VALU_DEP_4) | instskip(NEXT) | instid1(VALU_DEP_3)
	v_ashrrev_i32_e32 v5, 31, v0
	v_mul_f32_e32 v6, s11, v4
	v_add_co_u32 v4, s0, s4, v0
	s_delay_alu instid0(VALU_DEP_1)
	v_add_co_ci_u32_e64 v5, s0, s5, v5, s0
	s_cbranch_vccnz .LBB158_2666
; %bb.2589:
	v_cmp_lt_i16_e32 vcc_lo, 25, v9
	s_mov_b32 s3, -1
	s_mov_b32 s1, 0
	s_mov_b32 s2, 0
	;; [unrolled: 1-line block ×3, first 2 shown]
	s_cbranch_vccz .LBB158_2622
; %bb.2590:
	v_cmp_lt_i16_e32 vcc_lo, 28, v9
	s_cbranch_vccz .LBB158_2605
; %bb.2591:
	v_cmp_lt_i16_e32 vcc_lo, 43, v9
	;; [unrolled: 3-line block ×3, first 2 shown]
	s_cbranch_vccz .LBB158_2595
; %bb.2593:
	v_cmp_eq_u16_e32 vcc_lo, 46, v9
	s_mov_b32 s0, -1
	s_mov_b32 s3, 0
	s_cbranch_vccz .LBB158_2595
; %bb.2594:
	v_bfe_u32 v7, v6, 16, 1
	v_cmp_o_f32_e32 vcc_lo, v6, v6
	s_mov_b32 s0, 0
	s_mov_b32 s2, -1
	s_delay_alu instid0(VALU_DEP_2) | instskip(NEXT) | instid1(VALU_DEP_1)
	v_add3_u32 v7, v6, v7, 0x7fff
	v_lshrrev_b32_e32 v7, 16, v7
	s_delay_alu instid0(VALU_DEP_1)
	v_cndmask_b32_e32 v7, 0x7fc0, v7, vcc_lo
	global_store_b32 v[4:5], v7, off
.LBB158_2595:
	s_and_b32 vcc_lo, exec_lo, s3
	s_cbranch_vccz .LBB158_2600
; %bb.2596:
	v_cmp_eq_u16_e32 vcc_lo, 44, v9
	s_mov_b32 s0, -1
	s_cbranch_vccz .LBB158_2600
; %bb.2597:
	v_bfe_u32 v8, v6, 23, 8
	v_mov_b32_e32 v7, 0xff
	s_mov_b32 s2, exec_lo
	s_delay_alu instid0(VALU_DEP_2)
	v_cmpx_ne_u32_e32 0xff, v8
; %bb.2598:
	v_and_b32_e32 v7, 0x400000, v6
	v_and_or_b32 v8, 0x3fffff, v6, v8
	s_delay_alu instid0(VALU_DEP_2) | instskip(NEXT) | instid1(VALU_DEP_2)
	v_cmp_ne_u32_e32 vcc_lo, 0, v7
	v_cmp_ne_u32_e64 s0, 0, v8
	v_lshrrev_b32_e32 v7, 23, v6
	s_delay_alu instid0(VALU_DEP_2) | instskip(NEXT) | instid1(SALU_CYCLE_1)
	s_and_b32 s0, vcc_lo, s0
	v_cndmask_b32_e64 v8, 0, 1, s0
	s_delay_alu instid0(VALU_DEP_1)
	v_add_nc_u32_e32 v7, v7, v8
; %bb.2599:
	s_or_b32 exec_lo, exec_lo, s2
	s_mov_b32 s0, 0
	s_mov_b32 s2, -1
	global_store_b8 v[4:5], v7, off
.LBB158_2600:
	s_mov_b32 s3, 0
.LBB158_2601:
	s_delay_alu instid0(SALU_CYCLE_1)
	s_and_b32 vcc_lo, exec_lo, s3
	s_cbranch_vccz .LBB158_2604
; %bb.2602:
	v_cmp_eq_u16_e32 vcc_lo, 29, v9
	s_mov_b32 s0, -1
	s_cbranch_vccz .LBB158_2604
; %bb.2603:
	v_trunc_f32_e32 v7, v6
	s_mov_b32 s0, 0
	s_mov_b32 s2, -1
	s_delay_alu instid0(VALU_DEP_1) | instskip(NEXT) | instid1(VALU_DEP_1)
	v_mul_f32_e32 v8, 0x2f800000, v7
	v_floor_f32_e32 v8, v8
	s_delay_alu instid0(VALU_DEP_1) | instskip(SKIP_1) | instid1(VALU_DEP_2)
	v_fmamk_f32 v7, v8, 0xcf800000, v7
	v_cvt_u32_f32_e32 v8, v8
	v_cvt_u32_f32_e32 v7, v7
	global_store_b64 v[4:5], v[7:8], off
.LBB158_2604:
	s_mov_b32 s3, 0
.LBB158_2605:
	s_delay_alu instid0(SALU_CYCLE_1)
	s_and_b32 vcc_lo, exec_lo, s3
	s_cbranch_vccz .LBB158_2621
; %bb.2606:
	v_cmp_gt_i16_e32 vcc_lo, 27, v9
	s_mov_b32 s2, -1
	s_cbranch_vccnz .LBB158_2612
; %bb.2607:
	v_cmp_lt_i16_e32 vcc_lo, 27, v9
	v_cvt_u32_f32_e32 v7, v6
	s_cbranch_vccz .LBB158_2609
; %bb.2608:
	s_mov_b32 s2, 0
	global_store_b32 v[4:5], v7, off
.LBB158_2609:
	s_and_not1_b32 vcc_lo, exec_lo, s2
	s_cbranch_vccnz .LBB158_2611
; %bb.2610:
	global_store_b16 v[4:5], v7, off
.LBB158_2611:
	s_mov_b32 s2, 0
.LBB158_2612:
	s_delay_alu instid0(SALU_CYCLE_1)
	s_and_not1_b32 vcc_lo, exec_lo, s2
	s_cbranch_vccnz .LBB158_2620
; %bb.2613:
	v_and_b32_e32 v7, 0x7fffffff, v6
	v_mov_b32_e32 v8, 0x80
	s_mov_b32 s2, exec_lo
	s_delay_alu instid0(VALU_DEP_2)
	v_cmpx_gt_u32_e32 0x43800000, v7
	s_cbranch_execz .LBB158_2619
; %bb.2614:
	v_cmp_lt_u32_e32 vcc_lo, 0x3bffffff, v7
	s_mov_b32 s3, 0
                                        ; implicit-def: $vgpr7
	s_and_saveexec_b32 s6, vcc_lo
	s_delay_alu instid0(SALU_CYCLE_1)
	s_xor_b32 s6, exec_lo, s6
	s_cbranch_execz .LBB158_3069
; %bb.2615:
	v_bfe_u32 v7, v6, 20, 1
	s_mov_b32 s3, exec_lo
	s_delay_alu instid0(VALU_DEP_1) | instskip(NEXT) | instid1(VALU_DEP_1)
	v_add3_u32 v7, v6, v7, 0x487ffff
	v_lshrrev_b32_e32 v7, 20, v7
	s_or_saveexec_b32 s6, s6
                                        ; implicit-def: $sgpr7
	s_delay_alu instid0(SALU_CYCLE_1)
	s_xor_b32 exec_lo, exec_lo, s6
	s_cbranch_execnz .LBB158_3070
.LBB158_2616:
	s_or_b32 exec_lo, exec_lo, s6
	v_mov_b32_e32 v8, s7
	s_and_saveexec_b32 s6, s3
.LBB158_2617:
	v_lshrrev_b32_e32 v8, 24, v6
	s_delay_alu instid0(VALU_DEP_1)
	v_and_or_b32 v8, 0x80, v8, v7
.LBB158_2618:
	s_or_b32 exec_lo, exec_lo, s6
.LBB158_2619:
	s_delay_alu instid0(SALU_CYCLE_1)
	s_or_b32 exec_lo, exec_lo, s2
	global_store_b8 v[4:5], v8, off
.LBB158_2620:
	s_mov_b32 s2, -1
.LBB158_2621:
	s_mov_b32 s3, 0
.LBB158_2622:
	s_delay_alu instid0(SALU_CYCLE_1)
	s_and_b32 vcc_lo, exec_lo, s3
	s_cbranch_vccz .LBB158_2662
; %bb.2623:
	v_cmp_lt_i16_e32 vcc_lo, 22, v9
	s_mov_b32 s1, -1
	s_cbranch_vccz .LBB158_2655
; %bb.2624:
	v_cmp_gt_i16_e32 vcc_lo, 24, v9
	s_cbranch_vccnz .LBB158_2644
; %bb.2625:
	v_cmp_lt_i16_e32 vcc_lo, 24, v9
	s_cbranch_vccz .LBB158_2633
; %bb.2626:
	v_and_b32_e32 v7, 0x7fffffff, v6
	v_mov_b32_e32 v8, 0x80
	s_mov_b32 s1, exec_lo
	s_delay_alu instid0(VALU_DEP_2)
	v_cmpx_gt_u32_e32 0x47800000, v7
	s_cbranch_execz .LBB158_2632
; %bb.2627:
	v_cmp_lt_u32_e32 vcc_lo, 0x37ffffff, v7
	s_mov_b32 s2, 0
                                        ; implicit-def: $vgpr7
	s_and_saveexec_b32 s3, vcc_lo
	s_delay_alu instid0(SALU_CYCLE_1)
	s_xor_b32 s3, exec_lo, s3
	s_cbranch_execz .LBB158_3075
; %bb.2628:
	v_bfe_u32 v7, v6, 21, 1
	s_mov_b32 s2, exec_lo
	s_delay_alu instid0(VALU_DEP_1) | instskip(NEXT) | instid1(VALU_DEP_1)
	v_add3_u32 v7, v6, v7, 0x88fffff
	v_lshrrev_b32_e32 v7, 21, v7
	s_or_saveexec_b32 s3, s3
                                        ; implicit-def: $sgpr6
	s_delay_alu instid0(SALU_CYCLE_1)
	s_xor_b32 exec_lo, exec_lo, s3
	s_cbranch_execnz .LBB158_3076
.LBB158_2629:
	s_or_b32 exec_lo, exec_lo, s3
	v_mov_b32_e32 v8, s6
	s_and_saveexec_b32 s3, s2
.LBB158_2630:
	v_lshrrev_b32_e32 v8, 24, v6
	s_delay_alu instid0(VALU_DEP_1)
	v_and_or_b32 v8, 0x80, v8, v7
.LBB158_2631:
	s_or_b32 exec_lo, exec_lo, s3
.LBB158_2632:
	s_delay_alu instid0(SALU_CYCLE_1)
	s_or_b32 exec_lo, exec_lo, s1
	s_mov_b32 s1, 0
	global_store_b8 v[4:5], v8, off
.LBB158_2633:
	s_and_b32 vcc_lo, exec_lo, s1
	s_cbranch_vccz .LBB158_2643
; %bb.2634:
	v_and_b32_e32 v8, 0x7fffffff, v6
	s_mov_b32 s1, exec_lo
                                        ; implicit-def: $vgpr7
	s_delay_alu instid0(VALU_DEP_1)
	v_cmpx_gt_u32_e32 0x43f00000, v8
	s_xor_b32 s1, exec_lo, s1
	s_cbranch_execz .LBB158_2640
; %bb.2635:
	s_mov_b32 s2, exec_lo
                                        ; implicit-def: $vgpr7
	v_cmpx_lt_u32_e32 0x3c7fffff, v8
	s_xor_b32 s2, exec_lo, s2
; %bb.2636:
	v_bfe_u32 v7, v6, 20, 1
	s_delay_alu instid0(VALU_DEP_1) | instskip(NEXT) | instid1(VALU_DEP_1)
	v_add3_u32 v7, v6, v7, 0x407ffff
	v_and_b32_e32 v8, 0xff00000, v7
	v_lshrrev_b32_e32 v7, 20, v7
	s_delay_alu instid0(VALU_DEP_2) | instskip(NEXT) | instid1(VALU_DEP_2)
	v_cmp_ne_u32_e32 vcc_lo, 0x7f00000, v8
	v_cndmask_b32_e32 v7, 0x7e, v7, vcc_lo
; %bb.2637:
	s_and_not1_saveexec_b32 s2, s2
; %bb.2638:
	v_add_f32_e64 v7, 0x46800000, |v6|
; %bb.2639:
	s_or_b32 exec_lo, exec_lo, s2
                                        ; implicit-def: $vgpr8
.LBB158_2640:
	s_and_not1_saveexec_b32 s1, s1
; %bb.2641:
	v_mov_b32_e32 v7, 0x7f
	v_cmp_lt_u32_e32 vcc_lo, 0x7f800000, v8
	s_delay_alu instid0(VALU_DEP_2)
	v_cndmask_b32_e32 v7, 0x7e, v7, vcc_lo
; %bb.2642:
	s_or_b32 exec_lo, exec_lo, s1
	v_lshrrev_b32_e32 v8, 24, v6
	s_delay_alu instid0(VALU_DEP_1)
	v_and_or_b32 v7, 0x80, v8, v7
	global_store_b8 v[4:5], v7, off
.LBB158_2643:
	s_mov_b32 s1, 0
.LBB158_2644:
	s_delay_alu instid0(SALU_CYCLE_1)
	s_and_not1_b32 vcc_lo, exec_lo, s1
	s_cbranch_vccnz .LBB158_2654
; %bb.2645:
	v_and_b32_e32 v8, 0x7fffffff, v6
	s_mov_b32 s1, exec_lo
                                        ; implicit-def: $vgpr7
	s_delay_alu instid0(VALU_DEP_1)
	v_cmpx_gt_u32_e32 0x47800000, v8
	s_xor_b32 s1, exec_lo, s1
	s_cbranch_execz .LBB158_2651
; %bb.2646:
	s_mov_b32 s2, exec_lo
                                        ; implicit-def: $vgpr7
	v_cmpx_lt_u32_e32 0x387fffff, v8
	s_xor_b32 s2, exec_lo, s2
; %bb.2647:
	v_bfe_u32 v7, v6, 21, 1
	s_delay_alu instid0(VALU_DEP_1) | instskip(NEXT) | instid1(VALU_DEP_1)
	v_add3_u32 v7, v6, v7, 0x80fffff
	v_lshrrev_b32_e32 v7, 21, v7
; %bb.2648:
	s_and_not1_saveexec_b32 s2, s2
; %bb.2649:
	v_add_f32_e64 v7, 0x43000000, |v6|
; %bb.2650:
	s_or_b32 exec_lo, exec_lo, s2
                                        ; implicit-def: $vgpr8
.LBB158_2651:
	s_and_not1_saveexec_b32 s1, s1
; %bb.2652:
	v_mov_b32_e32 v7, 0x7f
	v_cmp_lt_u32_e32 vcc_lo, 0x7f800000, v8
	s_delay_alu instid0(VALU_DEP_2)
	v_cndmask_b32_e32 v7, 0x7c, v7, vcc_lo
; %bb.2653:
	s_or_b32 exec_lo, exec_lo, s1
	v_lshrrev_b32_e32 v8, 24, v6
	s_delay_alu instid0(VALU_DEP_1)
	v_and_or_b32 v7, 0x80, v8, v7
	global_store_b8 v[4:5], v7, off
.LBB158_2654:
	s_mov_b32 s1, 0
	s_mov_b32 s2, -1
.LBB158_2655:
	s_and_not1_b32 vcc_lo, exec_lo, s1
	s_mov_b32 s1, 0
	s_cbranch_vccnz .LBB158_2662
; %bb.2656:
	v_cmp_lt_i16_e32 vcc_lo, 14, v9
	s_mov_b32 s1, -1
	s_cbranch_vccz .LBB158_2660
; %bb.2657:
	v_cmp_eq_u16_e32 vcc_lo, 15, v9
	s_mov_b32 s0, -1
	s_cbranch_vccz .LBB158_2659
; %bb.2658:
	v_bfe_u32 v7, v6, 16, 1
	v_cmp_o_f32_e32 vcc_lo, v6, v6
	s_mov_b32 s0, 0
	s_mov_b32 s2, -1
	s_delay_alu instid0(VALU_DEP_2) | instskip(NEXT) | instid1(VALU_DEP_1)
	v_add3_u32 v7, v6, v7, 0x7fff
	v_lshrrev_b32_e32 v7, 16, v7
	s_delay_alu instid0(VALU_DEP_1)
	v_cndmask_b32_e32 v7, 0x7fc0, v7, vcc_lo
	global_store_b16 v[4:5], v7, off
.LBB158_2659:
	s_mov_b32 s1, 0
.LBB158_2660:
	s_delay_alu instid0(SALU_CYCLE_1)
	s_and_b32 vcc_lo, exec_lo, s1
	s_mov_b32 s1, 0
	s_cbranch_vccz .LBB158_2662
; %bb.2661:
	v_cmp_ne_u16_e64 s0, 11, v9
	s_mov_b32 s1, -1
.LBB158_2662:
	s_delay_alu instid0(VALU_DEP_1)
	s_and_b32 vcc_lo, exec_lo, s0
	s_cbranch_vccnz .LBB158_3073
; %bb.2663:
	s_and_not1_b32 vcc_lo, exec_lo, s1
	s_cbranch_vccnz .LBB158_2665
.LBB158_2664:
	v_cmp_neq_f32_e32 vcc_lo, 0, v6
	s_mov_b32 s2, -1
	v_cndmask_b32_e64 v7, 0, 1, vcc_lo
	global_store_b8 v[4:5], v7, off
.LBB158_2665:
	s_mov_b32 s0, 0
	s_branch .LBB158_2667
.LBB158_2666:
	s_mov_b32 s0, -1
	s_mov_b32 s2, 0
.LBB158_2667:
	s_and_b32 vcc_lo, exec_lo, s0
	s_cbranch_vccz .LBB158_2706
; %bb.2668:
	v_cmp_gt_i16_e32 vcc_lo, 5, v9
	s_mov_b32 s0, -1
	s_cbranch_vccnz .LBB158_2689
; %bb.2669:
	v_cmp_gt_i16_e32 vcc_lo, 8, v9
	s_cbranch_vccnz .LBB158_2679
; %bb.2670:
	v_cmp_gt_i16_e32 vcc_lo, 9, v9
	s_cbranch_vccnz .LBB158_2676
; %bb.2671:
	v_cmp_lt_i16_e32 vcc_lo, 9, v9
	s_cbranch_vccz .LBB158_2673
; %bb.2672:
	v_cvt_f64_f32_e32 v[13:14], v6
	v_mov_b32_e32 v15, 0
	s_mov_b32 s0, 0
	s_delay_alu instid0(VALU_DEP_1)
	v_mov_b32_e32 v16, v15
	global_store_b128 v[4:5], v[13:16], off
.LBB158_2673:
	s_and_not1_b32 vcc_lo, exec_lo, s0
	s_cbranch_vccnz .LBB158_2675
; %bb.2674:
	v_mov_b32_e32 v7, 0
	global_store_b64 v[4:5], v[6:7], off
.LBB158_2675:
	s_mov_b32 s0, 0
.LBB158_2676:
	s_delay_alu instid0(SALU_CYCLE_1)
	s_and_not1_b32 vcc_lo, exec_lo, s0
	s_cbranch_vccnz .LBB158_2678
; %bb.2677:
	v_cvt_f16_f32_e32 v7, v6
	s_delay_alu instid0(VALU_DEP_1)
	v_and_b32_e32 v7, 0xffff, v7
	global_store_b32 v[4:5], v7, off
.LBB158_2678:
	s_mov_b32 s0, 0
.LBB158_2679:
	s_delay_alu instid0(SALU_CYCLE_1)
	s_and_not1_b32 vcc_lo, exec_lo, s0
	s_cbranch_vccnz .LBB158_2688
; %bb.2680:
	v_cmp_gt_i16_e32 vcc_lo, 6, v9
	s_mov_b32 s0, -1
	s_cbranch_vccnz .LBB158_2686
; %bb.2681:
	v_cmp_lt_i16_e32 vcc_lo, 6, v9
	s_cbranch_vccz .LBB158_2683
; %bb.2682:
	v_cvt_f64_f32_e32 v[7:8], v6
	s_mov_b32 s0, 0
	global_store_b64 v[4:5], v[7:8], off
.LBB158_2683:
	s_and_not1_b32 vcc_lo, exec_lo, s0
	s_cbranch_vccnz .LBB158_2685
; %bb.2684:
	global_store_b32 v[4:5], v6, off
.LBB158_2685:
	s_mov_b32 s0, 0
.LBB158_2686:
	s_delay_alu instid0(SALU_CYCLE_1)
	s_and_not1_b32 vcc_lo, exec_lo, s0
	s_cbranch_vccnz .LBB158_2688
; %bb.2687:
	v_cvt_f16_f32_e32 v7, v6
	global_store_b16 v[4:5], v7, off
.LBB158_2688:
	s_mov_b32 s0, 0
.LBB158_2689:
	s_delay_alu instid0(SALU_CYCLE_1)
	s_and_not1_b32 vcc_lo, exec_lo, s0
	s_cbranch_vccnz .LBB158_2705
; %bb.2690:
	v_cmp_gt_i16_e32 vcc_lo, 2, v9
	s_mov_b32 s0, -1
	s_cbranch_vccnz .LBB158_2700
; %bb.2691:
	v_cmp_gt_i16_e32 vcc_lo, 3, v9
	s_cbranch_vccnz .LBB158_2697
; %bb.2692:
	v_cmp_lt_i16_e32 vcc_lo, 3, v9
	s_cbranch_vccz .LBB158_2694
; %bb.2693:
	v_trunc_f32_e32 v7, v6
	s_mov_b32 s0, 0
	s_delay_alu instid0(VALU_DEP_1) | instskip(SKIP_1) | instid1(VALU_DEP_2)
	v_mul_f32_e64 v8, 0x2f800000, |v7|
	v_ashrrev_i32_e32 v14, 31, v7
	v_floor_f32_e32 v8, v8
	s_delay_alu instid0(VALU_DEP_1) | instskip(SKIP_1) | instid1(VALU_DEP_2)
	v_fma_f32 v13, 0xcf800000, v8, |v7|
	v_cvt_u32_f32_e32 v8, v8
	v_cvt_u32_f32_e32 v7, v13
	s_delay_alu instid0(VALU_DEP_2) | instskip(NEXT) | instid1(VALU_DEP_2)
	v_xor_b32_e32 v8, v8, v14
	v_xor_b32_e32 v7, v7, v14
	s_delay_alu instid0(VALU_DEP_1) | instskip(NEXT) | instid1(VALU_DEP_3)
	v_sub_co_u32 v7, vcc_lo, v7, v14
	v_sub_co_ci_u32_e32 v8, vcc_lo, v8, v14, vcc_lo
	global_store_b64 v[4:5], v[7:8], off
.LBB158_2694:
	s_and_not1_b32 vcc_lo, exec_lo, s0
	s_cbranch_vccnz .LBB158_2696
; %bb.2695:
	v_cvt_i32_f32_e32 v7, v6
	global_store_b32 v[4:5], v7, off
.LBB158_2696:
	s_mov_b32 s0, 0
.LBB158_2697:
	s_delay_alu instid0(SALU_CYCLE_1)
	s_and_not1_b32 vcc_lo, exec_lo, s0
	s_cbranch_vccnz .LBB158_2699
; %bb.2698:
	v_cvt_i32_f32_e32 v7, v6
	global_store_b16 v[4:5], v7, off
.LBB158_2699:
	s_mov_b32 s0, 0
.LBB158_2700:
	s_delay_alu instid0(SALU_CYCLE_1)
	s_and_not1_b32 vcc_lo, exec_lo, s0
	s_cbranch_vccnz .LBB158_2705
; %bb.2701:
	v_cmp_lt_i16_e32 vcc_lo, 0, v9
	s_mov_b32 s0, -1
	s_cbranch_vccz .LBB158_2703
; %bb.2702:
	v_cvt_i32_f32_e32 v7, v6
	s_mov_b32 s0, 0
	global_store_b8 v[4:5], v7, off
.LBB158_2703:
	s_and_not1_b32 vcc_lo, exec_lo, s0
	s_cbranch_vccnz .LBB158_2705
; %bb.2704:
	v_trunc_f32_e32 v6, v6
	s_delay_alu instid0(VALU_DEP_1) | instskip(NEXT) | instid1(VALU_DEP_1)
	v_mul_f32_e64 v7, 0x2f800000, |v6|
	v_floor_f32_e32 v7, v7
	s_delay_alu instid0(VALU_DEP_1) | instskip(SKIP_1) | instid1(VALU_DEP_2)
	v_fma_f32 v7, 0xcf800000, v7, |v6|
	v_ashrrev_i32_e32 v6, 31, v6
	v_cvt_u32_f32_e32 v7, v7
	s_delay_alu instid0(VALU_DEP_1) | instskip(NEXT) | instid1(VALU_DEP_1)
	v_xor_b32_e32 v7, v7, v6
	v_sub_nc_u32_e32 v6, v7, v6
	global_store_b8 v[4:5], v6, off
.LBB158_2705:
	s_mov_b32 s2, -1
.LBB158_2706:
	s_delay_alu instid0(SALU_CYCLE_1)
	s_and_not1_b32 vcc_lo, exec_lo, s2
	s_cbranch_vccnz .LBB158_3021
; %bb.2707:
	v_cvt_f32_ubyte0_e32 v1, v1
	s_lshl_b32 s1, s8, 7
	v_cmp_gt_i16_e32 vcc_lo, 11, v9
	v_add_nc_u32_e32 v6, s1, v0
	s_delay_alu instid0(VALU_DEP_3) | instskip(SKIP_1) | instid1(VALU_DEP_2)
	v_mul_f32_e32 v0, v10, v1
	s_and_b32 vcc_lo, exec_lo, vcc_lo
	v_ashrrev_i32_e32 v1, 31, v6
	s_delay_alu instid0(VALU_DEP_2) | instskip(SKIP_1) | instid1(VALU_DEP_1)
	v_mul_f32_e32 v4, s11, v0
	v_add_co_u32 v0, s0, s4, v6
	v_add_co_ci_u32_e64 v1, s0, s5, v1, s0
	s_cbranch_vccnz .LBB158_2785
; %bb.2708:
	v_cmp_lt_i16_e32 vcc_lo, 25, v9
	s_mov_b32 s6, -1
	s_mov_b32 s2, 0
	s_mov_b32 s3, 0
	;; [unrolled: 1-line block ×3, first 2 shown]
	s_cbranch_vccz .LBB158_2741
; %bb.2709:
	v_cmp_lt_i16_e32 vcc_lo, 28, v9
	s_cbranch_vccz .LBB158_2724
; %bb.2710:
	v_cmp_lt_i16_e32 vcc_lo, 43, v9
	;; [unrolled: 3-line block ×3, first 2 shown]
	s_cbranch_vccz .LBB158_2714
; %bb.2712:
	v_cmp_eq_u16_e32 vcc_lo, 46, v9
	s_mov_b32 s0, -1
	s_mov_b32 s6, 0
	s_cbranch_vccz .LBB158_2714
; %bb.2713:
	v_bfe_u32 v5, v4, 16, 1
	v_cmp_o_f32_e32 vcc_lo, v4, v4
	s_mov_b32 s0, 0
	s_mov_b32 s3, -1
	s_delay_alu instid0(VALU_DEP_2) | instskip(NEXT) | instid1(VALU_DEP_1)
	v_add3_u32 v5, v4, v5, 0x7fff
	v_lshrrev_b32_e32 v5, 16, v5
	s_delay_alu instid0(VALU_DEP_1)
	v_cndmask_b32_e32 v5, 0x7fc0, v5, vcc_lo
	global_store_b32 v[0:1], v5, off
.LBB158_2714:
	s_and_b32 vcc_lo, exec_lo, s6
	s_cbranch_vccz .LBB158_2719
; %bb.2715:
	v_cmp_eq_u16_e32 vcc_lo, 44, v9
	s_mov_b32 s0, -1
	s_cbranch_vccz .LBB158_2719
; %bb.2716:
	v_bfe_u32 v7, v4, 23, 8
	v_mov_b32_e32 v5, 0xff
	s_mov_b32 s3, exec_lo
	s_delay_alu instid0(VALU_DEP_2)
	v_cmpx_ne_u32_e32 0xff, v7
; %bb.2717:
	v_and_b32_e32 v5, 0x400000, v4
	v_and_or_b32 v7, 0x3fffff, v4, v7
	s_delay_alu instid0(VALU_DEP_2) | instskip(NEXT) | instid1(VALU_DEP_2)
	v_cmp_ne_u32_e32 vcc_lo, 0, v5
	v_cmp_ne_u32_e64 s0, 0, v7
	v_lshrrev_b32_e32 v5, 23, v4
	s_delay_alu instid0(VALU_DEP_2) | instskip(NEXT) | instid1(SALU_CYCLE_1)
	s_and_b32 s0, vcc_lo, s0
	v_cndmask_b32_e64 v7, 0, 1, s0
	s_delay_alu instid0(VALU_DEP_1)
	v_add_nc_u32_e32 v5, v5, v7
; %bb.2718:
	s_or_b32 exec_lo, exec_lo, s3
	s_mov_b32 s0, 0
	s_mov_b32 s3, -1
	global_store_b8 v[0:1], v5, off
.LBB158_2719:
	s_mov_b32 s6, 0
.LBB158_2720:
	s_delay_alu instid0(SALU_CYCLE_1)
	s_and_b32 vcc_lo, exec_lo, s6
	s_cbranch_vccz .LBB158_2723
; %bb.2721:
	v_cmp_eq_u16_e32 vcc_lo, 29, v9
	s_mov_b32 s0, -1
	s_cbranch_vccz .LBB158_2723
; %bb.2722:
	v_trunc_f32_e32 v5, v4
	s_mov_b32 s0, 0
	s_mov_b32 s3, -1
	s_delay_alu instid0(VALU_DEP_1) | instskip(NEXT) | instid1(VALU_DEP_1)
	v_mul_f32_e32 v7, 0x2f800000, v5
	v_floor_f32_e32 v7, v7
	s_delay_alu instid0(VALU_DEP_1) | instskip(SKIP_1) | instid1(VALU_DEP_2)
	v_fmamk_f32 v5, v7, 0xcf800000, v5
	v_cvt_u32_f32_e32 v8, v7
	v_cvt_u32_f32_e32 v7, v5
	global_store_b64 v[0:1], v[7:8], off
.LBB158_2723:
	s_mov_b32 s6, 0
.LBB158_2724:
	s_delay_alu instid0(SALU_CYCLE_1)
	s_and_b32 vcc_lo, exec_lo, s6
	s_cbranch_vccz .LBB158_2740
; %bb.2725:
	v_cmp_gt_i16_e32 vcc_lo, 27, v9
	s_mov_b32 s3, -1
	s_cbranch_vccnz .LBB158_2731
; %bb.2726:
	v_cmp_lt_i16_e32 vcc_lo, 27, v9
	v_cvt_u32_f32_e32 v5, v4
	s_cbranch_vccz .LBB158_2728
; %bb.2727:
	s_mov_b32 s3, 0
	global_store_b32 v[0:1], v5, off
.LBB158_2728:
	s_and_not1_b32 vcc_lo, exec_lo, s3
	s_cbranch_vccnz .LBB158_2730
; %bb.2729:
	global_store_b16 v[0:1], v5, off
.LBB158_2730:
	s_mov_b32 s3, 0
.LBB158_2731:
	s_delay_alu instid0(SALU_CYCLE_1)
	s_and_not1_b32 vcc_lo, exec_lo, s3
	s_cbranch_vccnz .LBB158_2739
; %bb.2732:
	v_and_b32_e32 v5, 0x7fffffff, v4
	v_mov_b32_e32 v7, 0x80
	s_mov_b32 s3, exec_lo
	s_delay_alu instid0(VALU_DEP_2)
	v_cmpx_gt_u32_e32 0x43800000, v5
	s_cbranch_execz .LBB158_2738
; %bb.2733:
	v_cmp_lt_u32_e32 vcc_lo, 0x3bffffff, v5
	s_mov_b32 s6, 0
                                        ; implicit-def: $vgpr5
	s_and_saveexec_b32 s7, vcc_lo
	s_delay_alu instid0(SALU_CYCLE_1)
	s_xor_b32 s7, exec_lo, s7
	s_cbranch_execz .LBB158_3077
; %bb.2734:
	v_bfe_u32 v5, v4, 20, 1
	s_mov_b32 s6, exec_lo
	s_delay_alu instid0(VALU_DEP_1) | instskip(NEXT) | instid1(VALU_DEP_1)
	v_add3_u32 v5, v4, v5, 0x487ffff
	v_lshrrev_b32_e32 v5, 20, v5
	s_or_saveexec_b32 s7, s7
                                        ; implicit-def: $sgpr8
	s_delay_alu instid0(SALU_CYCLE_1)
	s_xor_b32 exec_lo, exec_lo, s7
	s_cbranch_execnz .LBB158_3078
.LBB158_2735:
	s_or_b32 exec_lo, exec_lo, s7
	v_mov_b32_e32 v7, s8
	s_and_saveexec_b32 s7, s6
.LBB158_2736:
	v_lshrrev_b32_e32 v7, 24, v4
	s_delay_alu instid0(VALU_DEP_1)
	v_and_or_b32 v7, 0x80, v7, v5
.LBB158_2737:
	s_or_b32 exec_lo, exec_lo, s7
.LBB158_2738:
	s_delay_alu instid0(SALU_CYCLE_1)
	s_or_b32 exec_lo, exec_lo, s3
	global_store_b8 v[0:1], v7, off
.LBB158_2739:
	s_mov_b32 s3, -1
.LBB158_2740:
	s_mov_b32 s6, 0
.LBB158_2741:
	s_delay_alu instid0(SALU_CYCLE_1)
	s_and_b32 vcc_lo, exec_lo, s6
	s_cbranch_vccz .LBB158_2781
; %bb.2742:
	v_cmp_lt_i16_e32 vcc_lo, 22, v9
	s_mov_b32 s2, -1
	s_cbranch_vccz .LBB158_2774
; %bb.2743:
	v_cmp_gt_i16_e32 vcc_lo, 24, v9
	s_cbranch_vccnz .LBB158_2763
; %bb.2744:
	v_cmp_lt_i16_e32 vcc_lo, 24, v9
	s_cbranch_vccz .LBB158_2752
; %bb.2745:
	v_and_b32_e32 v5, 0x7fffffff, v4
	v_mov_b32_e32 v7, 0x80
	s_mov_b32 s2, exec_lo
	s_delay_alu instid0(VALU_DEP_2)
	v_cmpx_gt_u32_e32 0x47800000, v5
	s_cbranch_execz .LBB158_2751
; %bb.2746:
	v_cmp_lt_u32_e32 vcc_lo, 0x37ffffff, v5
	s_mov_b32 s3, 0
                                        ; implicit-def: $vgpr5
	s_and_saveexec_b32 s6, vcc_lo
	s_delay_alu instid0(SALU_CYCLE_1)
	s_xor_b32 s6, exec_lo, s6
	s_cbranch_execz .LBB158_3083
; %bb.2747:
	v_bfe_u32 v5, v4, 21, 1
	s_mov_b32 s3, exec_lo
	s_delay_alu instid0(VALU_DEP_1) | instskip(NEXT) | instid1(VALU_DEP_1)
	v_add3_u32 v5, v4, v5, 0x88fffff
	v_lshrrev_b32_e32 v5, 21, v5
	s_or_saveexec_b32 s6, s6
                                        ; implicit-def: $sgpr7
	s_delay_alu instid0(SALU_CYCLE_1)
	s_xor_b32 exec_lo, exec_lo, s6
	s_cbranch_execnz .LBB158_3084
.LBB158_2748:
	s_or_b32 exec_lo, exec_lo, s6
	v_mov_b32_e32 v7, s7
	s_and_saveexec_b32 s6, s3
.LBB158_2749:
	v_lshrrev_b32_e32 v7, 24, v4
	s_delay_alu instid0(VALU_DEP_1)
	v_and_or_b32 v7, 0x80, v7, v5
.LBB158_2750:
	s_or_b32 exec_lo, exec_lo, s6
.LBB158_2751:
	s_delay_alu instid0(SALU_CYCLE_1)
	s_or_b32 exec_lo, exec_lo, s2
	s_mov_b32 s2, 0
	global_store_b8 v[0:1], v7, off
.LBB158_2752:
	s_and_b32 vcc_lo, exec_lo, s2
	s_cbranch_vccz .LBB158_2762
; %bb.2753:
	v_and_b32_e32 v7, 0x7fffffff, v4
	s_mov_b32 s2, exec_lo
                                        ; implicit-def: $vgpr5
	s_delay_alu instid0(VALU_DEP_1)
	v_cmpx_gt_u32_e32 0x43f00000, v7
	s_xor_b32 s2, exec_lo, s2
	s_cbranch_execz .LBB158_2759
; %bb.2754:
	s_mov_b32 s3, exec_lo
                                        ; implicit-def: $vgpr5
	v_cmpx_lt_u32_e32 0x3c7fffff, v7
	s_xor_b32 s3, exec_lo, s3
; %bb.2755:
	v_bfe_u32 v5, v4, 20, 1
	s_delay_alu instid0(VALU_DEP_1) | instskip(NEXT) | instid1(VALU_DEP_1)
	v_add3_u32 v5, v4, v5, 0x407ffff
	v_and_b32_e32 v7, 0xff00000, v5
	v_lshrrev_b32_e32 v5, 20, v5
	s_delay_alu instid0(VALU_DEP_2) | instskip(NEXT) | instid1(VALU_DEP_2)
	v_cmp_ne_u32_e32 vcc_lo, 0x7f00000, v7
	v_cndmask_b32_e32 v5, 0x7e, v5, vcc_lo
; %bb.2756:
	s_and_not1_saveexec_b32 s3, s3
; %bb.2757:
	v_add_f32_e64 v5, 0x46800000, |v4|
; %bb.2758:
	s_or_b32 exec_lo, exec_lo, s3
                                        ; implicit-def: $vgpr7
.LBB158_2759:
	s_and_not1_saveexec_b32 s2, s2
; %bb.2760:
	v_mov_b32_e32 v5, 0x7f
	v_cmp_lt_u32_e32 vcc_lo, 0x7f800000, v7
	s_delay_alu instid0(VALU_DEP_2)
	v_cndmask_b32_e32 v5, 0x7e, v5, vcc_lo
; %bb.2761:
	s_or_b32 exec_lo, exec_lo, s2
	v_lshrrev_b32_e32 v7, 24, v4
	s_delay_alu instid0(VALU_DEP_1)
	v_and_or_b32 v5, 0x80, v7, v5
	global_store_b8 v[0:1], v5, off
.LBB158_2762:
	s_mov_b32 s2, 0
.LBB158_2763:
	s_delay_alu instid0(SALU_CYCLE_1)
	s_and_not1_b32 vcc_lo, exec_lo, s2
	s_cbranch_vccnz .LBB158_2773
; %bb.2764:
	v_and_b32_e32 v7, 0x7fffffff, v4
	s_mov_b32 s2, exec_lo
                                        ; implicit-def: $vgpr5
	s_delay_alu instid0(VALU_DEP_1)
	v_cmpx_gt_u32_e32 0x47800000, v7
	s_xor_b32 s2, exec_lo, s2
	s_cbranch_execz .LBB158_2770
; %bb.2765:
	s_mov_b32 s3, exec_lo
                                        ; implicit-def: $vgpr5
	v_cmpx_lt_u32_e32 0x387fffff, v7
	s_xor_b32 s3, exec_lo, s3
; %bb.2766:
	v_bfe_u32 v5, v4, 21, 1
	s_delay_alu instid0(VALU_DEP_1) | instskip(NEXT) | instid1(VALU_DEP_1)
	v_add3_u32 v5, v4, v5, 0x80fffff
	v_lshrrev_b32_e32 v5, 21, v5
; %bb.2767:
	s_and_not1_saveexec_b32 s3, s3
; %bb.2768:
	v_add_f32_e64 v5, 0x43000000, |v4|
; %bb.2769:
	s_or_b32 exec_lo, exec_lo, s3
                                        ; implicit-def: $vgpr7
.LBB158_2770:
	s_and_not1_saveexec_b32 s2, s2
; %bb.2771:
	v_mov_b32_e32 v5, 0x7f
	v_cmp_lt_u32_e32 vcc_lo, 0x7f800000, v7
	s_delay_alu instid0(VALU_DEP_2)
	v_cndmask_b32_e32 v5, 0x7c, v5, vcc_lo
; %bb.2772:
	s_or_b32 exec_lo, exec_lo, s2
	v_lshrrev_b32_e32 v7, 24, v4
	s_delay_alu instid0(VALU_DEP_1)
	v_and_or_b32 v5, 0x80, v7, v5
	global_store_b8 v[0:1], v5, off
.LBB158_2773:
	s_mov_b32 s2, 0
	s_mov_b32 s3, -1
.LBB158_2774:
	s_and_not1_b32 vcc_lo, exec_lo, s2
	s_mov_b32 s2, 0
	s_cbranch_vccnz .LBB158_2781
; %bb.2775:
	v_cmp_lt_i16_e32 vcc_lo, 14, v9
	s_mov_b32 s2, -1
	s_cbranch_vccz .LBB158_2779
; %bb.2776:
	v_cmp_eq_u16_e32 vcc_lo, 15, v9
	s_mov_b32 s0, -1
	s_cbranch_vccz .LBB158_2778
; %bb.2777:
	v_bfe_u32 v5, v4, 16, 1
	v_cmp_o_f32_e32 vcc_lo, v4, v4
	s_mov_b32 s0, 0
	s_mov_b32 s3, -1
	s_delay_alu instid0(VALU_DEP_2) | instskip(NEXT) | instid1(VALU_DEP_1)
	v_add3_u32 v5, v4, v5, 0x7fff
	v_lshrrev_b32_e32 v5, 16, v5
	s_delay_alu instid0(VALU_DEP_1)
	v_cndmask_b32_e32 v5, 0x7fc0, v5, vcc_lo
	global_store_b16 v[0:1], v5, off
.LBB158_2778:
	s_mov_b32 s2, 0
.LBB158_2779:
	s_delay_alu instid0(SALU_CYCLE_1)
	s_and_b32 vcc_lo, exec_lo, s2
	s_mov_b32 s2, 0
	s_cbranch_vccz .LBB158_2781
; %bb.2780:
	v_cmp_ne_u16_e64 s0, 11, v9
	s_mov_b32 s2, -1
.LBB158_2781:
	s_delay_alu instid0(VALU_DEP_1)
	s_and_b32 vcc_lo, exec_lo, s0
	s_cbranch_vccnz .LBB158_3081
; %bb.2782:
	s_and_not1_b32 vcc_lo, exec_lo, s2
	s_cbranch_vccnz .LBB158_2784
.LBB158_2783:
	v_cmp_neq_f32_e32 vcc_lo, 0, v4
	s_mov_b32 s3, -1
	v_cndmask_b32_e64 v5, 0, 1, vcc_lo
	global_store_b8 v[0:1], v5, off
.LBB158_2784:
	s_mov_b32 s0, 0
	s_branch .LBB158_2786
.LBB158_2785:
	s_mov_b32 s0, -1
	s_mov_b32 s3, 0
.LBB158_2786:
	s_and_b32 vcc_lo, exec_lo, s0
	s_cbranch_vccz .LBB158_2825
; %bb.2787:
	v_cmp_gt_i16_e32 vcc_lo, 5, v9
	s_mov_b32 s0, -1
	s_cbranch_vccnz .LBB158_2808
; %bb.2788:
	v_cmp_gt_i16_e32 vcc_lo, 8, v9
	s_cbranch_vccnz .LBB158_2798
; %bb.2789:
	v_cmp_gt_i16_e32 vcc_lo, 9, v9
	s_cbranch_vccnz .LBB158_2795
; %bb.2790:
	v_cmp_lt_i16_e32 vcc_lo, 9, v9
	s_cbranch_vccz .LBB158_2792
; %bb.2791:
	v_cvt_f64_f32_e32 v[13:14], v4
	v_mov_b32_e32 v15, 0
	s_mov_b32 s0, 0
	s_delay_alu instid0(VALU_DEP_1)
	v_mov_b32_e32 v16, v15
	global_store_b128 v[0:1], v[13:16], off
.LBB158_2792:
	s_and_not1_b32 vcc_lo, exec_lo, s0
	s_cbranch_vccnz .LBB158_2794
; %bb.2793:
	v_mov_b32_e32 v5, 0
	global_store_b64 v[0:1], v[4:5], off
.LBB158_2794:
	s_mov_b32 s0, 0
.LBB158_2795:
	s_delay_alu instid0(SALU_CYCLE_1)
	s_and_not1_b32 vcc_lo, exec_lo, s0
	s_cbranch_vccnz .LBB158_2797
; %bb.2796:
	v_cvt_f16_f32_e32 v5, v4
	s_delay_alu instid0(VALU_DEP_1)
	v_and_b32_e32 v5, 0xffff, v5
	global_store_b32 v[0:1], v5, off
.LBB158_2797:
	s_mov_b32 s0, 0
.LBB158_2798:
	s_delay_alu instid0(SALU_CYCLE_1)
	s_and_not1_b32 vcc_lo, exec_lo, s0
	s_cbranch_vccnz .LBB158_2807
; %bb.2799:
	v_cmp_gt_i16_e32 vcc_lo, 6, v9
	s_mov_b32 s0, -1
	s_cbranch_vccnz .LBB158_2805
; %bb.2800:
	v_cmp_lt_i16_e32 vcc_lo, 6, v9
	s_cbranch_vccz .LBB158_2802
; %bb.2801:
	v_cvt_f64_f32_e32 v[7:8], v4
	s_mov_b32 s0, 0
	global_store_b64 v[0:1], v[7:8], off
.LBB158_2802:
	s_and_not1_b32 vcc_lo, exec_lo, s0
	s_cbranch_vccnz .LBB158_2804
; %bb.2803:
	global_store_b32 v[0:1], v4, off
.LBB158_2804:
	s_mov_b32 s0, 0
.LBB158_2805:
	s_delay_alu instid0(SALU_CYCLE_1)
	s_and_not1_b32 vcc_lo, exec_lo, s0
	s_cbranch_vccnz .LBB158_2807
; %bb.2806:
	v_cvt_f16_f32_e32 v5, v4
	global_store_b16 v[0:1], v5, off
.LBB158_2807:
	s_mov_b32 s0, 0
.LBB158_2808:
	s_delay_alu instid0(SALU_CYCLE_1)
	s_and_not1_b32 vcc_lo, exec_lo, s0
	s_cbranch_vccnz .LBB158_2824
; %bb.2809:
	v_cmp_gt_i16_e32 vcc_lo, 2, v9
	s_mov_b32 s0, -1
	s_cbranch_vccnz .LBB158_2819
; %bb.2810:
	v_cmp_gt_i16_e32 vcc_lo, 3, v9
	s_cbranch_vccnz .LBB158_2816
; %bb.2811:
	v_cmp_lt_i16_e32 vcc_lo, 3, v9
	s_cbranch_vccz .LBB158_2813
; %bb.2812:
	v_trunc_f32_e32 v5, v4
	s_mov_b32 s0, 0
	s_delay_alu instid0(VALU_DEP_1) | instskip(NEXT) | instid1(VALU_DEP_1)
	v_mul_f32_e64 v7, 0x2f800000, |v5|
	v_floor_f32_e32 v7, v7
	s_delay_alu instid0(VALU_DEP_1) | instskip(SKIP_2) | instid1(VALU_DEP_3)
	v_fma_f32 v8, 0xcf800000, v7, |v5|
	v_ashrrev_i32_e32 v5, 31, v5
	v_cvt_u32_f32_e32 v7, v7
	v_cvt_u32_f32_e32 v8, v8
	s_delay_alu instid0(VALU_DEP_2) | instskip(NEXT) | instid1(VALU_DEP_2)
	v_xor_b32_e32 v10, v7, v5
	v_xor_b32_e32 v8, v8, v5
	s_delay_alu instid0(VALU_DEP_1) | instskip(NEXT) | instid1(VALU_DEP_3)
	v_sub_co_u32 v7, vcc_lo, v8, v5
	v_sub_co_ci_u32_e32 v8, vcc_lo, v10, v5, vcc_lo
	global_store_b64 v[0:1], v[7:8], off
.LBB158_2813:
	s_and_not1_b32 vcc_lo, exec_lo, s0
	s_cbranch_vccnz .LBB158_2815
; %bb.2814:
	v_cvt_i32_f32_e32 v5, v4
	global_store_b32 v[0:1], v5, off
.LBB158_2815:
	s_mov_b32 s0, 0
.LBB158_2816:
	s_delay_alu instid0(SALU_CYCLE_1)
	s_and_not1_b32 vcc_lo, exec_lo, s0
	s_cbranch_vccnz .LBB158_2818
; %bb.2817:
	v_cvt_i32_f32_e32 v5, v4
	global_store_b16 v[0:1], v5, off
.LBB158_2818:
	s_mov_b32 s0, 0
.LBB158_2819:
	s_delay_alu instid0(SALU_CYCLE_1)
	s_and_not1_b32 vcc_lo, exec_lo, s0
	s_cbranch_vccnz .LBB158_2824
; %bb.2820:
	v_cmp_lt_i16_e32 vcc_lo, 0, v9
	s_mov_b32 s0, -1
	s_cbranch_vccz .LBB158_2822
; %bb.2821:
	v_cvt_i32_f32_e32 v5, v4
	s_mov_b32 s0, 0
	global_store_b8 v[0:1], v5, off
.LBB158_2822:
	s_and_not1_b32 vcc_lo, exec_lo, s0
	s_cbranch_vccnz .LBB158_2824
; %bb.2823:
	v_trunc_f32_e32 v4, v4
	s_delay_alu instid0(VALU_DEP_1) | instskip(NEXT) | instid1(VALU_DEP_1)
	v_mul_f32_e64 v5, 0x2f800000, |v4|
	v_floor_f32_e32 v5, v5
	s_delay_alu instid0(VALU_DEP_1) | instskip(SKIP_1) | instid1(VALU_DEP_2)
	v_fma_f32 v5, 0xcf800000, v5, |v4|
	v_ashrrev_i32_e32 v4, 31, v4
	v_cvt_u32_f32_e32 v5, v5
	s_delay_alu instid0(VALU_DEP_1) | instskip(NEXT) | instid1(VALU_DEP_1)
	v_xor_b32_e32 v5, v5, v4
	v_sub_nc_u32_e32 v4, v5, v4
	global_store_b8 v[0:1], v4, off
.LBB158_2824:
	s_mov_b32 s3, -1
.LBB158_2825:
	s_delay_alu instid0(SALU_CYCLE_1)
	s_and_not1_b32 vcc_lo, exec_lo, s3
	s_cbranch_vccnz .LBB158_3021
; %bb.2826:
	v_cvt_f32_ubyte0_e32 v0, v2
	v_add_nc_u32_e32 v2, s1, v6
	v_cmp_gt_i16_e32 vcc_lo, 11, v9
	s_delay_alu instid0(VALU_DEP_3) | instskip(NEXT) | instid1(VALU_DEP_3)
	v_mul_f32_e32 v0, v11, v0
	v_ashrrev_i32_e32 v1, 31, v2
	s_delay_alu instid0(VALU_DEP_2) | instskip(SKIP_1) | instid1(VALU_DEP_1)
	v_mul_f32_e32 v4, s11, v0
	v_add_co_u32 v0, s0, s4, v2
	v_add_co_ci_u32_e64 v1, s0, s5, v1, s0
	s_cbranch_vccnz .LBB158_2904
; %bb.2827:
	v_cmp_lt_i16_e32 vcc_lo, 25, v9
	s_mov_b32 s6, -1
	s_mov_b32 s2, 0
	s_mov_b32 s3, 0
	;; [unrolled: 1-line block ×3, first 2 shown]
	s_cbranch_vccz .LBB158_2860
; %bb.2828:
	v_cmp_lt_i16_e32 vcc_lo, 28, v9
	s_cbranch_vccz .LBB158_2843
; %bb.2829:
	v_cmp_lt_i16_e32 vcc_lo, 43, v9
	;; [unrolled: 3-line block ×3, first 2 shown]
	s_cbranch_vccz .LBB158_2833
; %bb.2831:
	v_cmp_eq_u16_e32 vcc_lo, 46, v9
	s_mov_b32 s0, -1
	s_mov_b32 s6, 0
	s_cbranch_vccz .LBB158_2833
; %bb.2832:
	v_bfe_u32 v5, v4, 16, 1
	v_cmp_o_f32_e32 vcc_lo, v4, v4
	s_mov_b32 s0, 0
	s_mov_b32 s3, -1
	s_delay_alu instid0(VALU_DEP_2) | instskip(NEXT) | instid1(VALU_DEP_1)
	v_add3_u32 v5, v4, v5, 0x7fff
	v_lshrrev_b32_e32 v5, 16, v5
	s_delay_alu instid0(VALU_DEP_1)
	v_cndmask_b32_e32 v5, 0x7fc0, v5, vcc_lo
	global_store_b32 v[0:1], v5, off
.LBB158_2833:
	s_and_b32 vcc_lo, exec_lo, s6
	s_cbranch_vccz .LBB158_2838
; %bb.2834:
	v_cmp_eq_u16_e32 vcc_lo, 44, v9
	s_mov_b32 s0, -1
	s_cbranch_vccz .LBB158_2838
; %bb.2835:
	v_bfe_u32 v6, v4, 23, 8
	v_mov_b32_e32 v5, 0xff
	s_mov_b32 s3, exec_lo
	s_delay_alu instid0(VALU_DEP_2)
	v_cmpx_ne_u32_e32 0xff, v6
; %bb.2836:
	v_and_b32_e32 v5, 0x400000, v4
	v_and_or_b32 v6, 0x3fffff, v4, v6
	s_delay_alu instid0(VALU_DEP_2) | instskip(NEXT) | instid1(VALU_DEP_2)
	v_cmp_ne_u32_e32 vcc_lo, 0, v5
	v_cmp_ne_u32_e64 s0, 0, v6
	v_lshrrev_b32_e32 v5, 23, v4
	s_delay_alu instid0(VALU_DEP_2) | instskip(NEXT) | instid1(SALU_CYCLE_1)
	s_and_b32 s0, vcc_lo, s0
	v_cndmask_b32_e64 v6, 0, 1, s0
	s_delay_alu instid0(VALU_DEP_1)
	v_add_nc_u32_e32 v5, v5, v6
; %bb.2837:
	s_or_b32 exec_lo, exec_lo, s3
	s_mov_b32 s0, 0
	s_mov_b32 s3, -1
	global_store_b8 v[0:1], v5, off
.LBB158_2838:
	s_mov_b32 s6, 0
.LBB158_2839:
	s_delay_alu instid0(SALU_CYCLE_1)
	s_and_b32 vcc_lo, exec_lo, s6
	s_cbranch_vccz .LBB158_2842
; %bb.2840:
	v_cmp_eq_u16_e32 vcc_lo, 29, v9
	s_mov_b32 s0, -1
	s_cbranch_vccz .LBB158_2842
; %bb.2841:
	v_trunc_f32_e32 v5, v4
	s_mov_b32 s0, 0
	s_mov_b32 s3, -1
	s_delay_alu instid0(VALU_DEP_1) | instskip(NEXT) | instid1(VALU_DEP_1)
	v_mul_f32_e32 v6, 0x2f800000, v5
	v_floor_f32_e32 v6, v6
	s_delay_alu instid0(VALU_DEP_1) | instskip(SKIP_1) | instid1(VALU_DEP_2)
	v_fmamk_f32 v5, v6, 0xcf800000, v5
	v_cvt_u32_f32_e32 v6, v6
	v_cvt_u32_f32_e32 v5, v5
	global_store_b64 v[0:1], v[5:6], off
.LBB158_2842:
	s_mov_b32 s6, 0
.LBB158_2843:
	s_delay_alu instid0(SALU_CYCLE_1)
	s_and_b32 vcc_lo, exec_lo, s6
	s_cbranch_vccz .LBB158_2859
; %bb.2844:
	v_cmp_gt_i16_e32 vcc_lo, 27, v9
	s_mov_b32 s3, -1
	s_cbranch_vccnz .LBB158_2850
; %bb.2845:
	v_cmp_lt_i16_e32 vcc_lo, 27, v9
	s_cbranch_vccz .LBB158_2847
; %bb.2846:
	v_cvt_u32_f32_e32 v5, v4
	s_mov_b32 s3, 0
	global_store_b32 v[0:1], v5, off
.LBB158_2847:
	s_and_not1_b32 vcc_lo, exec_lo, s3
	s_cbranch_vccnz .LBB158_2849
; %bb.2848:
	v_cvt_u32_f32_e32 v5, v4
	global_store_b16 v[0:1], v5, off
.LBB158_2849:
	s_mov_b32 s3, 0
.LBB158_2850:
	s_delay_alu instid0(SALU_CYCLE_1)
	s_and_not1_b32 vcc_lo, exec_lo, s3
	s_cbranch_vccnz .LBB158_2858
; %bb.2851:
	v_and_b32_e32 v5, 0x7fffffff, v4
	v_mov_b32_e32 v6, 0x80
	s_mov_b32 s3, exec_lo
	s_delay_alu instid0(VALU_DEP_2)
	v_cmpx_gt_u32_e32 0x43800000, v5
	s_cbranch_execz .LBB158_2857
; %bb.2852:
	v_cmp_lt_u32_e32 vcc_lo, 0x3bffffff, v5
	s_mov_b32 s6, 0
                                        ; implicit-def: $vgpr5
	s_and_saveexec_b32 s7, vcc_lo
	s_delay_alu instid0(SALU_CYCLE_1)
	s_xor_b32 s7, exec_lo, s7
	s_cbranch_execz .LBB158_3085
; %bb.2853:
	v_bfe_u32 v5, v4, 20, 1
	s_mov_b32 s6, exec_lo
	s_delay_alu instid0(VALU_DEP_1) | instskip(NEXT) | instid1(VALU_DEP_1)
	v_add3_u32 v5, v4, v5, 0x487ffff
	v_lshrrev_b32_e32 v5, 20, v5
	s_or_saveexec_b32 s7, s7
                                        ; implicit-def: $sgpr8
	s_delay_alu instid0(SALU_CYCLE_1)
	s_xor_b32 exec_lo, exec_lo, s7
	s_cbranch_execnz .LBB158_3086
.LBB158_2854:
	s_or_b32 exec_lo, exec_lo, s7
	v_mov_b32_e32 v6, s8
	s_and_saveexec_b32 s7, s6
.LBB158_2855:
	v_lshrrev_b32_e32 v6, 24, v4
	s_delay_alu instid0(VALU_DEP_1)
	v_and_or_b32 v6, 0x80, v6, v5
.LBB158_2856:
	s_or_b32 exec_lo, exec_lo, s7
.LBB158_2857:
	s_delay_alu instid0(SALU_CYCLE_1)
	s_or_b32 exec_lo, exec_lo, s3
	global_store_b8 v[0:1], v6, off
.LBB158_2858:
	s_mov_b32 s3, -1
.LBB158_2859:
	s_mov_b32 s6, 0
.LBB158_2860:
	s_delay_alu instid0(SALU_CYCLE_1)
	s_and_b32 vcc_lo, exec_lo, s6
	s_cbranch_vccz .LBB158_2900
; %bb.2861:
	v_cmp_lt_i16_e32 vcc_lo, 22, v9
	s_mov_b32 s2, -1
	s_cbranch_vccz .LBB158_2893
; %bb.2862:
	v_cmp_gt_i16_e32 vcc_lo, 24, v9
	s_cbranch_vccnz .LBB158_2882
; %bb.2863:
	v_cmp_lt_i16_e32 vcc_lo, 24, v9
	s_cbranch_vccz .LBB158_2871
; %bb.2864:
	v_and_b32_e32 v5, 0x7fffffff, v4
	v_mov_b32_e32 v6, 0x80
	s_mov_b32 s2, exec_lo
	s_delay_alu instid0(VALU_DEP_2)
	v_cmpx_gt_u32_e32 0x47800000, v5
	s_cbranch_execz .LBB158_2870
; %bb.2865:
	v_cmp_lt_u32_e32 vcc_lo, 0x37ffffff, v5
	s_mov_b32 s3, 0
                                        ; implicit-def: $vgpr5
	s_and_saveexec_b32 s6, vcc_lo
	s_delay_alu instid0(SALU_CYCLE_1)
	s_xor_b32 s6, exec_lo, s6
	s_cbranch_execz .LBB158_3091
; %bb.2866:
	v_bfe_u32 v5, v4, 21, 1
	s_mov_b32 s3, exec_lo
	s_delay_alu instid0(VALU_DEP_1) | instskip(NEXT) | instid1(VALU_DEP_1)
	v_add3_u32 v5, v4, v5, 0x88fffff
	v_lshrrev_b32_e32 v5, 21, v5
	s_or_saveexec_b32 s6, s6
                                        ; implicit-def: $sgpr7
	s_delay_alu instid0(SALU_CYCLE_1)
	s_xor_b32 exec_lo, exec_lo, s6
	s_cbranch_execnz .LBB158_3092
.LBB158_2867:
	s_or_b32 exec_lo, exec_lo, s6
	v_mov_b32_e32 v6, s7
	s_and_saveexec_b32 s6, s3
.LBB158_2868:
	v_lshrrev_b32_e32 v6, 24, v4
	s_delay_alu instid0(VALU_DEP_1)
	v_and_or_b32 v6, 0x80, v6, v5
.LBB158_2869:
	s_or_b32 exec_lo, exec_lo, s6
.LBB158_2870:
	s_delay_alu instid0(SALU_CYCLE_1)
	s_or_b32 exec_lo, exec_lo, s2
	s_mov_b32 s2, 0
	global_store_b8 v[0:1], v6, off
.LBB158_2871:
	s_and_b32 vcc_lo, exec_lo, s2
	s_cbranch_vccz .LBB158_2881
; %bb.2872:
	v_and_b32_e32 v6, 0x7fffffff, v4
	s_mov_b32 s2, exec_lo
                                        ; implicit-def: $vgpr5
	s_delay_alu instid0(VALU_DEP_1)
	v_cmpx_gt_u32_e32 0x43f00000, v6
	s_xor_b32 s2, exec_lo, s2
	s_cbranch_execz .LBB158_2878
; %bb.2873:
	s_mov_b32 s3, exec_lo
                                        ; implicit-def: $vgpr5
	v_cmpx_lt_u32_e32 0x3c7fffff, v6
	s_xor_b32 s3, exec_lo, s3
; %bb.2874:
	v_bfe_u32 v5, v4, 20, 1
	s_delay_alu instid0(VALU_DEP_1) | instskip(NEXT) | instid1(VALU_DEP_1)
	v_add3_u32 v5, v4, v5, 0x407ffff
	v_and_b32_e32 v6, 0xff00000, v5
	v_lshrrev_b32_e32 v5, 20, v5
	s_delay_alu instid0(VALU_DEP_2) | instskip(NEXT) | instid1(VALU_DEP_2)
	v_cmp_ne_u32_e32 vcc_lo, 0x7f00000, v6
	v_cndmask_b32_e32 v5, 0x7e, v5, vcc_lo
; %bb.2875:
	s_and_not1_saveexec_b32 s3, s3
; %bb.2876:
	v_add_f32_e64 v5, 0x46800000, |v4|
; %bb.2877:
	s_or_b32 exec_lo, exec_lo, s3
                                        ; implicit-def: $vgpr6
.LBB158_2878:
	s_and_not1_saveexec_b32 s2, s2
; %bb.2879:
	v_mov_b32_e32 v5, 0x7f
	v_cmp_lt_u32_e32 vcc_lo, 0x7f800000, v6
	s_delay_alu instid0(VALU_DEP_2)
	v_cndmask_b32_e32 v5, 0x7e, v5, vcc_lo
; %bb.2880:
	s_or_b32 exec_lo, exec_lo, s2
	v_lshrrev_b32_e32 v6, 24, v4
	s_delay_alu instid0(VALU_DEP_1)
	v_and_or_b32 v5, 0x80, v6, v5
	global_store_b8 v[0:1], v5, off
.LBB158_2881:
	s_mov_b32 s2, 0
.LBB158_2882:
	s_delay_alu instid0(SALU_CYCLE_1)
	s_and_not1_b32 vcc_lo, exec_lo, s2
	s_cbranch_vccnz .LBB158_2892
; %bb.2883:
	v_and_b32_e32 v6, 0x7fffffff, v4
	s_mov_b32 s2, exec_lo
                                        ; implicit-def: $vgpr5
	s_delay_alu instid0(VALU_DEP_1)
	v_cmpx_gt_u32_e32 0x47800000, v6
	s_xor_b32 s2, exec_lo, s2
	s_cbranch_execz .LBB158_2889
; %bb.2884:
	s_mov_b32 s3, exec_lo
                                        ; implicit-def: $vgpr5
	v_cmpx_lt_u32_e32 0x387fffff, v6
	s_xor_b32 s3, exec_lo, s3
; %bb.2885:
	v_bfe_u32 v5, v4, 21, 1
	s_delay_alu instid0(VALU_DEP_1) | instskip(NEXT) | instid1(VALU_DEP_1)
	v_add3_u32 v5, v4, v5, 0x80fffff
	v_lshrrev_b32_e32 v5, 21, v5
; %bb.2886:
	s_and_not1_saveexec_b32 s3, s3
; %bb.2887:
	v_add_f32_e64 v5, 0x43000000, |v4|
; %bb.2888:
	s_or_b32 exec_lo, exec_lo, s3
                                        ; implicit-def: $vgpr6
.LBB158_2889:
	s_and_not1_saveexec_b32 s2, s2
; %bb.2890:
	v_mov_b32_e32 v5, 0x7f
	v_cmp_lt_u32_e32 vcc_lo, 0x7f800000, v6
	s_delay_alu instid0(VALU_DEP_2)
	v_cndmask_b32_e32 v5, 0x7c, v5, vcc_lo
; %bb.2891:
	s_or_b32 exec_lo, exec_lo, s2
	v_lshrrev_b32_e32 v6, 24, v4
	s_delay_alu instid0(VALU_DEP_1)
	v_and_or_b32 v5, 0x80, v6, v5
	global_store_b8 v[0:1], v5, off
.LBB158_2892:
	s_mov_b32 s2, 0
	s_mov_b32 s3, -1
.LBB158_2893:
	s_and_not1_b32 vcc_lo, exec_lo, s2
	s_mov_b32 s2, 0
	s_cbranch_vccnz .LBB158_2900
; %bb.2894:
	v_cmp_lt_i16_e32 vcc_lo, 14, v9
	s_mov_b32 s2, -1
	s_cbranch_vccz .LBB158_2898
; %bb.2895:
	v_cmp_eq_u16_e32 vcc_lo, 15, v9
	s_mov_b32 s0, -1
	s_cbranch_vccz .LBB158_2897
; %bb.2896:
	v_bfe_u32 v5, v4, 16, 1
	v_cmp_o_f32_e32 vcc_lo, v4, v4
	s_mov_b32 s0, 0
	s_mov_b32 s3, -1
	s_delay_alu instid0(VALU_DEP_2) | instskip(NEXT) | instid1(VALU_DEP_1)
	v_add3_u32 v5, v4, v5, 0x7fff
	v_lshrrev_b32_e32 v5, 16, v5
	s_delay_alu instid0(VALU_DEP_1)
	v_cndmask_b32_e32 v5, 0x7fc0, v5, vcc_lo
	global_store_b16 v[0:1], v5, off
.LBB158_2897:
	s_mov_b32 s2, 0
.LBB158_2898:
	s_delay_alu instid0(SALU_CYCLE_1)
	s_and_b32 vcc_lo, exec_lo, s2
	s_mov_b32 s2, 0
	s_cbranch_vccz .LBB158_2900
; %bb.2899:
	v_cmp_ne_u16_e64 s0, 11, v9
	s_mov_b32 s2, -1
.LBB158_2900:
	s_delay_alu instid0(VALU_DEP_1)
	s_and_b32 vcc_lo, exec_lo, s0
	s_cbranch_vccnz .LBB158_3089
; %bb.2901:
	s_and_not1_b32 vcc_lo, exec_lo, s2
	s_cbranch_vccnz .LBB158_2903
.LBB158_2902:
	v_cmp_neq_f32_e32 vcc_lo, 0, v4
	s_mov_b32 s3, -1
	v_cndmask_b32_e64 v5, 0, 1, vcc_lo
	global_store_b8 v[0:1], v5, off
.LBB158_2903:
	s_mov_b32 s0, 0
	s_branch .LBB158_2905
.LBB158_2904:
	s_mov_b32 s0, -1
	s_mov_b32 s3, 0
.LBB158_2905:
	s_and_b32 vcc_lo, exec_lo, s0
	s_cbranch_vccz .LBB158_2944
; %bb.2906:
	v_cmp_gt_i16_e32 vcc_lo, 5, v9
	s_mov_b32 s0, -1
	s_cbranch_vccnz .LBB158_2927
; %bb.2907:
	v_cmp_gt_i16_e32 vcc_lo, 8, v9
	s_cbranch_vccnz .LBB158_2917
; %bb.2908:
	v_cmp_gt_i16_e32 vcc_lo, 9, v9
	s_cbranch_vccnz .LBB158_2914
; %bb.2909:
	v_cmp_lt_i16_e32 vcc_lo, 9, v9
	s_cbranch_vccz .LBB158_2911
; %bb.2910:
	v_cvt_f64_f32_e32 v[5:6], v4
	v_mov_b32_e32 v7, 0
	s_mov_b32 s0, 0
	s_delay_alu instid0(VALU_DEP_1)
	v_mov_b32_e32 v8, v7
	global_store_b128 v[0:1], v[5:8], off
.LBB158_2911:
	s_and_not1_b32 vcc_lo, exec_lo, s0
	s_cbranch_vccnz .LBB158_2913
; %bb.2912:
	v_mov_b32_e32 v5, 0
	global_store_b64 v[0:1], v[4:5], off
.LBB158_2913:
	s_mov_b32 s0, 0
.LBB158_2914:
	s_delay_alu instid0(SALU_CYCLE_1)
	s_and_not1_b32 vcc_lo, exec_lo, s0
	s_cbranch_vccnz .LBB158_2916
; %bb.2915:
	v_cvt_f16_f32_e32 v5, v4
	s_delay_alu instid0(VALU_DEP_1)
	v_and_b32_e32 v5, 0xffff, v5
	global_store_b32 v[0:1], v5, off
.LBB158_2916:
	s_mov_b32 s0, 0
.LBB158_2917:
	s_delay_alu instid0(SALU_CYCLE_1)
	s_and_not1_b32 vcc_lo, exec_lo, s0
	s_cbranch_vccnz .LBB158_2926
; %bb.2918:
	v_cmp_gt_i16_e32 vcc_lo, 6, v9
	s_mov_b32 s0, -1
	s_cbranch_vccnz .LBB158_2924
; %bb.2919:
	v_cmp_lt_i16_e32 vcc_lo, 6, v9
	s_cbranch_vccz .LBB158_2921
; %bb.2920:
	v_cvt_f64_f32_e32 v[5:6], v4
	s_mov_b32 s0, 0
	global_store_b64 v[0:1], v[5:6], off
.LBB158_2921:
	s_and_not1_b32 vcc_lo, exec_lo, s0
	s_cbranch_vccnz .LBB158_2923
; %bb.2922:
	global_store_b32 v[0:1], v4, off
.LBB158_2923:
	s_mov_b32 s0, 0
.LBB158_2924:
	s_delay_alu instid0(SALU_CYCLE_1)
	s_and_not1_b32 vcc_lo, exec_lo, s0
	s_cbranch_vccnz .LBB158_2926
; %bb.2925:
	v_cvt_f16_f32_e32 v5, v4
	global_store_b16 v[0:1], v5, off
.LBB158_2926:
	s_mov_b32 s0, 0
.LBB158_2927:
	s_delay_alu instid0(SALU_CYCLE_1)
	s_and_not1_b32 vcc_lo, exec_lo, s0
	s_cbranch_vccnz .LBB158_2943
; %bb.2928:
	v_cmp_gt_i16_e32 vcc_lo, 2, v9
	s_mov_b32 s0, -1
	s_cbranch_vccnz .LBB158_2938
; %bb.2929:
	v_cmp_gt_i16_e32 vcc_lo, 3, v9
	s_cbranch_vccnz .LBB158_2935
; %bb.2930:
	v_cmp_lt_i16_e32 vcc_lo, 3, v9
	s_cbranch_vccz .LBB158_2932
; %bb.2931:
	v_trunc_f32_e32 v5, v4
	s_mov_b32 s0, 0
	s_delay_alu instid0(VALU_DEP_1) | instskip(SKIP_1) | instid1(VALU_DEP_2)
	v_mul_f32_e64 v6, 0x2f800000, |v5|
	v_ashrrev_i32_e32 v8, 31, v5
	v_floor_f32_e32 v6, v6
	s_delay_alu instid0(VALU_DEP_1) | instskip(SKIP_1) | instid1(VALU_DEP_2)
	v_fma_f32 v7, 0xcf800000, v6, |v5|
	v_cvt_u32_f32_e32 v6, v6
	v_cvt_u32_f32_e32 v5, v7
	s_delay_alu instid0(VALU_DEP_2) | instskip(NEXT) | instid1(VALU_DEP_2)
	v_xor_b32_e32 v6, v6, v8
	v_xor_b32_e32 v5, v5, v8
	s_delay_alu instid0(VALU_DEP_1) | instskip(NEXT) | instid1(VALU_DEP_3)
	v_sub_co_u32 v5, vcc_lo, v5, v8
	v_sub_co_ci_u32_e32 v6, vcc_lo, v6, v8, vcc_lo
	global_store_b64 v[0:1], v[5:6], off
.LBB158_2932:
	s_and_not1_b32 vcc_lo, exec_lo, s0
	s_cbranch_vccnz .LBB158_2934
; %bb.2933:
	v_cvt_i32_f32_e32 v5, v4
	global_store_b32 v[0:1], v5, off
.LBB158_2934:
	s_mov_b32 s0, 0
.LBB158_2935:
	s_delay_alu instid0(SALU_CYCLE_1)
	s_and_not1_b32 vcc_lo, exec_lo, s0
	s_cbranch_vccnz .LBB158_2937
; %bb.2936:
	v_cvt_i32_f32_e32 v5, v4
	global_store_b16 v[0:1], v5, off
.LBB158_2937:
	s_mov_b32 s0, 0
.LBB158_2938:
	s_delay_alu instid0(SALU_CYCLE_1)
	s_and_not1_b32 vcc_lo, exec_lo, s0
	s_cbranch_vccnz .LBB158_2943
; %bb.2939:
	v_cmp_lt_i16_e32 vcc_lo, 0, v9
	s_mov_b32 s0, -1
	s_cbranch_vccz .LBB158_2941
; %bb.2940:
	v_cvt_i32_f32_e32 v5, v4
	s_mov_b32 s0, 0
	global_store_b8 v[0:1], v5, off
.LBB158_2941:
	s_and_not1_b32 vcc_lo, exec_lo, s0
	s_cbranch_vccnz .LBB158_2943
; %bb.2942:
	v_trunc_f32_e32 v4, v4
	s_delay_alu instid0(VALU_DEP_1) | instskip(NEXT) | instid1(VALU_DEP_1)
	v_mul_f32_e64 v5, 0x2f800000, |v4|
	v_floor_f32_e32 v5, v5
	s_delay_alu instid0(VALU_DEP_1) | instskip(SKIP_1) | instid1(VALU_DEP_2)
	v_fma_f32 v5, 0xcf800000, v5, |v4|
	v_ashrrev_i32_e32 v4, 31, v4
	v_cvt_u32_f32_e32 v5, v5
	s_delay_alu instid0(VALU_DEP_1) | instskip(NEXT) | instid1(VALU_DEP_1)
	v_xor_b32_e32 v5, v5, v4
	v_sub_nc_u32_e32 v4, v5, v4
	global_store_b8 v[0:1], v4, off
.LBB158_2943:
	s_mov_b32 s3, -1
.LBB158_2944:
	s_delay_alu instid0(SALU_CYCLE_1)
	s_and_not1_b32 vcc_lo, exec_lo, s3
	s_cbranch_vccnz .LBB158_3021
; %bb.2945:
	v_cvt_f32_ubyte0_e32 v0, v3
	v_add_nc_u32_e32 v1, s1, v2
	v_cmp_gt_i16_e32 vcc_lo, 11, v9
	s_delay_alu instid0(VALU_DEP_3) | instskip(NEXT) | instid1(VALU_DEP_3)
	v_mul_f32_e32 v0, v12, v0
	v_ashrrev_i32_e32 v3, 31, v1
	s_delay_alu instid0(VALU_DEP_2) | instskip(SKIP_1) | instid1(VALU_DEP_1)
	v_mul_f32_e32 v2, s11, v0
	v_add_co_u32 v0, s0, s4, v1
	v_add_co_ci_u32_e64 v1, s0, s5, v3, s0
	s_cbranch_vccnz .LBB158_3066
; %bb.2946:
	v_cmp_lt_i16_e32 vcc_lo, 25, v9
	s_mov_b32 s2, -1
	s_mov_b32 s1, 0
	s_mov_b32 s0, 0
	s_cbranch_vccz .LBB158_2979
; %bb.2947:
	v_cmp_lt_i16_e32 vcc_lo, 28, v9
	s_cbranch_vccz .LBB158_2963
; %bb.2948:
	v_cmp_lt_i16_e32 vcc_lo, 43, v9
	;; [unrolled: 3-line block ×3, first 2 shown]
	s_cbranch_vccz .LBB158_2953
; %bb.2950:
	v_cmp_eq_u16_e32 vcc_lo, 46, v9
	s_mov_b32 s0, -1
	s_cbranch_vccz .LBB158_2952
; %bb.2951:
	v_bfe_u32 v3, v2, 16, 1
	v_cmp_o_f32_e32 vcc_lo, v2, v2
	s_mov_b32 s0, 0
	s_delay_alu instid0(VALU_DEP_2) | instskip(NEXT) | instid1(VALU_DEP_1)
	v_add3_u32 v3, v2, v3, 0x7fff
	v_lshrrev_b32_e32 v3, 16, v3
	s_delay_alu instid0(VALU_DEP_1)
	v_cndmask_b32_e32 v3, 0x7fc0, v3, vcc_lo
	global_store_b32 v[0:1], v3, off
.LBB158_2952:
	s_mov_b32 s2, 0
.LBB158_2953:
	s_delay_alu instid0(SALU_CYCLE_1)
	s_and_b32 vcc_lo, exec_lo, s2
	s_cbranch_vccz .LBB158_2958
; %bb.2954:
	v_cmp_eq_u16_e32 vcc_lo, 44, v9
	s_mov_b32 s0, -1
	s_cbranch_vccz .LBB158_2958
; %bb.2955:
	v_bfe_u32 v4, v2, 23, 8
	v_mov_b32_e32 v3, 0xff
	s_mov_b32 s2, exec_lo
	s_delay_alu instid0(VALU_DEP_2)
	v_cmpx_ne_u32_e32 0xff, v4
; %bb.2956:
	v_and_b32_e32 v3, 0x400000, v2
	v_and_or_b32 v4, 0x3fffff, v2, v4
	s_delay_alu instid0(VALU_DEP_2) | instskip(NEXT) | instid1(VALU_DEP_2)
	v_cmp_ne_u32_e32 vcc_lo, 0, v3
	v_cmp_ne_u32_e64 s0, 0, v4
	v_lshrrev_b32_e32 v3, 23, v2
	s_delay_alu instid0(VALU_DEP_2) | instskip(NEXT) | instid1(SALU_CYCLE_1)
	s_and_b32 s0, vcc_lo, s0
	v_cndmask_b32_e64 v4, 0, 1, s0
	s_delay_alu instid0(VALU_DEP_1)
	v_add_nc_u32_e32 v3, v3, v4
; %bb.2957:
	s_or_b32 exec_lo, exec_lo, s2
	s_mov_b32 s0, 0
	global_store_b8 v[0:1], v3, off
.LBB158_2958:
	s_mov_b32 s2, 0
.LBB158_2959:
	s_delay_alu instid0(SALU_CYCLE_1)
	s_and_b32 vcc_lo, exec_lo, s2
	s_cbranch_vccz .LBB158_2962
; %bb.2960:
	v_cmp_eq_u16_e32 vcc_lo, 29, v9
	s_mov_b32 s0, -1
	s_cbranch_vccz .LBB158_2962
; %bb.2961:
	v_trunc_f32_e32 v3, v2
	s_mov_b32 s0, 0
	s_delay_alu instid0(VALU_DEP_1) | instskip(NEXT) | instid1(VALU_DEP_1)
	v_mul_f32_e32 v4, 0x2f800000, v3
	v_floor_f32_e32 v4, v4
	s_delay_alu instid0(VALU_DEP_1) | instskip(SKIP_1) | instid1(VALU_DEP_2)
	v_fmamk_f32 v3, v4, 0xcf800000, v3
	v_cvt_u32_f32_e32 v4, v4
	v_cvt_u32_f32_e32 v3, v3
	global_store_b64 v[0:1], v[3:4], off
.LBB158_2962:
	s_mov_b32 s2, 0
.LBB158_2963:
	s_delay_alu instid0(SALU_CYCLE_1)
	s_and_b32 vcc_lo, exec_lo, s2
	s_cbranch_vccz .LBB158_2978
; %bb.2964:
	v_cmp_gt_i16_e32 vcc_lo, 27, v9
	s_mov_b32 s2, -1
	s_cbranch_vccnz .LBB158_2970
; %bb.2965:
	v_cmp_lt_i16_e32 vcc_lo, 27, v9
	s_cbranch_vccz .LBB158_2967
; %bb.2966:
	v_cvt_u32_f32_e32 v3, v2
	s_mov_b32 s2, 0
	global_store_b32 v[0:1], v3, off
.LBB158_2967:
	s_and_not1_b32 vcc_lo, exec_lo, s2
	s_cbranch_vccnz .LBB158_2969
; %bb.2968:
	v_cvt_u32_f32_e32 v3, v2
	global_store_b16 v[0:1], v3, off
.LBB158_2969:
	s_mov_b32 s2, 0
.LBB158_2970:
	s_delay_alu instid0(SALU_CYCLE_1)
	s_and_not1_b32 vcc_lo, exec_lo, s2
	s_cbranch_vccnz .LBB158_2978
; %bb.2971:
	v_and_b32_e32 v3, 0x7fffffff, v2
	v_mov_b32_e32 v4, 0x80
	s_mov_b32 s2, exec_lo
	s_delay_alu instid0(VALU_DEP_2)
	v_cmpx_gt_u32_e32 0x43800000, v3
	s_cbranch_execz .LBB158_2977
; %bb.2972:
	v_cmp_lt_u32_e32 vcc_lo, 0x3bffffff, v3
	s_mov_b32 s3, 0
                                        ; implicit-def: $vgpr3
	s_and_saveexec_b32 s4, vcc_lo
	s_delay_alu instid0(SALU_CYCLE_1)
	s_xor_b32 s4, exec_lo, s4
	s_cbranch_execz .LBB158_3093
; %bb.2973:
	v_bfe_u32 v3, v2, 20, 1
	s_mov_b32 s3, exec_lo
	s_delay_alu instid0(VALU_DEP_1) | instskip(NEXT) | instid1(VALU_DEP_1)
	v_add3_u32 v3, v2, v3, 0x487ffff
	v_lshrrev_b32_e32 v3, 20, v3
	s_or_saveexec_b32 s4, s4
                                        ; implicit-def: $sgpr5
	s_delay_alu instid0(SALU_CYCLE_1)
	s_xor_b32 exec_lo, exec_lo, s4
	s_cbranch_execnz .LBB158_3094
.LBB158_2974:
	s_or_b32 exec_lo, exec_lo, s4
	v_mov_b32_e32 v4, s5
	s_and_saveexec_b32 s4, s3
.LBB158_2975:
	v_lshrrev_b32_e32 v4, 24, v2
	s_delay_alu instid0(VALU_DEP_1)
	v_and_or_b32 v4, 0x80, v4, v3
.LBB158_2976:
	s_or_b32 exec_lo, exec_lo, s4
.LBB158_2977:
	s_delay_alu instid0(SALU_CYCLE_1)
	s_or_b32 exec_lo, exec_lo, s2
	global_store_b8 v[0:1], v4, off
.LBB158_2978:
	s_mov_b32 s2, 0
.LBB158_2979:
	s_delay_alu instid0(SALU_CYCLE_1)
	s_and_b32 vcc_lo, exec_lo, s2
	s_cbranch_vccz .LBB158_3019
; %bb.2980:
	v_cmp_lt_i16_e32 vcc_lo, 22, v9
	s_mov_b32 s1, -1
	s_cbranch_vccz .LBB158_3012
; %bb.2981:
	v_cmp_gt_i16_e32 vcc_lo, 24, v9
	s_cbranch_vccnz .LBB158_3001
; %bb.2982:
	v_cmp_lt_i16_e32 vcc_lo, 24, v9
	s_cbranch_vccz .LBB158_2990
; %bb.2983:
	v_and_b32_e32 v3, 0x7fffffff, v2
	v_mov_b32_e32 v4, 0x80
	s_mov_b32 s1, exec_lo
	s_delay_alu instid0(VALU_DEP_2)
	v_cmpx_gt_u32_e32 0x47800000, v3
	s_cbranch_execz .LBB158_2989
; %bb.2984:
	v_cmp_lt_u32_e32 vcc_lo, 0x37ffffff, v3
	s_mov_b32 s2, 0
                                        ; implicit-def: $vgpr3
	s_and_saveexec_b32 s3, vcc_lo
	s_delay_alu instid0(SALU_CYCLE_1)
	s_xor_b32 s3, exec_lo, s3
	s_cbranch_execz .LBB158_3099
; %bb.2985:
	v_bfe_u32 v3, v2, 21, 1
	s_mov_b32 s2, exec_lo
	s_delay_alu instid0(VALU_DEP_1) | instskip(NEXT) | instid1(VALU_DEP_1)
	v_add3_u32 v3, v2, v3, 0x88fffff
	v_lshrrev_b32_e32 v3, 21, v3
	s_or_saveexec_b32 s3, s3
                                        ; implicit-def: $sgpr4
	s_delay_alu instid0(SALU_CYCLE_1)
	s_xor_b32 exec_lo, exec_lo, s3
	s_cbranch_execnz .LBB158_3100
.LBB158_2986:
	s_or_b32 exec_lo, exec_lo, s3
	v_mov_b32_e32 v4, s4
	s_and_saveexec_b32 s3, s2
.LBB158_2987:
	v_lshrrev_b32_e32 v4, 24, v2
	s_delay_alu instid0(VALU_DEP_1)
	v_and_or_b32 v4, 0x80, v4, v3
.LBB158_2988:
	s_or_b32 exec_lo, exec_lo, s3
.LBB158_2989:
	s_delay_alu instid0(SALU_CYCLE_1)
	s_or_b32 exec_lo, exec_lo, s1
	s_mov_b32 s1, 0
	global_store_b8 v[0:1], v4, off
.LBB158_2990:
	s_and_b32 vcc_lo, exec_lo, s1
	s_cbranch_vccz .LBB158_3000
; %bb.2991:
	v_and_b32_e32 v4, 0x7fffffff, v2
	s_mov_b32 s1, exec_lo
                                        ; implicit-def: $vgpr3
	s_delay_alu instid0(VALU_DEP_1)
	v_cmpx_gt_u32_e32 0x43f00000, v4
	s_xor_b32 s1, exec_lo, s1
	s_cbranch_execz .LBB158_2997
; %bb.2992:
	s_mov_b32 s2, exec_lo
                                        ; implicit-def: $vgpr3
	v_cmpx_lt_u32_e32 0x3c7fffff, v4
	s_xor_b32 s2, exec_lo, s2
; %bb.2993:
	v_bfe_u32 v3, v2, 20, 1
	s_delay_alu instid0(VALU_DEP_1) | instskip(NEXT) | instid1(VALU_DEP_1)
	v_add3_u32 v3, v2, v3, 0x407ffff
	v_and_b32_e32 v4, 0xff00000, v3
	v_lshrrev_b32_e32 v3, 20, v3
	s_delay_alu instid0(VALU_DEP_2) | instskip(NEXT) | instid1(VALU_DEP_2)
	v_cmp_ne_u32_e32 vcc_lo, 0x7f00000, v4
	v_cndmask_b32_e32 v3, 0x7e, v3, vcc_lo
; %bb.2994:
	s_and_not1_saveexec_b32 s2, s2
; %bb.2995:
	v_add_f32_e64 v3, 0x46800000, |v2|
; %bb.2996:
	s_or_b32 exec_lo, exec_lo, s2
                                        ; implicit-def: $vgpr4
.LBB158_2997:
	s_and_not1_saveexec_b32 s1, s1
; %bb.2998:
	v_mov_b32_e32 v3, 0x7f
	v_cmp_lt_u32_e32 vcc_lo, 0x7f800000, v4
	s_delay_alu instid0(VALU_DEP_2)
	v_cndmask_b32_e32 v3, 0x7e, v3, vcc_lo
; %bb.2999:
	s_or_b32 exec_lo, exec_lo, s1
	v_lshrrev_b32_e32 v4, 24, v2
	s_delay_alu instid0(VALU_DEP_1)
	v_and_or_b32 v3, 0x80, v4, v3
	global_store_b8 v[0:1], v3, off
.LBB158_3000:
	s_mov_b32 s1, 0
.LBB158_3001:
	s_delay_alu instid0(SALU_CYCLE_1)
	s_and_not1_b32 vcc_lo, exec_lo, s1
	s_cbranch_vccnz .LBB158_3011
; %bb.3002:
	v_and_b32_e32 v4, 0x7fffffff, v2
	s_mov_b32 s1, exec_lo
                                        ; implicit-def: $vgpr3
	s_delay_alu instid0(VALU_DEP_1)
	v_cmpx_gt_u32_e32 0x47800000, v4
	s_xor_b32 s1, exec_lo, s1
	s_cbranch_execz .LBB158_3008
; %bb.3003:
	s_mov_b32 s2, exec_lo
                                        ; implicit-def: $vgpr3
	v_cmpx_lt_u32_e32 0x387fffff, v4
	s_xor_b32 s2, exec_lo, s2
; %bb.3004:
	v_bfe_u32 v3, v2, 21, 1
	s_delay_alu instid0(VALU_DEP_1) | instskip(NEXT) | instid1(VALU_DEP_1)
	v_add3_u32 v3, v2, v3, 0x80fffff
	v_lshrrev_b32_e32 v3, 21, v3
; %bb.3005:
	s_and_not1_saveexec_b32 s2, s2
; %bb.3006:
	v_add_f32_e64 v3, 0x43000000, |v2|
; %bb.3007:
	s_or_b32 exec_lo, exec_lo, s2
                                        ; implicit-def: $vgpr4
.LBB158_3008:
	s_and_not1_saveexec_b32 s1, s1
; %bb.3009:
	v_mov_b32_e32 v3, 0x7f
	v_cmp_lt_u32_e32 vcc_lo, 0x7f800000, v4
	s_delay_alu instid0(VALU_DEP_2)
	v_cndmask_b32_e32 v3, 0x7c, v3, vcc_lo
; %bb.3010:
	s_or_b32 exec_lo, exec_lo, s1
	v_lshrrev_b32_e32 v4, 24, v2
	s_delay_alu instid0(VALU_DEP_1)
	v_and_or_b32 v3, 0x80, v4, v3
	global_store_b8 v[0:1], v3, off
.LBB158_3011:
	s_mov_b32 s1, 0
.LBB158_3012:
	s_delay_alu instid0(SALU_CYCLE_1)
	s_and_not1_b32 vcc_lo, exec_lo, s1
	s_mov_b32 s1, 0
	s_cbranch_vccnz .LBB158_3019
; %bb.3013:
	v_cmp_lt_i16_e32 vcc_lo, 14, v9
	s_mov_b32 s1, -1
	s_cbranch_vccz .LBB158_3017
; %bb.3014:
	v_cmp_eq_u16_e32 vcc_lo, 15, v9
	s_mov_b32 s0, -1
	s_cbranch_vccz .LBB158_3016
; %bb.3015:
	v_bfe_u32 v3, v2, 16, 1
	v_cmp_o_f32_e32 vcc_lo, v2, v2
	s_mov_b32 s0, 0
	s_delay_alu instid0(VALU_DEP_2) | instskip(NEXT) | instid1(VALU_DEP_1)
	v_add3_u32 v3, v2, v3, 0x7fff
	v_lshrrev_b32_e32 v3, 16, v3
	s_delay_alu instid0(VALU_DEP_1)
	v_cndmask_b32_e32 v3, 0x7fc0, v3, vcc_lo
	global_store_b16 v[0:1], v3, off
.LBB158_3016:
	s_mov_b32 s1, 0
.LBB158_3017:
	s_delay_alu instid0(SALU_CYCLE_1)
	s_and_b32 vcc_lo, exec_lo, s1
	s_mov_b32 s1, 0
	s_cbranch_vccz .LBB158_3019
; %bb.3018:
	v_cmp_ne_u16_e64 s0, 11, v9
	s_mov_b32 s1, -1
.LBB158_3019:
	s_delay_alu instid0(VALU_DEP_1)
	s_and_b32 vcc_lo, exec_lo, s0
	s_cbranch_vccnz .LBB158_3097
.LBB158_3020:
	s_mov_b32 s0, 0
	s_branch .LBB158_3022
.LBB158_3021:
	s_mov_b32 s0, 0
	s_mov_b32 s1, 0
                                        ; implicit-def: $vgpr9
                                        ; implicit-def: $vgpr0_vgpr1
                                        ; implicit-def: $vgpr2
.LBB158_3022:
	s_and_not1_b32 s2, s16, exec_lo
	s_and_b32 s3, s13, exec_lo
	s_and_b32 s0, s0, exec_lo
	;; [unrolled: 1-line block ×3, first 2 shown]
	s_or_b32 s16, s2, s3
.LBB158_3023:
	s_or_b32 exec_lo, exec_lo, s15
	s_and_saveexec_b32 s1, s16
	s_cbranch_execz .LBB158_3026
; %bb.3024:
	; divergent unreachable
	s_or_b32 exec_lo, exec_lo, s1
	s_and_saveexec_b32 s1, s13
	s_delay_alu instid0(SALU_CYCLE_1)
	s_xor_b32 s1, exec_lo, s1
	s_cbranch_execnz .LBB158_3027
.LBB158_3025:
	s_or_b32 exec_lo, exec_lo, s1
	s_and_saveexec_b32 s1, s0
	s_cbranch_execnz .LBB158_3028
	s_branch .LBB158_3065
.LBB158_3026:
	s_or_b32 exec_lo, exec_lo, s1
	s_and_saveexec_b32 s1, s13
	s_delay_alu instid0(SALU_CYCLE_1)
	s_xor_b32 s1, exec_lo, s1
	s_cbranch_execz .LBB158_3025
.LBB158_3027:
	s_waitcnt vmcnt(0)
	s_delay_alu instid0(VALU_DEP_1)
	v_cmp_neq_f32_e32 vcc_lo, 0, v2
	v_cndmask_b32_e64 v3, 0, 1, vcc_lo
	global_store_b8 v[0:1], v3, off
	s_or_b32 exec_lo, exec_lo, s1
	s_and_saveexec_b32 s1, s0
	s_cbranch_execz .LBB158_3065
.LBB158_3028:
	v_cmp_gt_i16_e32 vcc_lo, 5, v9
	s_mov_b32 s0, -1
	s_cbranch_vccnz .LBB158_3049
; %bb.3029:
	v_cmp_gt_i16_e32 vcc_lo, 8, v9
	s_cbranch_vccnz .LBB158_3039
; %bb.3030:
	v_cmp_gt_i16_e32 vcc_lo, 9, v9
	s_cbranch_vccnz .LBB158_3036
; %bb.3031:
	v_cmp_lt_i16_e32 vcc_lo, 9, v9
	s_cbranch_vccz .LBB158_3033
; %bb.3032:
	s_waitcnt vmcnt(0)
	v_cvt_f64_f32_e32 v[3:4], v2
	v_mov_b32_e32 v5, 0
	s_mov_b32 s0, 0
	s_delay_alu instid0(VALU_DEP_1)
	v_mov_b32_e32 v6, v5
	global_store_b128 v[0:1], v[3:6], off
.LBB158_3033:
	s_and_not1_b32 vcc_lo, exec_lo, s0
	s_cbranch_vccnz .LBB158_3035
; %bb.3034:
	s_waitcnt vmcnt(0)
	v_mov_b32_e32 v3, 0
	global_store_b64 v[0:1], v[2:3], off
.LBB158_3035:
	s_mov_b32 s0, 0
.LBB158_3036:
	s_delay_alu instid0(SALU_CYCLE_1)
	s_and_not1_b32 vcc_lo, exec_lo, s0
	s_cbranch_vccnz .LBB158_3038
; %bb.3037:
	s_waitcnt vmcnt(0)
	v_cvt_f16_f32_e32 v3, v2
	s_delay_alu instid0(VALU_DEP_1)
	v_and_b32_e32 v3, 0xffff, v3
	global_store_b32 v[0:1], v3, off
.LBB158_3038:
	s_mov_b32 s0, 0
.LBB158_3039:
	s_delay_alu instid0(SALU_CYCLE_1)
	s_and_not1_b32 vcc_lo, exec_lo, s0
	s_cbranch_vccnz .LBB158_3048
; %bb.3040:
	v_cmp_gt_i16_e32 vcc_lo, 6, v9
	s_mov_b32 s0, -1
	s_cbranch_vccnz .LBB158_3046
; %bb.3041:
	v_cmp_lt_i16_e32 vcc_lo, 6, v9
	s_cbranch_vccz .LBB158_3043
; %bb.3042:
	s_waitcnt vmcnt(0)
	v_cvt_f64_f32_e32 v[3:4], v2
	s_mov_b32 s0, 0
	global_store_b64 v[0:1], v[3:4], off
.LBB158_3043:
	s_and_not1_b32 vcc_lo, exec_lo, s0
	s_cbranch_vccnz .LBB158_3045
; %bb.3044:
	s_waitcnt vmcnt(0)
	global_store_b32 v[0:1], v2, off
.LBB158_3045:
	s_mov_b32 s0, 0
.LBB158_3046:
	s_delay_alu instid0(SALU_CYCLE_1)
	s_and_not1_b32 vcc_lo, exec_lo, s0
	s_cbranch_vccnz .LBB158_3048
; %bb.3047:
	s_waitcnt vmcnt(0)
	v_cvt_f16_f32_e32 v3, v2
	global_store_b16 v[0:1], v3, off
.LBB158_3048:
	s_mov_b32 s0, 0
.LBB158_3049:
	s_delay_alu instid0(SALU_CYCLE_1)
	s_and_not1_b32 vcc_lo, exec_lo, s0
	s_cbranch_vccnz .LBB158_3065
; %bb.3050:
	v_cmp_gt_i16_e32 vcc_lo, 2, v9
	s_mov_b32 s0, -1
	s_cbranch_vccnz .LBB158_3060
; %bb.3051:
	v_cmp_gt_i16_e32 vcc_lo, 3, v9
	s_cbranch_vccnz .LBB158_3057
; %bb.3052:
	v_cmp_lt_i16_e32 vcc_lo, 3, v9
	s_cbranch_vccz .LBB158_3054
; %bb.3053:
	s_waitcnt vmcnt(0)
	v_trunc_f32_e32 v3, v2
	s_mov_b32 s0, 0
	s_delay_alu instid0(VALU_DEP_1) | instskip(SKIP_1) | instid1(VALU_DEP_2)
	v_mul_f32_e64 v4, 0x2f800000, |v3|
	v_ashrrev_i32_e32 v6, 31, v3
	v_floor_f32_e32 v4, v4
	s_delay_alu instid0(VALU_DEP_1) | instskip(SKIP_1) | instid1(VALU_DEP_2)
	v_fma_f32 v5, 0xcf800000, v4, |v3|
	v_cvt_u32_f32_e32 v4, v4
	v_cvt_u32_f32_e32 v3, v5
	s_delay_alu instid0(VALU_DEP_2) | instskip(NEXT) | instid1(VALU_DEP_2)
	v_xor_b32_e32 v4, v4, v6
	v_xor_b32_e32 v3, v3, v6
	s_delay_alu instid0(VALU_DEP_1) | instskip(NEXT) | instid1(VALU_DEP_3)
	v_sub_co_u32 v3, vcc_lo, v3, v6
	v_sub_co_ci_u32_e32 v4, vcc_lo, v4, v6, vcc_lo
	global_store_b64 v[0:1], v[3:4], off
.LBB158_3054:
	s_and_not1_b32 vcc_lo, exec_lo, s0
	s_cbranch_vccnz .LBB158_3056
; %bb.3055:
	s_waitcnt vmcnt(0)
	v_cvt_i32_f32_e32 v3, v2
	global_store_b32 v[0:1], v3, off
.LBB158_3056:
	s_mov_b32 s0, 0
.LBB158_3057:
	s_delay_alu instid0(SALU_CYCLE_1)
	s_and_not1_b32 vcc_lo, exec_lo, s0
	s_cbranch_vccnz .LBB158_3059
; %bb.3058:
	s_waitcnt vmcnt(0)
	v_cvt_i32_f32_e32 v3, v2
	global_store_b16 v[0:1], v3, off
.LBB158_3059:
	s_mov_b32 s0, 0
.LBB158_3060:
	s_delay_alu instid0(SALU_CYCLE_1)
	s_and_not1_b32 vcc_lo, exec_lo, s0
	s_cbranch_vccnz .LBB158_3065
; %bb.3061:
	v_cmp_lt_i16_e32 vcc_lo, 0, v9
	s_mov_b32 s0, -1
	s_cbranch_vccz .LBB158_3063
; %bb.3062:
	s_waitcnt vmcnt(0)
	v_cvt_i32_f32_e32 v3, v2
	s_mov_b32 s0, 0
	global_store_b8 v[0:1], v3, off
.LBB158_3063:
	s_and_not1_b32 vcc_lo, exec_lo, s0
	s_cbranch_vccnz .LBB158_3065
; %bb.3064:
	s_waitcnt vmcnt(0)
	v_trunc_f32_e32 v2, v2
	s_delay_alu instid0(VALU_DEP_1) | instskip(NEXT) | instid1(VALU_DEP_1)
	v_mul_f32_e64 v3, 0x2f800000, |v2|
	v_floor_f32_e32 v3, v3
	s_delay_alu instid0(VALU_DEP_1) | instskip(SKIP_1) | instid1(VALU_DEP_2)
	v_fma_f32 v3, 0xcf800000, v3, |v2|
	v_ashrrev_i32_e32 v2, 31, v2
	v_cvt_u32_f32_e32 v3, v3
	s_delay_alu instid0(VALU_DEP_1) | instskip(NEXT) | instid1(VALU_DEP_1)
	v_xor_b32_e32 v3, v3, v2
	v_sub_nc_u32_e32 v2, v3, v2
	global_store_b8 v[0:1], v2, off
	s_nop 0
	s_sendmsg sendmsg(MSG_DEALLOC_VGPRS)
	s_endpgm
.LBB158_3065:
	s_nop 0
	s_sendmsg sendmsg(MSG_DEALLOC_VGPRS)
	s_endpgm
.LBB158_3066:
	s_mov_b32 s1, 0
	s_mov_b32 s0, -1
	s_branch .LBB158_3022
.LBB158_3067:
	s_cbranch_execnz .LBB158_3071
; %bb.3068:
	s_or_b32 s13, s13, exec_lo
                                        ; implicit-def: $vgpr3
	s_cbranch_execz .LBB158_2536
	s_branch .LBB158_2537
.LBB158_3069:
	s_or_saveexec_b32 s6, s6
                                        ; implicit-def: $sgpr7
	s_delay_alu instid0(SALU_CYCLE_1)
	s_xor_b32 exec_lo, exec_lo, s6
	s_cbranch_execz .LBB158_2616
.LBB158_3070:
	v_add_f32_e64 v7, 0x46000000, |v6|
	s_and_not1_b32 s3, s3, exec_lo
	s_mov_b32 s7, 0
	s_delay_alu instid0(VALU_DEP_1) | instskip(NEXT) | instid1(VALU_DEP_1)
	v_and_b32_e32 v7, 0xff, v7
	v_cmp_ne_u32_e32 vcc_lo, 0, v7
	s_and_b32 s9, vcc_lo, exec_lo
	s_delay_alu instid0(SALU_CYCLE_1)
	s_or_b32 s3, s3, s9
	s_or_b32 exec_lo, exec_lo, s6
	v_mov_b32_e32 v8, s7
	s_and_saveexec_b32 s6, s3
	s_cbranch_execnz .LBB158_2617
	s_branch .LBB158_2618
.LBB158_3071:
	s_trap 2
	s_sendmsg_rtn_b32 s0, sendmsg(MSG_RTN_GET_DOORBELL)
	s_mov_b32 ttmp2, m0
	s_waitcnt lgkmcnt(0)
	s_and_b32 s0, s0, 0x3ff
	s_delay_alu instid0(SALU_CYCLE_1) | instskip(NEXT) | instid1(SALU_CYCLE_1)
	s_bitset1_b32 s0, 10
	s_mov_b32 m0, s0
	s_sendmsg sendmsg(MSG_INTERRUPT)
	s_mov_b32 m0, ttmp2
.LBB158_3072:                           ; =>This Inner Loop Header: Depth=1
	s_sethalt 5
	s_branch .LBB158_3072
.LBB158_3073:
	s_cbranch_execnz .LBB158_3079
; %bb.3074:
	s_or_b32 s13, s13, exec_lo
	s_cbranch_execz .LBB158_2664
	s_branch .LBB158_2665
.LBB158_3075:
	s_or_saveexec_b32 s3, s3
                                        ; implicit-def: $sgpr6
	s_delay_alu instid0(SALU_CYCLE_1)
	s_xor_b32 exec_lo, exec_lo, s3
	s_cbranch_execz .LBB158_2629
.LBB158_3076:
	v_add_f32_e64 v7, 0x42800000, |v6|
	s_and_not1_b32 s2, s2, exec_lo
	s_mov_b32 s6, 0
	s_delay_alu instid0(VALU_DEP_1) | instskip(NEXT) | instid1(VALU_DEP_1)
	v_and_b32_e32 v7, 0xff, v7
	v_cmp_ne_u32_e32 vcc_lo, 0, v7
	s_and_b32 s7, vcc_lo, exec_lo
	s_delay_alu instid0(SALU_CYCLE_1)
	s_or_b32 s2, s2, s7
	s_or_b32 exec_lo, exec_lo, s3
	v_mov_b32_e32 v8, s6
	s_and_saveexec_b32 s3, s2
	s_cbranch_execnz .LBB158_2630
	s_branch .LBB158_2631
.LBB158_3077:
	s_or_saveexec_b32 s7, s7
                                        ; implicit-def: $sgpr8
	s_delay_alu instid0(SALU_CYCLE_1)
	s_xor_b32 exec_lo, exec_lo, s7
	s_cbranch_execz .LBB158_2735
.LBB158_3078:
	v_add_f32_e64 v5, 0x46000000, |v4|
	s_and_not1_b32 s6, s6, exec_lo
	s_mov_b32 s8, 0
	s_delay_alu instid0(VALU_DEP_1) | instskip(NEXT) | instid1(VALU_DEP_1)
	v_and_b32_e32 v5, 0xff, v5
	v_cmp_ne_u32_e32 vcc_lo, 0, v5
	s_and_b32 s9, vcc_lo, exec_lo
	s_delay_alu instid0(SALU_CYCLE_1)
	s_or_b32 s6, s6, s9
	s_or_b32 exec_lo, exec_lo, s7
	v_mov_b32_e32 v7, s8
	s_and_saveexec_b32 s7, s6
	s_cbranch_execnz .LBB158_2736
	s_branch .LBB158_2737
.LBB158_3079:
	s_trap 2
	s_sendmsg_rtn_b32 s0, sendmsg(MSG_RTN_GET_DOORBELL)
	s_mov_b32 ttmp2, m0
	s_waitcnt lgkmcnt(0)
	s_and_b32 s0, s0, 0x3ff
	s_delay_alu instid0(SALU_CYCLE_1) | instskip(NEXT) | instid1(SALU_CYCLE_1)
	s_bitset1_b32 s0, 10
	s_mov_b32 m0, s0
	s_sendmsg sendmsg(MSG_INTERRUPT)
	s_mov_b32 m0, ttmp2
.LBB158_3080:                           ; =>This Inner Loop Header: Depth=1
	s_sethalt 5
	s_branch .LBB158_3080
.LBB158_3081:
	s_cbranch_execnz .LBB158_3087
; %bb.3082:
	s_or_b32 s13, s13, exec_lo
	s_cbranch_execz .LBB158_2783
	s_branch .LBB158_2784
.LBB158_3083:
	s_or_saveexec_b32 s6, s6
                                        ; implicit-def: $sgpr7
	s_delay_alu instid0(SALU_CYCLE_1)
	s_xor_b32 exec_lo, exec_lo, s6
	s_cbranch_execz .LBB158_2748
.LBB158_3084:
	v_add_f32_e64 v5, 0x42800000, |v4|
	s_and_not1_b32 s3, s3, exec_lo
	s_mov_b32 s7, 0
	s_delay_alu instid0(VALU_DEP_1) | instskip(NEXT) | instid1(VALU_DEP_1)
	v_and_b32_e32 v5, 0xff, v5
	v_cmp_ne_u32_e32 vcc_lo, 0, v5
	s_and_b32 s8, vcc_lo, exec_lo
	s_delay_alu instid0(SALU_CYCLE_1)
	s_or_b32 s3, s3, s8
	s_or_b32 exec_lo, exec_lo, s6
	v_mov_b32_e32 v7, s7
	s_and_saveexec_b32 s6, s3
	s_cbranch_execnz .LBB158_2749
	s_branch .LBB158_2750
.LBB158_3085:
	s_or_saveexec_b32 s7, s7
                                        ; implicit-def: $sgpr8
	s_delay_alu instid0(SALU_CYCLE_1)
	s_xor_b32 exec_lo, exec_lo, s7
	s_cbranch_execz .LBB158_2854
.LBB158_3086:
	v_add_f32_e64 v5, 0x46000000, |v4|
	s_and_not1_b32 s6, s6, exec_lo
	s_mov_b32 s8, 0
	s_delay_alu instid0(VALU_DEP_1) | instskip(NEXT) | instid1(VALU_DEP_1)
	v_and_b32_e32 v5, 0xff, v5
	v_cmp_ne_u32_e32 vcc_lo, 0, v5
	s_and_b32 s9, vcc_lo, exec_lo
	s_delay_alu instid0(SALU_CYCLE_1)
	s_or_b32 s6, s6, s9
	s_or_b32 exec_lo, exec_lo, s7
	v_mov_b32_e32 v6, s8
	s_and_saveexec_b32 s7, s6
	s_cbranch_execnz .LBB158_2855
	s_branch .LBB158_2856
.LBB158_3087:
	s_trap 2
	s_sendmsg_rtn_b32 s0, sendmsg(MSG_RTN_GET_DOORBELL)
	s_mov_b32 ttmp2, m0
	s_waitcnt lgkmcnt(0)
	s_and_b32 s0, s0, 0x3ff
	s_delay_alu instid0(SALU_CYCLE_1) | instskip(NEXT) | instid1(SALU_CYCLE_1)
	s_bitset1_b32 s0, 10
	s_mov_b32 m0, s0
	s_sendmsg sendmsg(MSG_INTERRUPT)
	s_mov_b32 m0, ttmp2
.LBB158_3088:                           ; =>This Inner Loop Header: Depth=1
	s_sethalt 5
	s_branch .LBB158_3088
.LBB158_3089:
	s_cbranch_execnz .LBB158_3095
; %bb.3090:
	s_or_b32 s13, s13, exec_lo
	s_cbranch_execz .LBB158_2902
	s_branch .LBB158_2903
.LBB158_3091:
	s_or_saveexec_b32 s6, s6
                                        ; implicit-def: $sgpr7
	s_delay_alu instid0(SALU_CYCLE_1)
	s_xor_b32 exec_lo, exec_lo, s6
	s_cbranch_execz .LBB158_2867
.LBB158_3092:
	v_add_f32_e64 v5, 0x42800000, |v4|
	s_and_not1_b32 s3, s3, exec_lo
	s_mov_b32 s7, 0
	s_delay_alu instid0(VALU_DEP_1) | instskip(NEXT) | instid1(VALU_DEP_1)
	v_and_b32_e32 v5, 0xff, v5
	v_cmp_ne_u32_e32 vcc_lo, 0, v5
	s_and_b32 s8, vcc_lo, exec_lo
	s_delay_alu instid0(SALU_CYCLE_1)
	s_or_b32 s3, s3, s8
	s_or_b32 exec_lo, exec_lo, s6
	v_mov_b32_e32 v6, s7
	s_and_saveexec_b32 s6, s3
	s_cbranch_execnz .LBB158_2868
	s_branch .LBB158_2869
.LBB158_3093:
	s_or_saveexec_b32 s4, s4
                                        ; implicit-def: $sgpr5
	s_delay_alu instid0(SALU_CYCLE_1)
	s_xor_b32 exec_lo, exec_lo, s4
	s_cbranch_execz .LBB158_2974
.LBB158_3094:
	v_add_f32_e64 v3, 0x46000000, |v2|
	s_and_not1_b32 s3, s3, exec_lo
	s_mov_b32 s5, 0
	s_delay_alu instid0(VALU_DEP_1) | instskip(NEXT) | instid1(VALU_DEP_1)
	v_and_b32_e32 v3, 0xff, v3
	v_cmp_ne_u32_e32 vcc_lo, 0, v3
	s_and_b32 s6, vcc_lo, exec_lo
	s_delay_alu instid0(SALU_CYCLE_1)
	s_or_b32 s3, s3, s6
	s_or_b32 exec_lo, exec_lo, s4
	v_mov_b32_e32 v4, s5
	s_and_saveexec_b32 s4, s3
	s_cbranch_execnz .LBB158_2975
	s_branch .LBB158_2976
.LBB158_3095:
	s_trap 2
	s_sendmsg_rtn_b32 s0, sendmsg(MSG_RTN_GET_DOORBELL)
	s_mov_b32 ttmp2, m0
	s_waitcnt lgkmcnt(0)
	s_and_b32 s0, s0, 0x3ff
	s_delay_alu instid0(SALU_CYCLE_1) | instskip(NEXT) | instid1(SALU_CYCLE_1)
	s_bitset1_b32 s0, 10
	s_mov_b32 m0, s0
	s_sendmsg sendmsg(MSG_INTERRUPT)
	s_mov_b32 m0, ttmp2
.LBB158_3096:                           ; =>This Inner Loop Header: Depth=1
	s_sethalt 5
	s_branch .LBB158_3096
.LBB158_3097:
	s_cbranch_execnz .LBB158_3101
; %bb.3098:
	s_mov_b32 s1, 0
	s_or_b32 s13, s13, exec_lo
	s_branch .LBB158_3020
.LBB158_3099:
	s_or_saveexec_b32 s3, s3
                                        ; implicit-def: $sgpr4
	s_delay_alu instid0(SALU_CYCLE_1)
	s_xor_b32 exec_lo, exec_lo, s3
	s_cbranch_execz .LBB158_2986
.LBB158_3100:
	v_add_f32_e64 v3, 0x42800000, |v2|
	s_and_not1_b32 s2, s2, exec_lo
	s_mov_b32 s4, 0
	s_delay_alu instid0(VALU_DEP_1) | instskip(NEXT) | instid1(VALU_DEP_1)
	v_and_b32_e32 v3, 0xff, v3
	v_cmp_ne_u32_e32 vcc_lo, 0, v3
	s_and_b32 s5, vcc_lo, exec_lo
	s_delay_alu instid0(SALU_CYCLE_1)
	s_or_b32 s2, s2, s5
	s_or_b32 exec_lo, exec_lo, s3
	v_mov_b32_e32 v4, s4
	s_and_saveexec_b32 s3, s2
	s_cbranch_execnz .LBB158_2987
	s_branch .LBB158_2988
.LBB158_3101:
	s_trap 2
	s_sendmsg_rtn_b32 s0, sendmsg(MSG_RTN_GET_DOORBELL)
	s_mov_b32 ttmp2, m0
	s_waitcnt lgkmcnt(0)
	s_and_b32 s0, s0, 0x3ff
	s_delay_alu instid0(SALU_CYCLE_1) | instskip(NEXT) | instid1(SALU_CYCLE_1)
	s_bitset1_b32 s0, 10
	s_mov_b32 m0, s0
	s_sendmsg sendmsg(MSG_INTERRUPT)
	s_mov_b32 m0, ttmp2
.LBB158_3102:                           ; =>This Inner Loop Header: Depth=1
	s_sethalt 5
	s_branch .LBB158_3102
	.section	.rodata,"a",@progbits
	.p2align	6, 0x0
	.amdhsa_kernel _ZN2at6native32elementwise_kernel_manual_unrollILi128ELi4EZNS0_15gpu_kernel_implIZNS0_12_GLOBAL__N_119masked_scale_kernelIhffEEvRNS_6TensorERKS5_S8_T1_EUlfhE_EEvRNS_18TensorIteratorBaseERKT_EUlibE_EEviS9_
		.amdhsa_group_segment_fixed_size 0
		.amdhsa_private_segment_fixed_size 0
		.amdhsa_kernarg_size 56
		.amdhsa_user_sgpr_count 15
		.amdhsa_user_sgpr_dispatch_ptr 0
		.amdhsa_user_sgpr_queue_ptr 0
		.amdhsa_user_sgpr_kernarg_segment_ptr 1
		.amdhsa_user_sgpr_dispatch_id 0
		.amdhsa_user_sgpr_private_segment_size 0
		.amdhsa_wavefront_size32 1
		.amdhsa_uses_dynamic_stack 0
		.amdhsa_enable_private_segment 0
		.amdhsa_system_sgpr_workgroup_id_x 1
		.amdhsa_system_sgpr_workgroup_id_y 0
		.amdhsa_system_sgpr_workgroup_id_z 0
		.amdhsa_system_sgpr_workgroup_info 0
		.amdhsa_system_vgpr_workitem_id 0
		.amdhsa_next_free_vgpr 17
		.amdhsa_next_free_sgpr 35
		.amdhsa_reserve_vcc 1
		.amdhsa_float_round_mode_32 0
		.amdhsa_float_round_mode_16_64 0
		.amdhsa_float_denorm_mode_32 3
		.amdhsa_float_denorm_mode_16_64 3
		.amdhsa_dx10_clamp 1
		.amdhsa_ieee_mode 1
		.amdhsa_fp16_overflow 0
		.amdhsa_workgroup_processor_mode 1
		.amdhsa_memory_ordered 1
		.amdhsa_forward_progress 0
		.amdhsa_shared_vgpr_count 0
		.amdhsa_exception_fp_ieee_invalid_op 0
		.amdhsa_exception_fp_denorm_src 0
		.amdhsa_exception_fp_ieee_div_zero 0
		.amdhsa_exception_fp_ieee_overflow 0
		.amdhsa_exception_fp_ieee_underflow 0
		.amdhsa_exception_fp_ieee_inexact 0
		.amdhsa_exception_int_div_zero 0
	.end_amdhsa_kernel
	.section	.text._ZN2at6native32elementwise_kernel_manual_unrollILi128ELi4EZNS0_15gpu_kernel_implIZNS0_12_GLOBAL__N_119masked_scale_kernelIhffEEvRNS_6TensorERKS5_S8_T1_EUlfhE_EEvRNS_18TensorIteratorBaseERKT_EUlibE_EEviS9_,"axG",@progbits,_ZN2at6native32elementwise_kernel_manual_unrollILi128ELi4EZNS0_15gpu_kernel_implIZNS0_12_GLOBAL__N_119masked_scale_kernelIhffEEvRNS_6TensorERKS5_S8_T1_EUlfhE_EEvRNS_18TensorIteratorBaseERKT_EUlibE_EEviS9_,comdat
.Lfunc_end158:
	.size	_ZN2at6native32elementwise_kernel_manual_unrollILi128ELi4EZNS0_15gpu_kernel_implIZNS0_12_GLOBAL__N_119masked_scale_kernelIhffEEvRNS_6TensorERKS5_S8_T1_EUlfhE_EEvRNS_18TensorIteratorBaseERKT_EUlibE_EEviS9_, .Lfunc_end158-_ZN2at6native32elementwise_kernel_manual_unrollILi128ELi4EZNS0_15gpu_kernel_implIZNS0_12_GLOBAL__N_119masked_scale_kernelIhffEEvRNS_6TensorERKS5_S8_T1_EUlfhE_EEvRNS_18TensorIteratorBaseERKT_EUlibE_EEviS9_
                                        ; -- End function
	.section	.AMDGPU.csdata,"",@progbits
; Kernel info:
; codeLenInByte = 56436
; NumSgprs: 37
; NumVgprs: 17
; ScratchSize: 0
; MemoryBound: 1
; FloatMode: 240
; IeeeMode: 1
; LDSByteSize: 0 bytes/workgroup (compile time only)
; SGPRBlocks: 4
; VGPRBlocks: 2
; NumSGPRsForWavesPerEU: 37
; NumVGPRsForWavesPerEU: 17
; Occupancy: 16
; WaveLimiterHint : 0
; COMPUTE_PGM_RSRC2:SCRATCH_EN: 0
; COMPUTE_PGM_RSRC2:USER_SGPR: 15
; COMPUTE_PGM_RSRC2:TRAP_HANDLER: 0
; COMPUTE_PGM_RSRC2:TGID_X_EN: 1
; COMPUTE_PGM_RSRC2:TGID_Y_EN: 0
; COMPUTE_PGM_RSRC2:TGID_Z_EN: 0
; COMPUTE_PGM_RSRC2:TIDIG_COMP_CNT: 0
	.section	.text._ZN2at6native32elementwise_kernel_manual_unrollILi128ELi4EZNS0_15gpu_kernel_implIZNS0_12_GLOBAL__N_119masked_scale_kernelIhffEEvRNS_6TensorERKS5_S8_T1_EUlfhE_EEvRNS_18TensorIteratorBaseERKT_EUlibE0_EEviS9_,"axG",@progbits,_ZN2at6native32elementwise_kernel_manual_unrollILi128ELi4EZNS0_15gpu_kernel_implIZNS0_12_GLOBAL__N_119masked_scale_kernelIhffEEvRNS_6TensorERKS5_S8_T1_EUlfhE_EEvRNS_18TensorIteratorBaseERKT_EUlibE0_EEviS9_,comdat
	.globl	_ZN2at6native32elementwise_kernel_manual_unrollILi128ELi4EZNS0_15gpu_kernel_implIZNS0_12_GLOBAL__N_119masked_scale_kernelIhffEEvRNS_6TensorERKS5_S8_T1_EUlfhE_EEvRNS_18TensorIteratorBaseERKT_EUlibE0_EEviS9_ ; -- Begin function _ZN2at6native32elementwise_kernel_manual_unrollILi128ELi4EZNS0_15gpu_kernel_implIZNS0_12_GLOBAL__N_119masked_scale_kernelIhffEEvRNS_6TensorERKS5_S8_T1_EUlfhE_EEvRNS_18TensorIteratorBaseERKT_EUlibE0_EEviS9_
	.p2align	8
	.type	_ZN2at6native32elementwise_kernel_manual_unrollILi128ELi4EZNS0_15gpu_kernel_implIZNS0_12_GLOBAL__N_119masked_scale_kernelIhffEEvRNS_6TensorERKS5_S8_T1_EUlfhE_EEvRNS_18TensorIteratorBaseERKT_EUlibE0_EEviS9_,@function
_ZN2at6native32elementwise_kernel_manual_unrollILi128ELi4EZNS0_15gpu_kernel_implIZNS0_12_GLOBAL__N_119masked_scale_kernelIhffEEvRNS_6TensorERKS5_S8_T1_EUlfhE_EEvRNS_18TensorIteratorBaseERKT_EUlibE0_EEviS9_: ; @_ZN2at6native32elementwise_kernel_manual_unrollILi128ELi4EZNS0_15gpu_kernel_implIZNS0_12_GLOBAL__N_119masked_scale_kernelIhffEEvRNS_6TensorERKS5_S8_T1_EUlfhE_EEvRNS_18TensorIteratorBaseERKT_EUlibE0_EEviS9_
; %bb.0:
	s_clause 0x1
	s_load_b32 s26, s[0:1], 0x8
	s_load_b32 s36, s[0:1], 0x0
	v_lshl_or_b32 v7, s15, 9, v0
	s_or_b32 s20, s0, 8
	s_mov_b32 s2, -1
	s_mov_b32 s28, 0
	s_mov_b32 s21, s1
	v_or_b32_e32 v12, 0x180, v7
	s_mov_b32 s8, 0
	s_mov_b32 s3, exec_lo
	s_waitcnt lgkmcnt(0)
	s_add_i32 s27, s26, -1
	s_delay_alu instid0(SALU_CYCLE_1)
	s_cmp_gt_u32 s27, 1
	s_cselect_b32 s29, -1, 0
	v_cmpx_le_i32_e64 s36, v12
	s_xor_b32 s30, exec_lo, s3
	s_cbranch_execz .LBB159_1566
; %bb.1:
	s_clause 0x4
	s_load_b256 s[4:11], s[20:21], 0x188
	s_load_b128 s[16:19], s[20:21], 0x4
	s_load_b64 s[24:25], s[20:21], 0x14
	s_load_b128 s[12:15], s[20:21], 0xc4
	s_load_b64 s[22:23], s[20:21], 0xd4
	s_cmp_lg_u32 s26, 0
	s_mov_b32 s42, 0
	s_cselect_b32 s37, -1, 0
	s_min_u32 s35, s27, 15
	s_cmp_gt_u32 s26, 1
	s_mov_b32 s40, 0
	s_mov_b32 s39, 0
	s_cselect_b32 s34, -1, 0
	s_mov_b32 s38, 0
	s_mov_b32 s41, exec_lo
	s_waitcnt lgkmcnt(0)
	s_lshr_b32 s33, s11, 8
	s_lshr_b32 s31, s11, 16
	v_cmpx_gt_i32_e64 s36, v7
	s_cbranch_execz .LBB159_385
; %bb.2:
	s_and_not1_b32 vcc_lo, exec_lo, s29
	s_cbranch_vccnz .LBB159_8
; %bb.3:
	v_dual_mov_b32 v0, 0 :: v_dual_mov_b32 v1, 0
	v_mov_b32_e32 v2, 0
	s_and_not1_b32 vcc_lo, exec_lo, s37
	s_cbranch_vccnz .LBB159_9
; %bb.4:
	s_add_i32 s2, s35, 1
	v_dual_mov_b32 v1, 0 :: v_dual_mov_b32 v2, 0
	v_dual_mov_b32 v0, 0 :: v_dual_mov_b32 v3, v7
	s_and_b32 s39, s2, 30
	s_add_u32 s2, s20, 0xffffffec
	s_addc_u32 s3, s21, -1
	s_set_inst_prefetch_distance 0x1
	.p2align	6
.LBB159_5:                              ; =>This Inner Loop Header: Depth=1
	s_clause 0x2
	s_load_b128 s[44:47], s[2:3], 0x18
	s_load_b64 s[52:53], s[2:3], 0x28
	s_load_b128 s[48:51], s[2:3], 0xd8
	s_waitcnt lgkmcnt(0)
	v_mul_hi_u32 v4, s45, v3
	s_delay_alu instid0(VALU_DEP_1) | instskip(NEXT) | instid1(VALU_DEP_1)
	v_add_nc_u32_e32 v4, v3, v4
	v_lshrrev_b32_e32 v4, s46, v4
	s_delay_alu instid0(VALU_DEP_1)
	v_mul_hi_u32 v5, s52, v4
	v_mul_lo_u32 v6, v4, s44
	s_load_b64 s[44:45], s[2:3], 0xe8
	s_add_u32 s2, s2, 24
	s_addc_u32 s3, s3, 0
	s_add_i32 s39, s39, -2
	s_delay_alu instid0(SALU_CYCLE_1) | instskip(NEXT) | instid1(VALU_DEP_2)
	s_cmp_lg_u32 s39, 0
	v_add_nc_u32_e32 v5, v4, v5
	s_delay_alu instid0(VALU_DEP_2) | instskip(NEXT) | instid1(VALU_DEP_2)
	v_sub_nc_u32_e32 v6, v3, v6
	v_lshrrev_b32_e32 v3, s53, v5
	s_delay_alu instid0(VALU_DEP_2) | instskip(NEXT) | instid1(VALU_DEP_2)
	v_mul_lo_u32 v8, v6, s48
	v_mul_lo_u32 v5, v3, s47
	s_delay_alu instid0(VALU_DEP_1) | instskip(SKIP_2) | instid1(VALU_DEP_3)
	v_sub_nc_u32_e32 v4, v4, v5
	v_mul_lo_u32 v5, v6, s49
	v_mul_lo_u32 v6, v6, s50
	;; [unrolled: 1-line block ×3, first 2 shown]
	s_waitcnt lgkmcnt(0)
	v_mul_lo_u32 v10, v4, s44
	v_mul_lo_u32 v4, v4, s45
	s_delay_alu instid0(VALU_DEP_3) | instskip(NEXT) | instid1(VALU_DEP_3)
	v_add3_u32 v0, v8, v0, v9
	v_add3_u32 v2, v5, v2, v10
	s_delay_alu instid0(VALU_DEP_3)
	v_add3_u32 v1, v6, v1, v4
	s_cbranch_scc1 .LBB159_5
; %bb.6:
	s_set_inst_prefetch_distance 0x2
	s_bitcmp1_b32 s35, 0
	s_cselect_b32 s39, -1, 0
	s_delay_alu instid0(SALU_CYCLE_1)
	s_and_b32 vcc_lo, exec_lo, s39
	s_cbranch_vccnz .LBB159_9
; %bb.7:
	s_clause 0x3
	s_load_b64 s[44:45], s[2:3], 0x18
	s_load_b32 s39, s[2:3], 0x20
	s_load_b64 s[46:47], s[2:3], 0xd8
	s_load_b32 s2, s[2:3], 0xe0
	s_waitcnt lgkmcnt(0)
	v_mul_hi_u32 v4, s45, v3
	s_delay_alu instid0(VALU_DEP_1) | instskip(NEXT) | instid1(VALU_DEP_1)
	v_add_nc_u32_e32 v4, v3, v4
	v_lshrrev_b32_e32 v4, s39, v4
	s_delay_alu instid0(VALU_DEP_1) | instskip(NEXT) | instid1(VALU_DEP_1)
	v_mul_lo_u32 v4, v4, s44
	v_sub_nc_u32_e32 v8, v3, v4
	s_delay_alu instid0(VALU_DEP_1) | instskip(NEXT) | instid1(VALU_DEP_1)
	v_mad_u64_u32 v[3:4], null, v8, s46, v[0:1]
	v_mad_u64_u32 v[4:5], null, v8, s47, v[2:3]
	;; [unrolled: 1-line block ×3, first 2 shown]
	v_mov_b32_e32 v0, v3
	s_delay_alu instid0(VALU_DEP_2)
	v_dual_mov_b32 v2, v4 :: v_dual_mov_b32 v1, v5
	s_branch .LBB159_9
.LBB159_8:
	s_mov_b32 s38, -1
                                        ; implicit-def: $vgpr0
                                        ; implicit-def: $vgpr2
                                        ; implicit-def: $vgpr1
.LBB159_9:
	s_delay_alu instid0(SALU_CYCLE_1)
	s_and_not1_b32 vcc_lo, exec_lo, s38
	s_cbranch_vccnz .LBB159_12
; %bb.10:
	v_mul_hi_u32 v0, s17, v7
	s_and_not1_b32 vcc_lo, exec_lo, s34
	s_delay_alu instid0(VALU_DEP_1) | instskip(NEXT) | instid1(VALU_DEP_1)
	v_add_nc_u32_e32 v0, v7, v0
	v_lshrrev_b32_e32 v3, s18, v0
	s_delay_alu instid0(VALU_DEP_1) | instskip(NEXT) | instid1(VALU_DEP_1)
	v_mul_lo_u32 v0, v3, s16
	v_sub_nc_u32_e32 v1, v7, v0
	s_delay_alu instid0(VALU_DEP_1)
	v_mul_lo_u32 v0, v1, s12
	v_mul_lo_u32 v2, v1, s13
	;; [unrolled: 1-line block ×3, first 2 shown]
	s_cbranch_vccnz .LBB159_12
; %bb.11:
	v_mul_hi_u32 v4, s24, v3
	s_delay_alu instid0(VALU_DEP_1) | instskip(NEXT) | instid1(VALU_DEP_1)
	v_add_nc_u32_e32 v4, v3, v4
	v_lshrrev_b32_e32 v4, s25, v4
	s_delay_alu instid0(VALU_DEP_1) | instskip(NEXT) | instid1(VALU_DEP_1)
	v_mul_lo_u32 v4, v4, s19
	v_sub_nc_u32_e32 v8, v3, v4
	s_delay_alu instid0(VALU_DEP_1) | instskip(NEXT) | instid1(VALU_DEP_1)
	v_mad_u64_u32 v[3:4], null, v8, s15, v[0:1]
	v_mad_u64_u32 v[4:5], null, v8, s22, v[2:3]
	;; [unrolled: 1-line block ×3, first 2 shown]
	v_mov_b32_e32 v0, v3
	s_delay_alu instid0(VALU_DEP_2)
	v_dual_mov_b32 v2, v4 :: v_dual_mov_b32 v1, v5
.LBB159_12:
	v_and_b32_e64 v4, 0xff, s33
	s_delay_alu instid0(VALU_DEP_2) | instskip(NEXT) | instid1(VALU_DEP_1)
	v_add_co_u32 v2, s2, s6, v2
	v_add_co_ci_u32_e64 v3, null, s7, 0, s2
	s_delay_alu instid0(VALU_DEP_3)
	v_cmp_gt_i16_e32 vcc_lo, 11, v4
	s_mov_b32 s3, 0
	s_cbranch_vccnz .LBB159_19
; %bb.13:
	v_cmp_lt_i16_e32 vcc_lo, 25, v4
	s_cbranch_vccz .LBB159_28
; %bb.14:
	v_cmp_lt_i16_e32 vcc_lo, 28, v4
	s_cbranch_vccz .LBB159_148
	;; [unrolled: 3-line block ×4, first 2 shown]
; %bb.17:
	v_cmp_eq_u16_e32 vcc_lo, 46, v4
	s_mov_b32 s38, 0
	s_cbranch_vccz .LBB159_154
; %bb.18:
	global_load_b32 v5, v[2:3], off
	s_mov_b32 s2, -1
	s_waitcnt vmcnt(0)
	v_lshlrev_b32_e32 v5, 16, v5
	s_branch .LBB159_156
.LBB159_19:
	s_mov_b32 s2, 0
                                        ; implicit-def: $vgpr5
	s_cbranch_execnz .LBB159_221
.LBB159_20:
	s_and_not1_b32 vcc_lo, exec_lo, s2
	s_cbranch_vccnz .LBB159_268
.LBB159_21:
	v_and_b32_e64 v6, 0xff, s31
	v_add_co_u32 v1, s2, s8, v1
	s_delay_alu instid0(VALU_DEP_1) | instskip(NEXT) | instid1(VALU_DEP_3)
	v_add_co_ci_u32_e64 v2, null, s9, 0, s2
	v_cmp_gt_i16_e32 vcc_lo, 11, v6
	s_mov_b32 s39, 0
	s_cbranch_vccnz .LBB159_29
; %bb.22:
	v_cmp_lt_i16_e32 vcc_lo, 25, v6
	s_cbranch_vccz .LBB159_149
; %bb.23:
	v_cmp_lt_i16_e32 vcc_lo, 28, v6
	s_cbranch_vccz .LBB159_151
	;; [unrolled: 3-line block ×4, first 2 shown]
; %bb.26:
	v_cmp_eq_u16_e32 vcc_lo, 46, v6
	s_mov_b32 s38, 0
	s_cbranch_vccz .LBB159_269
; %bb.27:
	global_load_b32 v3, v[1:2], off
	s_mov_b32 s2, -1
	s_waitcnt vmcnt(0)
	v_lshlrev_b32_e32 v3, 16, v3
	s_delay_alu instid0(VALU_DEP_1) | instskip(NEXT) | instid1(VALU_DEP_1)
	v_trunc_f32_e32 v3, v3
	v_mul_f32_e64 v4, 0x2f800000, |v3|
	s_delay_alu instid0(VALU_DEP_1) | instskip(NEXT) | instid1(VALU_DEP_1)
	v_floor_f32_e32 v4, v4
	v_fma_f32 v4, 0xcf800000, v4, |v3|
	v_ashrrev_i32_e32 v3, 31, v3
	s_delay_alu instid0(VALU_DEP_2) | instskip(NEXT) | instid1(VALU_DEP_1)
	v_cvt_u32_f32_e32 v4, v4
	v_xor_b32_e32 v4, v4, v3
	s_delay_alu instid0(VALU_DEP_1)
	v_sub_nc_u32_e32 v3, v4, v3
	s_branch .LBB159_271
.LBB159_28:
	s_mov_b32 s2, 0
                                        ; implicit-def: $vgpr5
	s_cbranch_execnz .LBB159_186
	s_branch .LBB159_220
.LBB159_29:
	s_mov_b32 s2, 0
                                        ; implicit-def: $vgpr3
	s_cbranch_execnz .LBB159_334
.LBB159_30:
	s_and_not1_b32 vcc_lo, exec_lo, s2
	s_cbranch_vccnz .LBB159_382
.LBB159_31:
	s_waitcnt vmcnt(0)
	s_delay_alu instid0(VALU_DEP_1) | instskip(SKIP_3) | instid1(VALU_DEP_3)
	v_cvt_f32_ubyte0_e32 v1, v3
	v_and_b32_e64 v4, 0xff, s11
	v_add_co_u32 v0, s38, s4, v0
	s_mov_b32 s2, 0
	v_mul_f32_e32 v2, v5, v1
	s_delay_alu instid0(VALU_DEP_3) | instskip(SKIP_2) | instid1(VALU_DEP_3)
	v_cmp_gt_i16_e32 vcc_lo, 11, v4
	v_add_co_ci_u32_e64 v1, null, s5, 0, s38
	s_mov_b32 s40, -1
	v_mul_f32_e32 v2, s10, v2
	s_mov_b32 s38, 0
	s_cbranch_vccnz .LBB159_108
; %bb.32:
	v_cmp_lt_i16_e32 vcc_lo, 25, v4
	s_cbranch_vccz .LBB159_65
; %bb.33:
	v_cmp_lt_i16_e32 vcc_lo, 28, v4
	s_cbranch_vccz .LBB159_48
	;; [unrolled: 3-line block ×4, first 2 shown]
; %bb.36:
	v_cmp_eq_u16_e32 vcc_lo, 46, v4
	s_mov_b32 s40, 0
	s_mov_b32 s2, -1
	s_cbranch_vccz .LBB159_38
; %bb.37:
	v_bfe_u32 v3, v2, 16, 1
	v_cmp_o_f32_e32 vcc_lo, v2, v2
	s_mov_b32 s38, -1
	s_mov_b32 s2, 0
	s_delay_alu instid0(VALU_DEP_2) | instskip(NEXT) | instid1(VALU_DEP_1)
	v_add3_u32 v3, v2, v3, 0x7fff
	v_lshrrev_b32_e32 v3, 16, v3
	s_delay_alu instid0(VALU_DEP_1)
	v_cndmask_b32_e32 v3, 0x7fc0, v3, vcc_lo
	global_store_b32 v[0:1], v3, off
.LBB159_38:
	s_and_b32 vcc_lo, exec_lo, s40
	s_cbranch_vccz .LBB159_43
; %bb.39:
	v_cmp_eq_u16_e32 vcc_lo, 44, v4
	s_mov_b32 s2, -1
	s_cbranch_vccz .LBB159_43
; %bb.40:
	v_bfe_u32 v5, v2, 23, 8
	v_mov_b32_e32 v3, 0xff
	s_mov_b32 s38, exec_lo
	s_delay_alu instid0(VALU_DEP_2)
	v_cmpx_ne_u32_e32 0xff, v5
; %bb.41:
	v_and_b32_e32 v3, 0x400000, v2
	v_and_or_b32 v5, 0x3fffff, v2, v5
	s_delay_alu instid0(VALU_DEP_2) | instskip(NEXT) | instid1(VALU_DEP_2)
	v_cmp_ne_u32_e32 vcc_lo, 0, v3
	v_cmp_ne_u32_e64 s2, 0, v5
	v_lshrrev_b32_e32 v3, 23, v2
	s_delay_alu instid0(VALU_DEP_2) | instskip(NEXT) | instid1(SALU_CYCLE_1)
	s_and_b32 s2, vcc_lo, s2
	v_cndmask_b32_e64 v5, 0, 1, s2
	s_delay_alu instid0(VALU_DEP_1)
	v_add_nc_u32_e32 v3, v3, v5
; %bb.42:
	s_or_b32 exec_lo, exec_lo, s38
	s_mov_b32 s38, -1
	s_mov_b32 s2, 0
	global_store_b8 v[0:1], v3, off
.LBB159_43:
	s_mov_b32 s40, 0
.LBB159_44:
	s_delay_alu instid0(SALU_CYCLE_1)
	s_and_b32 vcc_lo, exec_lo, s40
	s_cbranch_vccz .LBB159_47
; %bb.45:
	v_cmp_eq_u16_e32 vcc_lo, 29, v4
	s_mov_b32 s2, -1
	s_cbranch_vccz .LBB159_47
; %bb.46:
	v_trunc_f32_e32 v3, v2
	s_mov_b32 s38, -1
	s_mov_b32 s2, 0
	s_delay_alu instid0(VALU_DEP_1) | instskip(NEXT) | instid1(VALU_DEP_1)
	v_mul_f32_e32 v5, 0x2f800000, v3
	v_floor_f32_e32 v5, v5
	s_delay_alu instid0(VALU_DEP_1) | instskip(SKIP_1) | instid1(VALU_DEP_2)
	v_fmamk_f32 v3, v5, 0xcf800000, v3
	v_cvt_u32_f32_e32 v6, v5
	v_cvt_u32_f32_e32 v5, v3
	global_store_b64 v[0:1], v[5:6], off
.LBB159_47:
	s_mov_b32 s40, 0
.LBB159_48:
	s_delay_alu instid0(SALU_CYCLE_1)
	s_and_b32 vcc_lo, exec_lo, s40
	s_cbranch_vccz .LBB159_64
; %bb.49:
	v_cmp_gt_i16_e32 vcc_lo, 27, v4
	s_mov_b32 s38, -1
	s_cbranch_vccnz .LBB159_55
; %bb.50:
	v_cmp_lt_i16_e32 vcc_lo, 27, v4
	s_cbranch_vccz .LBB159_52
; %bb.51:
	v_cvt_u32_f32_e32 v3, v2
	s_mov_b32 s38, 0
	global_store_b32 v[0:1], v3, off
.LBB159_52:
	s_and_not1_b32 vcc_lo, exec_lo, s38
	s_cbranch_vccnz .LBB159_54
; %bb.53:
	v_cvt_u32_f32_e32 v3, v2
	global_store_b16 v[0:1], v3, off
.LBB159_54:
	s_mov_b32 s38, 0
.LBB159_55:
	s_delay_alu instid0(SALU_CYCLE_1)
	s_and_not1_b32 vcc_lo, exec_lo, s38
	s_cbranch_vccnz .LBB159_63
; %bb.56:
	v_and_b32_e32 v3, 0x7fffffff, v2
	v_mov_b32_e32 v5, 0x80
	s_mov_b32 s38, exec_lo
	s_delay_alu instid0(VALU_DEP_2)
	v_cmpx_gt_u32_e32 0x43800000, v3
	s_cbranch_execz .LBB159_62
; %bb.57:
	v_cmp_lt_u32_e32 vcc_lo, 0x3bffffff, v3
	s_mov_b32 s40, 0
                                        ; implicit-def: $vgpr3
	s_and_saveexec_b32 s43, vcc_lo
	s_delay_alu instid0(SALU_CYCLE_1)
	s_xor_b32 s43, exec_lo, s43
	s_cbranch_execz .LBB159_274
; %bb.58:
	v_bfe_u32 v3, v2, 20, 1
	s_mov_b32 s40, exec_lo
	s_delay_alu instid0(VALU_DEP_1) | instskip(NEXT) | instid1(VALU_DEP_1)
	v_add3_u32 v3, v2, v3, 0x487ffff
	v_lshrrev_b32_e32 v3, 20, v3
	s_or_saveexec_b32 s43, s43
                                        ; implicit-def: $sgpr44
	s_delay_alu instid0(SALU_CYCLE_1)
	s_xor_b32 exec_lo, exec_lo, s43
	s_cbranch_execnz .LBB159_275
.LBB159_59:
	s_or_b32 exec_lo, exec_lo, s43
	v_mov_b32_e32 v5, s44
	s_and_saveexec_b32 s43, s40
.LBB159_60:
	v_lshrrev_b32_e32 v5, 24, v2
	s_delay_alu instid0(VALU_DEP_1)
	v_and_or_b32 v5, 0x80, v5, v3
.LBB159_61:
	s_or_b32 exec_lo, exec_lo, s43
.LBB159_62:
	s_delay_alu instid0(SALU_CYCLE_1)
	s_or_b32 exec_lo, exec_lo, s38
	global_store_b8 v[0:1], v5, off
.LBB159_63:
	s_mov_b32 s38, -1
.LBB159_64:
	s_mov_b32 s40, 0
.LBB159_65:
	s_delay_alu instid0(SALU_CYCLE_1)
	s_and_b32 vcc_lo, exec_lo, s40
	s_cbranch_vccz .LBB159_106
; %bb.66:
	v_cmp_lt_i16_e32 vcc_lo, 22, v4
	s_mov_b32 s40, -1
	s_cbranch_vccz .LBB159_98
; %bb.67:
	v_cmp_gt_i16_e32 vcc_lo, 24, v4
	s_mov_b32 s38, -1
	s_cbranch_vccnz .LBB159_87
; %bb.68:
	v_cmp_lt_i16_e32 vcc_lo, 24, v4
	s_cbranch_vccz .LBB159_76
; %bb.69:
	v_and_b32_e32 v3, 0x7fffffff, v2
	v_mov_b32_e32 v5, 0x80
	s_mov_b32 s38, exec_lo
	s_delay_alu instid0(VALU_DEP_2)
	v_cmpx_gt_u32_e32 0x47800000, v3
	s_cbranch_execz .LBB159_75
; %bb.70:
	v_cmp_lt_u32_e32 vcc_lo, 0x37ffffff, v3
	s_mov_b32 s40, 0
                                        ; implicit-def: $vgpr3
	s_and_saveexec_b32 s43, vcc_lo
	s_delay_alu instid0(SALU_CYCLE_1)
	s_xor_b32 s43, exec_lo, s43
	s_cbranch_execz .LBB159_538
; %bb.71:
	v_bfe_u32 v3, v2, 21, 1
	s_mov_b32 s40, exec_lo
	s_delay_alu instid0(VALU_DEP_1) | instskip(NEXT) | instid1(VALU_DEP_1)
	v_add3_u32 v3, v2, v3, 0x88fffff
	v_lshrrev_b32_e32 v3, 21, v3
	s_or_saveexec_b32 s43, s43
                                        ; implicit-def: $sgpr44
	s_delay_alu instid0(SALU_CYCLE_1)
	s_xor_b32 exec_lo, exec_lo, s43
	s_cbranch_execnz .LBB159_539
.LBB159_72:
	s_or_b32 exec_lo, exec_lo, s43
	v_mov_b32_e32 v5, s44
	s_and_saveexec_b32 s43, s40
.LBB159_73:
	v_lshrrev_b32_e32 v5, 24, v2
	s_delay_alu instid0(VALU_DEP_1)
	v_and_or_b32 v5, 0x80, v5, v3
.LBB159_74:
	s_or_b32 exec_lo, exec_lo, s43
.LBB159_75:
	s_delay_alu instid0(SALU_CYCLE_1)
	s_or_b32 exec_lo, exec_lo, s38
	s_mov_b32 s38, 0
	global_store_b8 v[0:1], v5, off
.LBB159_76:
	s_and_b32 vcc_lo, exec_lo, s38
	s_cbranch_vccz .LBB159_86
; %bb.77:
	v_and_b32_e32 v5, 0x7fffffff, v2
	s_mov_b32 s38, exec_lo
                                        ; implicit-def: $vgpr3
	s_delay_alu instid0(VALU_DEP_1)
	v_cmpx_gt_u32_e32 0x43f00000, v5
	s_xor_b32 s38, exec_lo, s38
	s_cbranch_execz .LBB159_83
; %bb.78:
	s_mov_b32 s40, exec_lo
                                        ; implicit-def: $vgpr3
	v_cmpx_lt_u32_e32 0x3c7fffff, v5
	s_xor_b32 s40, exec_lo, s40
; %bb.79:
	v_bfe_u32 v3, v2, 20, 1
	s_delay_alu instid0(VALU_DEP_1) | instskip(NEXT) | instid1(VALU_DEP_1)
	v_add3_u32 v3, v2, v3, 0x407ffff
	v_and_b32_e32 v5, 0xff00000, v3
	v_lshrrev_b32_e32 v3, 20, v3
	s_delay_alu instid0(VALU_DEP_2) | instskip(NEXT) | instid1(VALU_DEP_2)
	v_cmp_ne_u32_e32 vcc_lo, 0x7f00000, v5
	v_cndmask_b32_e32 v3, 0x7e, v3, vcc_lo
; %bb.80:
	s_and_not1_saveexec_b32 s40, s40
; %bb.81:
	v_add_f32_e64 v3, 0x46800000, |v2|
; %bb.82:
	s_or_b32 exec_lo, exec_lo, s40
                                        ; implicit-def: $vgpr5
.LBB159_83:
	s_and_not1_saveexec_b32 s38, s38
; %bb.84:
	v_mov_b32_e32 v3, 0x7f
	v_cmp_lt_u32_e32 vcc_lo, 0x7f800000, v5
	s_delay_alu instid0(VALU_DEP_2)
	v_cndmask_b32_e32 v3, 0x7e, v3, vcc_lo
; %bb.85:
	s_or_b32 exec_lo, exec_lo, s38
	v_lshrrev_b32_e32 v5, 24, v2
	s_delay_alu instid0(VALU_DEP_1)
	v_and_or_b32 v3, 0x80, v5, v3
	global_store_b8 v[0:1], v3, off
.LBB159_86:
	s_mov_b32 s38, 0
.LBB159_87:
	s_delay_alu instid0(SALU_CYCLE_1)
	s_and_not1_b32 vcc_lo, exec_lo, s38
	s_cbranch_vccnz .LBB159_97
; %bb.88:
	v_and_b32_e32 v5, 0x7fffffff, v2
	s_mov_b32 s38, exec_lo
                                        ; implicit-def: $vgpr3
	s_delay_alu instid0(VALU_DEP_1)
	v_cmpx_gt_u32_e32 0x47800000, v5
	s_xor_b32 s38, exec_lo, s38
	s_cbranch_execz .LBB159_94
; %bb.89:
	s_mov_b32 s40, exec_lo
                                        ; implicit-def: $vgpr3
	v_cmpx_lt_u32_e32 0x387fffff, v5
	s_xor_b32 s40, exec_lo, s40
; %bb.90:
	v_bfe_u32 v3, v2, 21, 1
	s_delay_alu instid0(VALU_DEP_1) | instskip(NEXT) | instid1(VALU_DEP_1)
	v_add3_u32 v3, v2, v3, 0x80fffff
	v_lshrrev_b32_e32 v3, 21, v3
; %bb.91:
	s_and_not1_saveexec_b32 s40, s40
; %bb.92:
	v_add_f32_e64 v3, 0x43000000, |v2|
; %bb.93:
	s_or_b32 exec_lo, exec_lo, s40
                                        ; implicit-def: $vgpr5
.LBB159_94:
	s_and_not1_saveexec_b32 s38, s38
; %bb.95:
	v_mov_b32_e32 v3, 0x7f
	v_cmp_lt_u32_e32 vcc_lo, 0x7f800000, v5
	s_delay_alu instid0(VALU_DEP_2)
	v_cndmask_b32_e32 v3, 0x7c, v3, vcc_lo
; %bb.96:
	s_or_b32 exec_lo, exec_lo, s38
	v_lshrrev_b32_e32 v5, 24, v2
	s_delay_alu instid0(VALU_DEP_1)
	v_and_or_b32 v3, 0x80, v5, v3
	global_store_b8 v[0:1], v3, off
.LBB159_97:
	s_mov_b32 s40, 0
	s_mov_b32 s38, -1
.LBB159_98:
	s_and_not1_b32 vcc_lo, exec_lo, s40
	s_cbranch_vccnz .LBB159_106
; %bb.99:
	v_cmp_lt_i16_e32 vcc_lo, 14, v4
	s_mov_b32 s40, -1
	s_cbranch_vccz .LBB159_103
; %bb.100:
	v_cmp_eq_u16_e32 vcc_lo, 15, v4
	s_mov_b32 s2, -1
	s_cbranch_vccz .LBB159_102
; %bb.101:
	v_bfe_u32 v3, v2, 16, 1
	v_cmp_o_f32_e32 vcc_lo, v2, v2
	s_mov_b32 s38, -1
	s_mov_b32 s2, 0
	s_delay_alu instid0(VALU_DEP_2) | instskip(NEXT) | instid1(VALU_DEP_1)
	v_add3_u32 v3, v2, v3, 0x7fff
	v_lshrrev_b32_e32 v3, 16, v3
	s_delay_alu instid0(VALU_DEP_1)
	v_cndmask_b32_e32 v3, 0x7fc0, v3, vcc_lo
	global_store_b16 v[0:1], v3, off
.LBB159_102:
	s_mov_b32 s40, 0
.LBB159_103:
	s_delay_alu instid0(SALU_CYCLE_1)
	s_and_b32 vcc_lo, exec_lo, s40
	s_cbranch_vccz .LBB159_106
; %bb.104:
	v_cmp_eq_u16_e32 vcc_lo, 11, v4
	s_mov_b32 s2, -1
	s_cbranch_vccz .LBB159_106
; %bb.105:
	v_cmp_neq_f32_e32 vcc_lo, 0, v2
	s_mov_b32 s2, 0
	s_mov_b32 s38, -1
	v_cndmask_b32_e64 v3, 0, 1, vcc_lo
	global_store_b8 v[0:1], v3, off
.LBB159_106:
.LBB159_107:
	s_and_not1_b32 vcc_lo, exec_lo, s38
	s_cbranch_vccz .LBB159_147
	s_branch .LBB159_383
.LBB159_108:
	s_and_b32 vcc_lo, exec_lo, s40
	s_cbranch_vccz .LBB159_107
; %bb.109:
	v_cmp_gt_i16_e32 vcc_lo, 5, v4
	s_mov_b32 s38, -1
	s_cbranch_vccnz .LBB159_130
; %bb.110:
	v_cmp_gt_i16_e32 vcc_lo, 8, v4
	s_cbranch_vccnz .LBB159_120
; %bb.111:
	v_cmp_gt_i16_e32 vcc_lo, 9, v4
	s_cbranch_vccnz .LBB159_117
; %bb.112:
	v_cmp_lt_i16_e32 vcc_lo, 9, v4
	s_cbranch_vccz .LBB159_114
; %bb.113:
	v_cvt_f64_f32_e32 v[8:9], v2
	v_mov_b32_e32 v10, 0
	s_mov_b32 s38, 0
	s_delay_alu instid0(VALU_DEP_1)
	v_mov_b32_e32 v11, v10
	global_store_b128 v[0:1], v[8:11], off
.LBB159_114:
	s_and_not1_b32 vcc_lo, exec_lo, s38
	s_cbranch_vccnz .LBB159_116
; %bb.115:
	v_mov_b32_e32 v3, 0
	global_store_b64 v[0:1], v[2:3], off
.LBB159_116:
	s_mov_b32 s38, 0
.LBB159_117:
	s_delay_alu instid0(SALU_CYCLE_1)
	s_and_not1_b32 vcc_lo, exec_lo, s38
	s_cbranch_vccnz .LBB159_119
; %bb.118:
	v_cvt_f16_f32_e32 v3, v2
	s_delay_alu instid0(VALU_DEP_1)
	v_and_b32_e32 v3, 0xffff, v3
	global_store_b32 v[0:1], v3, off
.LBB159_119:
	s_mov_b32 s38, 0
.LBB159_120:
	s_delay_alu instid0(SALU_CYCLE_1)
	s_and_not1_b32 vcc_lo, exec_lo, s38
	s_cbranch_vccnz .LBB159_129
; %bb.121:
	v_cmp_gt_i16_e32 vcc_lo, 6, v4
	s_mov_b32 s38, -1
	s_cbranch_vccnz .LBB159_127
; %bb.122:
	v_cmp_lt_i16_e32 vcc_lo, 6, v4
	s_cbranch_vccz .LBB159_124
; %bb.123:
	v_cvt_f64_f32_e32 v[5:6], v2
	s_mov_b32 s38, 0
	global_store_b64 v[0:1], v[5:6], off
.LBB159_124:
	s_and_not1_b32 vcc_lo, exec_lo, s38
	s_cbranch_vccnz .LBB159_126
; %bb.125:
	global_store_b32 v[0:1], v2, off
.LBB159_126:
	s_mov_b32 s38, 0
.LBB159_127:
	s_delay_alu instid0(SALU_CYCLE_1)
	s_and_not1_b32 vcc_lo, exec_lo, s38
	s_cbranch_vccnz .LBB159_129
; %bb.128:
	v_cvt_f16_f32_e32 v3, v2
	global_store_b16 v[0:1], v3, off
.LBB159_129:
	s_mov_b32 s38, 0
.LBB159_130:
	s_delay_alu instid0(SALU_CYCLE_1)
	s_and_not1_b32 vcc_lo, exec_lo, s38
	s_cbranch_vccnz .LBB159_146
; %bb.131:
	v_cmp_gt_i16_e32 vcc_lo, 2, v4
	s_mov_b32 s38, -1
	s_cbranch_vccnz .LBB159_141
; %bb.132:
	v_cmp_gt_i16_e32 vcc_lo, 3, v4
	s_cbranch_vccnz .LBB159_138
; %bb.133:
	v_cmp_lt_i16_e32 vcc_lo, 3, v4
	s_cbranch_vccz .LBB159_135
; %bb.134:
	v_trunc_f32_e32 v3, v2
	s_mov_b32 s38, 0
	s_delay_alu instid0(VALU_DEP_1) | instskip(NEXT) | instid1(VALU_DEP_1)
	v_mul_f32_e64 v5, 0x2f800000, |v3|
	v_floor_f32_e32 v5, v5
	s_delay_alu instid0(VALU_DEP_1) | instskip(SKIP_2) | instid1(VALU_DEP_3)
	v_fma_f32 v6, 0xcf800000, v5, |v3|
	v_ashrrev_i32_e32 v3, 31, v3
	v_cvt_u32_f32_e32 v5, v5
	v_cvt_u32_f32_e32 v6, v6
	s_delay_alu instid0(VALU_DEP_2) | instskip(NEXT) | instid1(VALU_DEP_2)
	v_xor_b32_e32 v8, v5, v3
	v_xor_b32_e32 v6, v6, v3
	s_delay_alu instid0(VALU_DEP_1) | instskip(NEXT) | instid1(VALU_DEP_3)
	v_sub_co_u32 v5, vcc_lo, v6, v3
	v_sub_co_ci_u32_e32 v6, vcc_lo, v8, v3, vcc_lo
	global_store_b64 v[0:1], v[5:6], off
.LBB159_135:
	s_and_not1_b32 vcc_lo, exec_lo, s38
	s_cbranch_vccnz .LBB159_137
; %bb.136:
	v_cvt_i32_f32_e32 v3, v2
	global_store_b32 v[0:1], v3, off
.LBB159_137:
	s_mov_b32 s38, 0
.LBB159_138:
	s_delay_alu instid0(SALU_CYCLE_1)
	s_and_not1_b32 vcc_lo, exec_lo, s38
	s_cbranch_vccnz .LBB159_140
; %bb.139:
	v_cvt_i32_f32_e32 v3, v2
	global_store_b16 v[0:1], v3, off
.LBB159_140:
	s_mov_b32 s38, 0
.LBB159_141:
	s_delay_alu instid0(SALU_CYCLE_1)
	s_and_not1_b32 vcc_lo, exec_lo, s38
	s_cbranch_vccnz .LBB159_146
; %bb.142:
	v_cmp_lt_i16_e32 vcc_lo, 0, v4
	s_mov_b32 s38, -1
	s_cbranch_vccz .LBB159_144
; %bb.143:
	v_cvt_i32_f32_e32 v3, v2
	s_mov_b32 s38, 0
	global_store_b8 v[0:1], v3, off
.LBB159_144:
	s_and_not1_b32 vcc_lo, exec_lo, s38
	s_cbranch_vccnz .LBB159_146
; %bb.145:
	v_trunc_f32_e32 v2, v2
	s_delay_alu instid0(VALU_DEP_1) | instskip(NEXT) | instid1(VALU_DEP_1)
	v_mul_f32_e64 v3, 0x2f800000, |v2|
	v_floor_f32_e32 v3, v3
	s_delay_alu instid0(VALU_DEP_1) | instskip(SKIP_1) | instid1(VALU_DEP_2)
	v_fma_f32 v3, 0xcf800000, v3, |v2|
	v_ashrrev_i32_e32 v2, 31, v2
	v_cvt_u32_f32_e32 v3, v3
	s_delay_alu instid0(VALU_DEP_1) | instskip(NEXT) | instid1(VALU_DEP_1)
	v_xor_b32_e32 v3, v3, v2
	v_sub_nc_u32_e32 v2, v3, v2
	global_store_b8 v[0:1], v2, off
.LBB159_146:
.LBB159_147:
	v_add_nc_u32_e32 v7, 0x80, v7
	s_mov_b32 s43, -1
	s_branch .LBB159_384
.LBB159_148:
	s_mov_b32 s38, -1
	s_mov_b32 s2, 0
                                        ; implicit-def: $vgpr5
	s_branch .LBB159_167
.LBB159_149:
	s_mov_b32 s38, -1
	s_mov_b32 s2, 0
                                        ; implicit-def: $vgpr3
	s_branch .LBB159_300
.LBB159_150:
	s_mov_b32 s38, -1
	s_mov_b32 s2, 0
                                        ; implicit-def: $vgpr5
	s_branch .LBB159_162
.LBB159_151:
	s_mov_b32 s38, -1
	s_mov_b32 s2, 0
                                        ; implicit-def: $vgpr3
	s_branch .LBB159_283
.LBB159_152:
	s_mov_b32 s38, -1
	s_branch .LBB159_155
.LBB159_153:
	s_mov_b32 s38, -1
	s_mov_b32 s2, 0
                                        ; implicit-def: $vgpr3
	s_branch .LBB159_278
.LBB159_154:
	s_mov_b32 s3, -1
.LBB159_155:
	s_mov_b32 s2, 0
                                        ; implicit-def: $vgpr5
.LBB159_156:
	s_and_b32 vcc_lo, exec_lo, s38
	s_cbranch_vccz .LBB159_161
; %bb.157:
	v_cmp_eq_u16_e32 vcc_lo, 44, v4
	s_cbranch_vccz .LBB159_160
; %bb.158:
	global_load_u8 v5, v[2:3], off
	s_mov_b32 s3, 0
	s_mov_b32 s2, -1
	s_waitcnt vmcnt(0)
	v_lshlrev_b32_e32 v6, 23, v5
	v_cmp_ne_u32_e32 vcc_lo, 0xff, v5
	s_delay_alu instid0(VALU_DEP_2) | instskip(SKIP_1) | instid1(VALU_DEP_2)
	v_cndmask_b32_e32 v6, 0x7f800001, v6, vcc_lo
	v_cmp_ne_u32_e32 vcc_lo, 0, v5
	v_cndmask_b32_e32 v5, 0x400000, v6, vcc_lo
	s_branch .LBB159_161
.LBB159_159:
	s_mov_b32 s38, -1
	s_branch .LBB159_270
.LBB159_160:
	s_mov_b32 s3, -1
                                        ; implicit-def: $vgpr5
.LBB159_161:
	s_mov_b32 s38, 0
.LBB159_162:
	s_delay_alu instid0(SALU_CYCLE_1)
	s_and_b32 vcc_lo, exec_lo, s38
	s_cbranch_vccz .LBB159_166
; %bb.163:
	v_cmp_eq_u16_e32 vcc_lo, 29, v4
	s_cbranch_vccz .LBB159_165
; %bb.164:
	global_load_b64 v[5:6], v[2:3], off
	s_mov_b32 s2, -1
	s_mov_b32 s3, 0
	s_mov_b32 s38, 0
	s_waitcnt vmcnt(0)
	v_clz_i32_u32_e32 v8, v6
	s_delay_alu instid0(VALU_DEP_1) | instskip(NEXT) | instid1(VALU_DEP_1)
	v_min_u32_e32 v8, 32, v8
	v_lshlrev_b64 v[5:6], v8, v[5:6]
	s_delay_alu instid0(VALU_DEP_1) | instskip(NEXT) | instid1(VALU_DEP_1)
	v_min_u32_e32 v5, 1, v5
	v_or_b32_e32 v5, v6, v5
	v_sub_nc_u32_e32 v6, 32, v8
	s_delay_alu instid0(VALU_DEP_2) | instskip(NEXT) | instid1(VALU_DEP_1)
	v_cvt_f32_u32_e32 v5, v5
	v_ldexp_f32 v5, v5, v6
	s_branch .LBB159_167
.LBB159_165:
	s_mov_b32 s3, -1
                                        ; implicit-def: $vgpr5
.LBB159_166:
	s_mov_b32 s38, 0
.LBB159_167:
	s_delay_alu instid0(SALU_CYCLE_1)
	s_and_b32 vcc_lo, exec_lo, s38
	s_cbranch_vccz .LBB159_185
; %bb.168:
	v_cmp_gt_i16_e32 vcc_lo, 27, v4
	s_cbranch_vccnz .LBB159_171
; %bb.169:
	v_cmp_lt_i16_e32 vcc_lo, 27, v4
	s_cbranch_vccz .LBB159_172
; %bb.170:
	global_load_b32 v5, v[2:3], off
	s_mov_b32 s2, 0
	s_waitcnt vmcnt(0)
	v_cvt_f32_u32_e32 v5, v5
	s_branch .LBB159_173
.LBB159_171:
	s_mov_b32 s2, -1
                                        ; implicit-def: $vgpr5
	s_branch .LBB159_176
.LBB159_172:
	s_mov_b32 s2, -1
                                        ; implicit-def: $vgpr5
.LBB159_173:
	s_delay_alu instid0(SALU_CYCLE_1)
	s_and_not1_b32 vcc_lo, exec_lo, s2
	s_cbranch_vccnz .LBB159_175
; %bb.174:
	global_load_u16 v5, v[2:3], off
	s_waitcnt vmcnt(0)
	v_cvt_f32_u32_e32 v5, v5
.LBB159_175:
	s_mov_b32 s2, 0
.LBB159_176:
	s_delay_alu instid0(SALU_CYCLE_1)
	s_and_not1_b32 vcc_lo, exec_lo, s2
	s_cbranch_vccnz .LBB159_184
; %bb.177:
	global_load_u8 v6, v[2:3], off
	s_mov_b32 s2, 0
	s_mov_b32 s39, exec_lo
                                        ; implicit-def: $sgpr38
	s_waitcnt vmcnt(0)
	v_cmpx_lt_i16_e32 0x7f, v6
	s_xor_b32 s39, exec_lo, s39
	s_cbranch_execz .LBB159_197
; %bb.178:
	s_mov_b32 s2, -1
	s_mov_b32 s40, exec_lo
                                        ; implicit-def: $sgpr38
	v_cmpx_eq_u16_e32 0x80, v6
; %bb.179:
	s_mov_b32 s38, 0x7f800001
	s_xor_b32 s2, exec_lo, -1
; %bb.180:
	s_or_b32 exec_lo, exec_lo, s40
	s_delay_alu instid0(SALU_CYCLE_1)
	s_and_b32 s2, s2, exec_lo
	s_or_saveexec_b32 s39, s39
	v_mov_b32_e32 v5, s38
	s_xor_b32 exec_lo, exec_lo, s39
	s_cbranch_execnz .LBB159_198
.LBB159_181:
	s_or_b32 exec_lo, exec_lo, s39
	s_and_saveexec_b32 s38, s2
	s_cbranch_execz .LBB159_183
.LBB159_182:
	v_and_b32_e32 v5, 0xffff, v6
	v_lshlrev_b32_e32 v6, 24, v6
	s_delay_alu instid0(VALU_DEP_2) | instskip(NEXT) | instid1(VALU_DEP_2)
	v_and_b32_e32 v8, 7, v5
	v_and_b32_e32 v6, 0x80000000, v6
	s_delay_alu instid0(VALU_DEP_2) | instskip(NEXT) | instid1(VALU_DEP_1)
	v_clz_i32_u32_e32 v9, v8
	v_min_u32_e32 v9, 32, v9
	s_delay_alu instid0(VALU_DEP_1) | instskip(SKIP_1) | instid1(VALU_DEP_2)
	v_subrev_nc_u32_e32 v10, 28, v9
	v_sub_nc_u32_e32 v9, 29, v9
	v_lshlrev_b32_e32 v10, v10, v5
	v_bfe_u32 v5, v5, 3, 4
	s_delay_alu instid0(VALU_DEP_1) | instskip(NEXT) | instid1(VALU_DEP_3)
	v_cmp_eq_u32_e32 vcc_lo, 0, v5
	v_dual_cndmask_b32 v5, v5, v9 :: v_dual_and_b32 v10, 7, v10
	s_delay_alu instid0(VALU_DEP_1) | instskip(NEXT) | instid1(VALU_DEP_2)
	v_cndmask_b32_e32 v8, v8, v10, vcc_lo
	v_lshl_add_u32 v5, v5, 23, 0x3b800000
	s_delay_alu instid0(VALU_DEP_2) | instskip(NEXT) | instid1(VALU_DEP_1)
	v_lshlrev_b32_e32 v8, 20, v8
	v_or3_b32 v5, v6, v5, v8
.LBB159_183:
	s_or_b32 exec_lo, exec_lo, s38
.LBB159_184:
	s_mov_b32 s2, -1
.LBB159_185:
	s_branch .LBB159_220
.LBB159_186:
	v_cmp_lt_i16_e32 vcc_lo, 22, v4
	s_cbranch_vccz .LBB159_196
; %bb.187:
	v_cmp_gt_i16_e32 vcc_lo, 24, v4
	s_cbranch_vccnz .LBB159_199
; %bb.188:
	v_cmp_lt_i16_e32 vcc_lo, 24, v4
	s_cbranch_vccz .LBB159_200
; %bb.189:
	global_load_u8 v6, v[2:3], off
	s_mov_b32 s2, 0
	s_mov_b32 s39, exec_lo
                                        ; implicit-def: $sgpr38
	s_waitcnt vmcnt(0)
	v_cmpx_lt_i16_e32 0x7f, v6
	s_xor_b32 s39, exec_lo, s39
	s_cbranch_execz .LBB159_212
; %bb.190:
	s_mov_b32 s2, -1
	s_mov_b32 s40, exec_lo
                                        ; implicit-def: $sgpr38
	v_cmpx_eq_u16_e32 0x80, v6
; %bb.191:
	s_mov_b32 s38, 0x7f800001
	s_xor_b32 s2, exec_lo, -1
; %bb.192:
	s_or_b32 exec_lo, exec_lo, s40
	s_delay_alu instid0(SALU_CYCLE_1)
	s_and_b32 s2, s2, exec_lo
	s_or_saveexec_b32 s39, s39
	v_mov_b32_e32 v5, s38
	s_xor_b32 exec_lo, exec_lo, s39
	s_cbranch_execnz .LBB159_213
.LBB159_193:
	s_or_b32 exec_lo, exec_lo, s39
	s_and_saveexec_b32 s38, s2
	s_cbranch_execz .LBB159_195
.LBB159_194:
	v_and_b32_e32 v5, 0xffff, v6
	v_lshlrev_b32_e32 v6, 24, v6
	s_delay_alu instid0(VALU_DEP_2) | instskip(NEXT) | instid1(VALU_DEP_2)
	v_and_b32_e32 v8, 3, v5
	v_and_b32_e32 v6, 0x80000000, v6
	s_delay_alu instid0(VALU_DEP_2) | instskip(NEXT) | instid1(VALU_DEP_1)
	v_clz_i32_u32_e32 v9, v8
	v_min_u32_e32 v9, 32, v9
	s_delay_alu instid0(VALU_DEP_1) | instskip(SKIP_1) | instid1(VALU_DEP_2)
	v_subrev_nc_u32_e32 v10, 29, v9
	v_sub_nc_u32_e32 v9, 30, v9
	v_lshlrev_b32_e32 v10, v10, v5
	v_bfe_u32 v5, v5, 2, 5
	s_delay_alu instid0(VALU_DEP_1) | instskip(NEXT) | instid1(VALU_DEP_3)
	v_cmp_eq_u32_e32 vcc_lo, 0, v5
	v_dual_cndmask_b32 v5, v5, v9 :: v_dual_and_b32 v10, 3, v10
	s_delay_alu instid0(VALU_DEP_1) | instskip(NEXT) | instid1(VALU_DEP_2)
	v_cndmask_b32_e32 v8, v8, v10, vcc_lo
	v_lshl_add_u32 v5, v5, 23, 0x37800000
	s_delay_alu instid0(VALU_DEP_2) | instskip(NEXT) | instid1(VALU_DEP_1)
	v_lshlrev_b32_e32 v8, 21, v8
	v_or3_b32 v5, v6, v5, v8
.LBB159_195:
	s_or_b32 exec_lo, exec_lo, s38
	s_mov_b32 s2, 0
	s_branch .LBB159_201
.LBB159_196:
	s_mov_b32 s38, -1
                                        ; implicit-def: $vgpr5
	s_branch .LBB159_207
.LBB159_197:
	s_or_saveexec_b32 s39, s39
	v_mov_b32_e32 v5, s38
	s_xor_b32 exec_lo, exec_lo, s39
	s_cbranch_execz .LBB159_181
.LBB159_198:
	v_cmp_ne_u16_e32 vcc_lo, 0, v6
	v_mov_b32_e32 v5, 0
	s_and_not1_b32 s2, s2, exec_lo
	s_and_b32 s38, vcc_lo, exec_lo
	s_delay_alu instid0(SALU_CYCLE_1)
	s_or_b32 s2, s2, s38
	s_or_b32 exec_lo, exec_lo, s39
	s_and_saveexec_b32 s38, s2
	s_cbranch_execnz .LBB159_182
	s_branch .LBB159_183
.LBB159_199:
	s_mov_b32 s2, -1
                                        ; implicit-def: $vgpr5
	s_branch .LBB159_204
.LBB159_200:
	s_mov_b32 s2, -1
                                        ; implicit-def: $vgpr5
.LBB159_201:
	s_delay_alu instid0(SALU_CYCLE_1)
	s_and_b32 vcc_lo, exec_lo, s2
	s_cbranch_vccz .LBB159_203
; %bb.202:
	global_load_u8 v5, v[2:3], off
	s_waitcnt vmcnt(0)
	v_lshlrev_b32_e32 v5, 24, v5
	s_delay_alu instid0(VALU_DEP_1) | instskip(NEXT) | instid1(VALU_DEP_1)
	v_and_b32_e32 v6, 0x7f000000, v5
	v_clz_i32_u32_e32 v8, v6
	v_add_nc_u32_e32 v10, 0x1000000, v6
	v_cmp_ne_u32_e32 vcc_lo, 0, v6
	s_delay_alu instid0(VALU_DEP_3) | instskip(NEXT) | instid1(VALU_DEP_1)
	v_min_u32_e32 v8, 32, v8
	v_sub_nc_u32_e64 v8, v8, 4 clamp
	s_delay_alu instid0(VALU_DEP_1) | instskip(SKIP_1) | instid1(VALU_DEP_2)
	v_lshlrev_b32_e32 v9, v8, v6
	v_lshlrev_b32_e32 v8, 23, v8
	v_lshrrev_b32_e32 v9, 4, v9
	s_delay_alu instid0(VALU_DEP_1) | instskip(SKIP_1) | instid1(VALU_DEP_2)
	v_sub_nc_u32_e32 v8, v9, v8
	v_ashrrev_i32_e32 v9, 8, v10
	v_add_nc_u32_e32 v8, 0x3c000000, v8
	s_delay_alu instid0(VALU_DEP_1) | instskip(NEXT) | instid1(VALU_DEP_1)
	v_and_or_b32 v8, 0x7f800000, v9, v8
	v_cndmask_b32_e32 v6, 0, v8, vcc_lo
	s_delay_alu instid0(VALU_DEP_1)
	v_and_or_b32 v5, 0x80000000, v5, v6
.LBB159_203:
	s_mov_b32 s2, 0
.LBB159_204:
	s_delay_alu instid0(SALU_CYCLE_1)
	s_and_not1_b32 vcc_lo, exec_lo, s2
	s_cbranch_vccnz .LBB159_206
; %bb.205:
	global_load_u8 v5, v[2:3], off
	s_waitcnt vmcnt(0)
	v_lshlrev_b32_e32 v6, 25, v5
	v_lshlrev_b16 v5, 8, v5
	s_delay_alu instid0(VALU_DEP_2) | instskip(NEXT) | instid1(VALU_DEP_2)
	v_lshrrev_b32_e32 v8, 4, v6
	v_and_or_b32 v9, 0x7f00, v5, 0.5
	v_cmp_gt_u32_e32 vcc_lo, 0x8000000, v6
	v_bfe_i32 v5, v5, 0, 16
	s_delay_alu instid0(VALU_DEP_4) | instskip(NEXT) | instid1(VALU_DEP_1)
	v_or_b32_e32 v8, 0x70000000, v8
	v_dual_add_f32 v9, -0.5, v9 :: v_dual_mul_f32 v8, 0x7800000, v8
	s_delay_alu instid0(VALU_DEP_1) | instskip(NEXT) | instid1(VALU_DEP_1)
	v_cndmask_b32_e32 v6, v8, v9, vcc_lo
	v_and_or_b32 v5, 0x80000000, v5, v6
.LBB159_206:
	s_mov_b32 s38, 0
	s_mov_b32 s2, -1
.LBB159_207:
	s_and_not1_b32 vcc_lo, exec_lo, s38
	s_cbranch_vccnz .LBB159_220
; %bb.208:
	v_cmp_lt_i16_e32 vcc_lo, 14, v4
	s_cbranch_vccz .LBB159_211
; %bb.209:
	v_cmp_eq_u16_e32 vcc_lo, 15, v4
	s_cbranch_vccz .LBB159_214
; %bb.210:
	global_load_u16 v5, v[2:3], off
	s_mov_b32 s2, -1
	s_mov_b32 s3, 0
	s_waitcnt vmcnt(0)
	v_lshlrev_b32_e32 v5, 16, v5
	s_branch .LBB159_215
.LBB159_211:
	s_mov_b32 s38, -1
                                        ; implicit-def: $vgpr5
	s_branch .LBB159_216
.LBB159_212:
	s_or_saveexec_b32 s39, s39
	v_mov_b32_e32 v5, s38
	s_xor_b32 exec_lo, exec_lo, s39
	s_cbranch_execz .LBB159_193
.LBB159_213:
	v_cmp_ne_u16_e32 vcc_lo, 0, v6
	v_mov_b32_e32 v5, 0
	s_and_not1_b32 s2, s2, exec_lo
	s_and_b32 s38, vcc_lo, exec_lo
	s_delay_alu instid0(SALU_CYCLE_1)
	s_or_b32 s2, s2, s38
	s_or_b32 exec_lo, exec_lo, s39
	s_and_saveexec_b32 s38, s2
	s_cbranch_execnz .LBB159_194
	s_branch .LBB159_195
.LBB159_214:
	s_mov_b32 s3, -1
                                        ; implicit-def: $vgpr5
.LBB159_215:
	s_mov_b32 s38, 0
.LBB159_216:
	s_delay_alu instid0(SALU_CYCLE_1)
	s_and_b32 vcc_lo, exec_lo, s38
	s_cbranch_vccz .LBB159_220
; %bb.217:
	v_cmp_eq_u16_e32 vcc_lo, 11, v4
	s_cbranch_vccz .LBB159_219
; %bb.218:
	global_load_u8 v5, v[2:3], off
	s_mov_b32 s3, 0
	s_mov_b32 s2, -1
	s_waitcnt vmcnt(0)
	v_cmp_ne_u16_e32 vcc_lo, 0, v5
	v_cndmask_b32_e64 v5, 0, 1.0, vcc_lo
	s_branch .LBB159_220
.LBB159_219:
	s_mov_b32 s3, -1
                                        ; implicit-def: $vgpr5
.LBB159_220:
	s_branch .LBB159_20
.LBB159_221:
	v_cmp_gt_i16_e32 vcc_lo, 5, v4
	s_cbranch_vccnz .LBB159_226
; %bb.222:
	v_cmp_gt_i16_e32 vcc_lo, 8, v4
	s_cbranch_vccnz .LBB159_227
; %bb.223:
	;; [unrolled: 3-line block ×3, first 2 shown]
	v_cmp_lt_i16_e32 vcc_lo, 9, v4
	s_cbranch_vccz .LBB159_229
; %bb.225:
	global_load_b64 v[5:6], v[2:3], off
	s_mov_b32 s2, 0
	s_waitcnt vmcnt(0)
	v_cvt_f32_f64_e32 v5, v[5:6]
	s_branch .LBB159_230
.LBB159_226:
                                        ; implicit-def: $vgpr5
	s_branch .LBB159_248
.LBB159_227:
	s_mov_b32 s2, -1
                                        ; implicit-def: $vgpr5
	s_branch .LBB159_236
.LBB159_228:
	s_mov_b32 s2, -1
                                        ; implicit-def: $vgpr5
	s_branch .LBB159_233
.LBB159_229:
	s_mov_b32 s2, -1
                                        ; implicit-def: $vgpr5
.LBB159_230:
	s_delay_alu instid0(SALU_CYCLE_1)
	s_and_not1_b32 vcc_lo, exec_lo, s2
	s_cbranch_vccnz .LBB159_232
; %bb.231:
	global_load_b32 v5, v[2:3], off
.LBB159_232:
	s_mov_b32 s2, 0
.LBB159_233:
	s_delay_alu instid0(SALU_CYCLE_1)
	s_and_not1_b32 vcc_lo, exec_lo, s2
	s_cbranch_vccnz .LBB159_235
; %bb.234:
	global_load_b32 v5, v[2:3], off
	s_waitcnt vmcnt(0)
	v_cvt_f32_f16_e32 v5, v5
.LBB159_235:
	s_mov_b32 s2, 0
.LBB159_236:
	s_delay_alu instid0(SALU_CYCLE_1)
	s_and_not1_b32 vcc_lo, exec_lo, s2
	s_cbranch_vccnz .LBB159_247
; %bb.237:
	v_cmp_gt_i16_e32 vcc_lo, 6, v4
	s_cbranch_vccnz .LBB159_240
; %bb.238:
	v_cmp_lt_i16_e32 vcc_lo, 6, v4
	s_cbranch_vccz .LBB159_241
; %bb.239:
	global_load_b64 v[5:6], v[2:3], off
	s_mov_b32 s2, 0
	s_waitcnt vmcnt(0)
	v_cvt_f32_f64_e32 v5, v[5:6]
	s_branch .LBB159_242
.LBB159_240:
	s_mov_b32 s2, -1
                                        ; implicit-def: $vgpr5
	s_branch .LBB159_245
.LBB159_241:
	s_mov_b32 s2, -1
                                        ; implicit-def: $vgpr5
.LBB159_242:
	s_delay_alu instid0(SALU_CYCLE_1)
	s_and_not1_b32 vcc_lo, exec_lo, s2
	s_cbranch_vccnz .LBB159_244
; %bb.243:
	global_load_b32 v5, v[2:3], off
.LBB159_244:
	s_mov_b32 s2, 0
.LBB159_245:
	s_delay_alu instid0(SALU_CYCLE_1)
	s_and_not1_b32 vcc_lo, exec_lo, s2
	s_cbranch_vccnz .LBB159_247
; %bb.246:
	global_load_u16 v5, v[2:3], off
	s_waitcnt vmcnt(0)
	v_cvt_f32_f16_e32 v5, v5
.LBB159_247:
	s_cbranch_execnz .LBB159_267
.LBB159_248:
	v_cmp_gt_i16_e32 vcc_lo, 2, v4
	s_cbranch_vccnz .LBB159_252
; %bb.249:
	v_cmp_gt_i16_e32 vcc_lo, 3, v4
	s_cbranch_vccnz .LBB159_253
; %bb.250:
	v_cmp_lt_i16_e32 vcc_lo, 3, v4
	s_cbranch_vccz .LBB159_254
; %bb.251:
	global_load_b64 v[5:6], v[2:3], off
	s_mov_b32 s2, 0
	s_waitcnt vmcnt(0)
	v_xor_b32_e32 v8, v5, v6
	v_cls_i32_e32 v9, v6
	s_delay_alu instid0(VALU_DEP_2) | instskip(NEXT) | instid1(VALU_DEP_2)
	v_ashrrev_i32_e32 v8, 31, v8
	v_add_nc_u32_e32 v9, -1, v9
	s_delay_alu instid0(VALU_DEP_2) | instskip(NEXT) | instid1(VALU_DEP_1)
	v_add_nc_u32_e32 v8, 32, v8
	v_min_u32_e32 v8, v9, v8
	s_delay_alu instid0(VALU_DEP_1) | instskip(NEXT) | instid1(VALU_DEP_1)
	v_lshlrev_b64 v[5:6], v8, v[5:6]
	v_min_u32_e32 v5, 1, v5
	s_delay_alu instid0(VALU_DEP_1) | instskip(SKIP_1) | instid1(VALU_DEP_2)
	v_or_b32_e32 v5, v6, v5
	v_sub_nc_u32_e32 v6, 32, v8
	v_cvt_f32_i32_e32 v5, v5
	s_delay_alu instid0(VALU_DEP_1)
	v_ldexp_f32 v5, v5, v6
	s_branch .LBB159_255
.LBB159_252:
	s_mov_b32 s2, -1
                                        ; implicit-def: $vgpr5
	s_branch .LBB159_261
.LBB159_253:
	s_mov_b32 s2, -1
                                        ; implicit-def: $vgpr5
	s_branch .LBB159_258
.LBB159_254:
	s_mov_b32 s2, -1
                                        ; implicit-def: $vgpr5
.LBB159_255:
	s_delay_alu instid0(SALU_CYCLE_1)
	s_and_not1_b32 vcc_lo, exec_lo, s2
	s_cbranch_vccnz .LBB159_257
; %bb.256:
	global_load_b32 v5, v[2:3], off
	s_waitcnt vmcnt(0)
	v_cvt_f32_i32_e32 v5, v5
.LBB159_257:
	s_mov_b32 s2, 0
.LBB159_258:
	s_delay_alu instid0(SALU_CYCLE_1)
	s_and_not1_b32 vcc_lo, exec_lo, s2
	s_cbranch_vccnz .LBB159_260
; %bb.259:
	global_load_i16 v5, v[2:3], off
	s_waitcnt vmcnt(0)
	v_cvt_f32_i32_e32 v5, v5
.LBB159_260:
	s_mov_b32 s2, 0
.LBB159_261:
	s_delay_alu instid0(SALU_CYCLE_1)
	s_and_not1_b32 vcc_lo, exec_lo, s2
	s_cbranch_vccnz .LBB159_267
; %bb.262:
	v_cmp_lt_i16_e32 vcc_lo, 0, v4
	s_mov_b32 s2, 0
	s_cbranch_vccz .LBB159_264
; %bb.263:
	global_load_i8 v4, v[2:3], off
	s_waitcnt vmcnt(0)
	v_cvt_f32_i32_e32 v5, v4
	s_branch .LBB159_265
.LBB159_264:
	s_mov_b32 s2, -1
                                        ; implicit-def: $vgpr5
.LBB159_265:
	s_delay_alu instid0(SALU_CYCLE_1)
	s_and_not1_b32 vcc_lo, exec_lo, s2
	s_cbranch_vccnz .LBB159_267
; %bb.266:
	global_load_u8 v2, v[2:3], off
	s_waitcnt vmcnt(0)
	v_cvt_f32_ubyte0_e32 v5, v2
.LBB159_267:
	s_branch .LBB159_21
.LBB159_268:
	s_mov_b32 s2, 0
	s_mov_b32 s39, 0
	s_branch .LBB159_383
.LBB159_269:
	s_mov_b32 s39, -1
.LBB159_270:
	s_mov_b32 s2, 0
                                        ; implicit-def: $vgpr3
.LBB159_271:
	s_and_b32 vcc_lo, exec_lo, s38
	s_cbranch_vccz .LBB159_277
; %bb.272:
	v_cmp_eq_u16_e32 vcc_lo, 44, v6
	s_cbranch_vccz .LBB159_276
; %bb.273:
	global_load_u8 v3, v[1:2], off
	s_mov_b32 s39, 0
	s_mov_b32 s2, -1
	s_waitcnt vmcnt(0)
	v_lshlrev_b32_e32 v4, 23, v3
	v_cmp_ne_u32_e32 vcc_lo, 0, v3
	s_delay_alu instid0(VALU_DEP_2) | instskip(NEXT) | instid1(VALU_DEP_1)
	v_trunc_f32_e32 v4, v4
	v_mul_f32_e64 v8, 0x2f800000, |v4|
	s_delay_alu instid0(VALU_DEP_1) | instskip(NEXT) | instid1(VALU_DEP_1)
	v_floor_f32_e32 v8, v8
	v_fma_f32 v8, 0xcf800000, v8, |v4|
	v_ashrrev_i32_e32 v4, 31, v4
	s_delay_alu instid0(VALU_DEP_2) | instskip(NEXT) | instid1(VALU_DEP_1)
	v_cvt_u32_f32_e32 v8, v8
	v_xor_b32_e32 v8, v8, v4
	s_delay_alu instid0(VALU_DEP_1) | instskip(NEXT) | instid1(VALU_DEP_1)
	v_sub_nc_u32_e32 v4, v8, v4
	v_cndmask_b32_e32 v3, 0, v4, vcc_lo
	s_branch .LBB159_277
.LBB159_274:
	s_or_saveexec_b32 s43, s43
                                        ; implicit-def: $sgpr44
	s_delay_alu instid0(SALU_CYCLE_1)
	s_xor_b32 exec_lo, exec_lo, s43
	s_cbranch_execz .LBB159_59
.LBB159_275:
	v_add_f32_e64 v3, 0x46000000, |v2|
	s_and_not1_b32 s40, s40, exec_lo
	s_mov_b32 s44, 0
	s_delay_alu instid0(VALU_DEP_1) | instskip(NEXT) | instid1(VALU_DEP_1)
	v_and_b32_e32 v3, 0xff, v3
	v_cmp_ne_u32_e32 vcc_lo, 0, v3
	s_and_b32 s45, vcc_lo, exec_lo
	s_delay_alu instid0(SALU_CYCLE_1)
	s_or_b32 s40, s40, s45
	s_or_b32 exec_lo, exec_lo, s43
	v_mov_b32_e32 v5, s44
	s_and_saveexec_b32 s43, s40
	s_cbranch_execnz .LBB159_60
	s_branch .LBB159_61
.LBB159_276:
	s_mov_b32 s39, -1
                                        ; implicit-def: $vgpr3
.LBB159_277:
	s_mov_b32 s38, 0
.LBB159_278:
	s_delay_alu instid0(SALU_CYCLE_1)
	s_and_b32 vcc_lo, exec_lo, s38
	s_cbranch_vccz .LBB159_282
; %bb.279:
	v_cmp_eq_u16_e32 vcc_lo, 29, v6
	s_cbranch_vccz .LBB159_281
; %bb.280:
	global_load_b64 v[3:4], v[1:2], off
	s_mov_b32 s2, -1
	s_mov_b32 s39, 0
	s_branch .LBB159_282
.LBB159_281:
	s_mov_b32 s39, -1
                                        ; implicit-def: $vgpr3
.LBB159_282:
	s_mov_b32 s38, 0
.LBB159_283:
	s_delay_alu instid0(SALU_CYCLE_1)
	s_and_b32 vcc_lo, exec_lo, s38
	s_cbranch_vccz .LBB159_299
; %bb.284:
	v_cmp_gt_i16_e32 vcc_lo, 27, v6
	s_cbranch_vccnz .LBB159_287
; %bb.285:
	v_cmp_lt_i16_e32 vcc_lo, 27, v6
	s_cbranch_vccz .LBB159_288
; %bb.286:
	global_load_b32 v3, v[1:2], off
	s_mov_b32 s2, 0
	s_branch .LBB159_289
.LBB159_287:
	s_mov_b32 s2, -1
                                        ; implicit-def: $vgpr3
	s_branch .LBB159_292
.LBB159_288:
	s_mov_b32 s2, -1
                                        ; implicit-def: $vgpr3
.LBB159_289:
	s_delay_alu instid0(SALU_CYCLE_1)
	s_and_not1_b32 vcc_lo, exec_lo, s2
	s_cbranch_vccnz .LBB159_291
; %bb.290:
	global_load_u16 v3, v[1:2], off
.LBB159_291:
	s_mov_b32 s2, 0
.LBB159_292:
	s_delay_alu instid0(SALU_CYCLE_1)
	s_and_not1_b32 vcc_lo, exec_lo, s2
	s_cbranch_vccnz .LBB159_298
; %bb.293:
	global_load_u8 v4, v[1:2], off
	s_mov_b32 s38, 0
	s_mov_b32 s2, exec_lo
                                        ; implicit-def: $sgpr40
	s_waitcnt vmcnt(0)
	v_cmpx_lt_i16_e32 0x7f, v4
	s_xor_b32 s2, exec_lo, s2
	s_cbranch_execz .LBB159_310
; %bb.294:
	v_cmp_ne_u16_e32 vcc_lo, 0x80, v4
	s_mov_b32 s40, 0
	s_and_b32 s38, vcc_lo, exec_lo
	s_or_saveexec_b32 s2, s2
	v_mov_b32_e32 v3, s40
	s_xor_b32 exec_lo, exec_lo, s2
	s_cbranch_execnz .LBB159_311
.LBB159_295:
	s_or_b32 exec_lo, exec_lo, s2
	s_and_saveexec_b32 s2, s38
	s_cbranch_execz .LBB159_297
.LBB159_296:
	v_and_b32_e32 v3, 0xffff, v4
	v_lshlrev_b32_e32 v4, 24, v4
	s_delay_alu instid0(VALU_DEP_2) | instskip(NEXT) | instid1(VALU_DEP_2)
	v_and_b32_e32 v8, 7, v3
	v_and_b32_e32 v4, 0x80000000, v4
	s_delay_alu instid0(VALU_DEP_2) | instskip(NEXT) | instid1(VALU_DEP_1)
	v_clz_i32_u32_e32 v9, v8
	v_min_u32_e32 v9, 32, v9
	s_delay_alu instid0(VALU_DEP_1) | instskip(SKIP_1) | instid1(VALU_DEP_2)
	v_subrev_nc_u32_e32 v10, 28, v9
	v_sub_nc_u32_e32 v9, 29, v9
	v_lshlrev_b32_e32 v10, v10, v3
	v_bfe_u32 v3, v3, 3, 4
	s_delay_alu instid0(VALU_DEP_2) | instskip(NEXT) | instid1(VALU_DEP_2)
	v_and_b32_e32 v10, 7, v10
	v_cmp_eq_u32_e32 vcc_lo, 0, v3
	s_delay_alu instid0(VALU_DEP_2) | instskip(NEXT) | instid1(VALU_DEP_1)
	v_dual_cndmask_b32 v3, v3, v9 :: v_dual_cndmask_b32 v8, v8, v10
	v_lshl_add_u32 v3, v3, 23, 0x3b800000
	s_delay_alu instid0(VALU_DEP_2) | instskip(NEXT) | instid1(VALU_DEP_1)
	v_lshlrev_b32_e32 v8, 20, v8
	v_or3_b32 v3, v4, v3, v8
	s_delay_alu instid0(VALU_DEP_1) | instskip(NEXT) | instid1(VALU_DEP_1)
	v_trunc_f32_e32 v3, v3
	v_mul_f32_e64 v4, 0x2f800000, |v3|
	s_delay_alu instid0(VALU_DEP_1) | instskip(NEXT) | instid1(VALU_DEP_1)
	v_floor_f32_e32 v4, v4
	v_fma_f32 v4, 0xcf800000, v4, |v3|
	v_ashrrev_i32_e32 v3, 31, v3
	s_delay_alu instid0(VALU_DEP_2) | instskip(NEXT) | instid1(VALU_DEP_1)
	v_cvt_u32_f32_e32 v4, v4
	v_xor_b32_e32 v4, v4, v3
	s_delay_alu instid0(VALU_DEP_1)
	v_sub_nc_u32_e32 v3, v4, v3
.LBB159_297:
	s_or_b32 exec_lo, exec_lo, s2
.LBB159_298:
	s_mov_b32 s2, -1
.LBB159_299:
	s_mov_b32 s38, 0
.LBB159_300:
	s_delay_alu instid0(SALU_CYCLE_1)
	s_and_b32 vcc_lo, exec_lo, s38
	s_cbranch_vccz .LBB159_333
; %bb.301:
	v_cmp_lt_i16_e32 vcc_lo, 22, v6
	s_cbranch_vccz .LBB159_309
; %bb.302:
	v_cmp_gt_i16_e32 vcc_lo, 24, v6
	s_cbranch_vccnz .LBB159_312
; %bb.303:
	v_cmp_lt_i16_e32 vcc_lo, 24, v6
	s_cbranch_vccz .LBB159_313
; %bb.304:
	global_load_u8 v4, v[1:2], off
	s_mov_b32 s38, 0
	s_mov_b32 s2, exec_lo
                                        ; implicit-def: $sgpr40
	s_waitcnt vmcnt(0)
	v_cmpx_lt_i16_e32 0x7f, v4
	s_xor_b32 s2, exec_lo, s2
	s_cbranch_execz .LBB159_325
; %bb.305:
	v_cmp_ne_u16_e32 vcc_lo, 0x80, v4
	s_mov_b32 s40, 0
	s_and_b32 s38, vcc_lo, exec_lo
	s_or_saveexec_b32 s2, s2
	v_mov_b32_e32 v3, s40
	s_xor_b32 exec_lo, exec_lo, s2
	s_cbranch_execnz .LBB159_326
.LBB159_306:
	s_or_b32 exec_lo, exec_lo, s2
	s_and_saveexec_b32 s2, s38
	s_cbranch_execz .LBB159_308
.LBB159_307:
	v_and_b32_e32 v3, 0xffff, v4
	v_lshlrev_b32_e32 v4, 24, v4
	s_delay_alu instid0(VALU_DEP_2) | instskip(NEXT) | instid1(VALU_DEP_2)
	v_and_b32_e32 v8, 3, v3
	v_and_b32_e32 v4, 0x80000000, v4
	s_delay_alu instid0(VALU_DEP_2) | instskip(NEXT) | instid1(VALU_DEP_1)
	v_clz_i32_u32_e32 v9, v8
	v_min_u32_e32 v9, 32, v9
	s_delay_alu instid0(VALU_DEP_1) | instskip(SKIP_1) | instid1(VALU_DEP_2)
	v_subrev_nc_u32_e32 v10, 29, v9
	v_sub_nc_u32_e32 v9, 30, v9
	v_lshlrev_b32_e32 v10, v10, v3
	v_bfe_u32 v3, v3, 2, 5
	s_delay_alu instid0(VALU_DEP_2) | instskip(NEXT) | instid1(VALU_DEP_2)
	v_and_b32_e32 v10, 3, v10
	v_cmp_eq_u32_e32 vcc_lo, 0, v3
	s_delay_alu instid0(VALU_DEP_2) | instskip(NEXT) | instid1(VALU_DEP_1)
	v_dual_cndmask_b32 v3, v3, v9 :: v_dual_cndmask_b32 v8, v8, v10
	v_lshl_add_u32 v3, v3, 23, 0x37800000
	s_delay_alu instid0(VALU_DEP_2) | instskip(NEXT) | instid1(VALU_DEP_1)
	v_lshlrev_b32_e32 v8, 21, v8
	v_or3_b32 v3, v4, v3, v8
	s_delay_alu instid0(VALU_DEP_1) | instskip(NEXT) | instid1(VALU_DEP_1)
	v_trunc_f32_e32 v3, v3
	v_mul_f32_e64 v4, 0x2f800000, |v3|
	s_delay_alu instid0(VALU_DEP_1) | instskip(NEXT) | instid1(VALU_DEP_1)
	v_floor_f32_e32 v4, v4
	v_fma_f32 v4, 0xcf800000, v4, |v3|
	v_ashrrev_i32_e32 v3, 31, v3
	s_delay_alu instid0(VALU_DEP_2) | instskip(NEXT) | instid1(VALU_DEP_1)
	v_cvt_u32_f32_e32 v4, v4
	v_xor_b32_e32 v4, v4, v3
	s_delay_alu instid0(VALU_DEP_1)
	v_sub_nc_u32_e32 v3, v4, v3
.LBB159_308:
	s_or_b32 exec_lo, exec_lo, s2
	s_mov_b32 s2, 0
	s_branch .LBB159_314
.LBB159_309:
	s_mov_b32 s38, -1
                                        ; implicit-def: $vgpr3
	s_branch .LBB159_320
.LBB159_310:
	s_or_saveexec_b32 s2, s2
	v_mov_b32_e32 v3, s40
	s_xor_b32 exec_lo, exec_lo, s2
	s_cbranch_execz .LBB159_295
.LBB159_311:
	v_cmp_ne_u16_e32 vcc_lo, 0, v4
	v_mov_b32_e32 v3, 0
	s_and_not1_b32 s38, s38, exec_lo
	s_and_b32 s40, vcc_lo, exec_lo
	s_delay_alu instid0(SALU_CYCLE_1)
	s_or_b32 s38, s38, s40
	s_or_b32 exec_lo, exec_lo, s2
	s_and_saveexec_b32 s2, s38
	s_cbranch_execnz .LBB159_296
	s_branch .LBB159_297
.LBB159_312:
	s_mov_b32 s2, -1
                                        ; implicit-def: $vgpr3
	s_branch .LBB159_317
.LBB159_313:
	s_mov_b32 s2, -1
                                        ; implicit-def: $vgpr3
.LBB159_314:
	s_delay_alu instid0(SALU_CYCLE_1)
	s_and_b32 vcc_lo, exec_lo, s2
	s_cbranch_vccz .LBB159_316
; %bb.315:
	global_load_u8 v3, v[1:2], off
	s_waitcnt vmcnt(0)
	v_lshlrev_b32_e32 v3, 24, v3
	s_delay_alu instid0(VALU_DEP_1) | instskip(NEXT) | instid1(VALU_DEP_1)
	v_and_b32_e32 v4, 0x7f000000, v3
	v_clz_i32_u32_e32 v8, v4
	v_add_nc_u32_e32 v10, 0x1000000, v4
	v_cmp_ne_u32_e32 vcc_lo, 0, v4
	s_delay_alu instid0(VALU_DEP_3) | instskip(NEXT) | instid1(VALU_DEP_1)
	v_min_u32_e32 v8, 32, v8
	v_sub_nc_u32_e64 v8, v8, 4 clamp
	s_delay_alu instid0(VALU_DEP_1) | instskip(SKIP_1) | instid1(VALU_DEP_2)
	v_lshlrev_b32_e32 v9, v8, v4
	v_lshlrev_b32_e32 v8, 23, v8
	v_lshrrev_b32_e32 v9, 4, v9
	s_delay_alu instid0(VALU_DEP_1) | instskip(SKIP_1) | instid1(VALU_DEP_2)
	v_sub_nc_u32_e32 v8, v9, v8
	v_ashrrev_i32_e32 v9, 8, v10
	v_add_nc_u32_e32 v8, 0x3c000000, v8
	s_delay_alu instid0(VALU_DEP_1) | instskip(NEXT) | instid1(VALU_DEP_1)
	v_and_or_b32 v8, 0x7f800000, v9, v8
	v_cndmask_b32_e32 v4, 0, v8, vcc_lo
	s_delay_alu instid0(VALU_DEP_1) | instskip(NEXT) | instid1(VALU_DEP_1)
	v_and_or_b32 v3, 0x80000000, v3, v4
	v_trunc_f32_e32 v3, v3
	s_delay_alu instid0(VALU_DEP_1) | instskip(NEXT) | instid1(VALU_DEP_1)
	v_mul_f32_e64 v4, 0x2f800000, |v3|
	v_floor_f32_e32 v4, v4
	s_delay_alu instid0(VALU_DEP_1) | instskip(SKIP_1) | instid1(VALU_DEP_2)
	v_fma_f32 v4, 0xcf800000, v4, |v3|
	v_ashrrev_i32_e32 v3, 31, v3
	v_cvt_u32_f32_e32 v4, v4
	s_delay_alu instid0(VALU_DEP_1) | instskip(NEXT) | instid1(VALU_DEP_1)
	v_xor_b32_e32 v4, v4, v3
	v_sub_nc_u32_e32 v3, v4, v3
.LBB159_316:
	s_mov_b32 s2, 0
.LBB159_317:
	s_delay_alu instid0(SALU_CYCLE_1)
	s_and_not1_b32 vcc_lo, exec_lo, s2
	s_cbranch_vccnz .LBB159_319
; %bb.318:
	global_load_u8 v3, v[1:2], off
	s_waitcnt vmcnt(0)
	v_lshlrev_b32_e32 v4, 25, v3
	v_lshlrev_b16 v3, 8, v3
	s_delay_alu instid0(VALU_DEP_1) | instskip(SKIP_1) | instid1(VALU_DEP_2)
	v_and_or_b32 v9, 0x7f00, v3, 0.5
	v_bfe_i32 v3, v3, 0, 16
	v_add_f32_e32 v9, -0.5, v9
	v_lshrrev_b32_e32 v8, 4, v4
	v_cmp_gt_u32_e32 vcc_lo, 0x8000000, v4
	s_delay_alu instid0(VALU_DEP_2) | instskip(NEXT) | instid1(VALU_DEP_1)
	v_or_b32_e32 v8, 0x70000000, v8
	v_mul_f32_e32 v8, 0x7800000, v8
	s_delay_alu instid0(VALU_DEP_1) | instskip(NEXT) | instid1(VALU_DEP_1)
	v_cndmask_b32_e32 v4, v8, v9, vcc_lo
	v_and_or_b32 v3, 0x80000000, v3, v4
	s_delay_alu instid0(VALU_DEP_1) | instskip(NEXT) | instid1(VALU_DEP_1)
	v_trunc_f32_e32 v3, v3
	v_mul_f32_e64 v4, 0x2f800000, |v3|
	s_delay_alu instid0(VALU_DEP_1) | instskip(NEXT) | instid1(VALU_DEP_1)
	v_floor_f32_e32 v4, v4
	v_fma_f32 v4, 0xcf800000, v4, |v3|
	v_ashrrev_i32_e32 v3, 31, v3
	s_delay_alu instid0(VALU_DEP_2) | instskip(NEXT) | instid1(VALU_DEP_1)
	v_cvt_u32_f32_e32 v4, v4
	v_xor_b32_e32 v4, v4, v3
	s_delay_alu instid0(VALU_DEP_1)
	v_sub_nc_u32_e32 v3, v4, v3
.LBB159_319:
	s_mov_b32 s38, 0
	s_mov_b32 s2, -1
.LBB159_320:
	s_and_not1_b32 vcc_lo, exec_lo, s38
	s_cbranch_vccnz .LBB159_333
; %bb.321:
	v_cmp_lt_i16_e32 vcc_lo, 14, v6
	s_cbranch_vccz .LBB159_324
; %bb.322:
	v_cmp_eq_u16_e32 vcc_lo, 15, v6
	s_cbranch_vccz .LBB159_327
; %bb.323:
	global_load_u16 v3, v[1:2], off
	s_mov_b32 s2, -1
	s_mov_b32 s39, 0
	s_waitcnt vmcnt(0)
	v_lshlrev_b32_e32 v3, 16, v3
	s_delay_alu instid0(VALU_DEP_1) | instskip(NEXT) | instid1(VALU_DEP_1)
	v_trunc_f32_e32 v3, v3
	v_mul_f32_e64 v4, 0x2f800000, |v3|
	s_delay_alu instid0(VALU_DEP_1) | instskip(NEXT) | instid1(VALU_DEP_1)
	v_floor_f32_e32 v4, v4
	v_fma_f32 v4, 0xcf800000, v4, |v3|
	v_ashrrev_i32_e32 v3, 31, v3
	s_delay_alu instid0(VALU_DEP_2) | instskip(NEXT) | instid1(VALU_DEP_1)
	v_cvt_u32_f32_e32 v4, v4
	v_xor_b32_e32 v4, v4, v3
	s_delay_alu instid0(VALU_DEP_1)
	v_sub_nc_u32_e32 v3, v4, v3
	s_branch .LBB159_328
.LBB159_324:
	s_mov_b32 s38, -1
                                        ; implicit-def: $vgpr3
	s_branch .LBB159_329
.LBB159_325:
	s_or_saveexec_b32 s2, s2
	v_mov_b32_e32 v3, s40
	s_xor_b32 exec_lo, exec_lo, s2
	s_cbranch_execz .LBB159_306
.LBB159_326:
	v_cmp_ne_u16_e32 vcc_lo, 0, v4
	v_mov_b32_e32 v3, 0
	s_and_not1_b32 s38, s38, exec_lo
	s_and_b32 s40, vcc_lo, exec_lo
	s_delay_alu instid0(SALU_CYCLE_1)
	s_or_b32 s38, s38, s40
	s_or_b32 exec_lo, exec_lo, s2
	s_and_saveexec_b32 s2, s38
	s_cbranch_execnz .LBB159_307
	s_branch .LBB159_308
.LBB159_327:
	s_mov_b32 s39, -1
                                        ; implicit-def: $vgpr3
.LBB159_328:
	s_mov_b32 s38, 0
.LBB159_329:
	s_delay_alu instid0(SALU_CYCLE_1)
	s_and_b32 vcc_lo, exec_lo, s38
	s_cbranch_vccz .LBB159_333
; %bb.330:
	v_cmp_eq_u16_e32 vcc_lo, 11, v6
	s_cbranch_vccz .LBB159_332
; %bb.331:
	global_load_u8 v3, v[1:2], off
	s_mov_b32 s39, 0
	s_mov_b32 s2, -1
	s_waitcnt vmcnt(0)
	v_cmp_ne_u16_e32 vcc_lo, 0, v3
	v_cndmask_b32_e64 v3, 0, 1, vcc_lo
	s_branch .LBB159_333
.LBB159_332:
	s_mov_b32 s39, -1
                                        ; implicit-def: $vgpr3
.LBB159_333:
	s_branch .LBB159_30
.LBB159_334:
	v_cmp_gt_i16_e32 vcc_lo, 5, v6
	s_cbranch_vccnz .LBB159_339
; %bb.335:
	v_cmp_gt_i16_e32 vcc_lo, 8, v6
	s_cbranch_vccnz .LBB159_340
; %bb.336:
	;; [unrolled: 3-line block ×3, first 2 shown]
	v_cmp_lt_i16_e32 vcc_lo, 9, v6
	s_cbranch_vccz .LBB159_342
; %bb.338:
	global_load_b64 v[3:4], v[1:2], off
	s_mov_b32 s2, 0
	s_waitcnt vmcnt(0)
	v_trunc_f64_e32 v[3:4], v[3:4]
	s_delay_alu instid0(VALU_DEP_1) | instskip(NEXT) | instid1(VALU_DEP_1)
	v_ldexp_f64 v[8:9], v[3:4], 0xffffffe0
	v_floor_f64_e32 v[8:9], v[8:9]
	s_delay_alu instid0(VALU_DEP_1) | instskip(NEXT) | instid1(VALU_DEP_1)
	v_fma_f64 v[3:4], 0xc1f00000, v[8:9], v[3:4]
	v_cvt_u32_f64_e32 v3, v[3:4]
	s_branch .LBB159_343
.LBB159_339:
	s_mov_b32 s2, -1
                                        ; implicit-def: $vgpr3
	s_branch .LBB159_361
.LBB159_340:
	s_mov_b32 s2, -1
                                        ; implicit-def: $vgpr3
	s_branch .LBB159_349
.LBB159_341:
	s_mov_b32 s2, -1
                                        ; implicit-def: $vgpr3
	s_branch .LBB159_346
.LBB159_342:
	s_mov_b32 s2, -1
                                        ; implicit-def: $vgpr3
.LBB159_343:
	s_delay_alu instid0(SALU_CYCLE_1)
	s_and_not1_b32 vcc_lo, exec_lo, s2
	s_cbranch_vccnz .LBB159_345
; %bb.344:
	global_load_b32 v3, v[1:2], off
	s_waitcnt vmcnt(0)
	v_trunc_f32_e32 v3, v3
	s_delay_alu instid0(VALU_DEP_1) | instskip(NEXT) | instid1(VALU_DEP_1)
	v_mul_f32_e64 v4, 0x2f800000, |v3|
	v_floor_f32_e32 v4, v4
	s_delay_alu instid0(VALU_DEP_1) | instskip(SKIP_1) | instid1(VALU_DEP_2)
	v_fma_f32 v4, 0xcf800000, v4, |v3|
	v_ashrrev_i32_e32 v3, 31, v3
	v_cvt_u32_f32_e32 v4, v4
	s_delay_alu instid0(VALU_DEP_1) | instskip(NEXT) | instid1(VALU_DEP_1)
	v_xor_b32_e32 v4, v4, v3
	v_sub_nc_u32_e32 v3, v4, v3
.LBB159_345:
	s_mov_b32 s2, 0
.LBB159_346:
	s_delay_alu instid0(SALU_CYCLE_1)
	s_and_not1_b32 vcc_lo, exec_lo, s2
	s_cbranch_vccnz .LBB159_348
; %bb.347:
	global_load_b32 v3, v[1:2], off
	s_waitcnt vmcnt(0)
	v_cvt_f32_f16_e32 v3, v3
	s_delay_alu instid0(VALU_DEP_1)
	v_cvt_i32_f32_e32 v3, v3
.LBB159_348:
	s_mov_b32 s2, 0
.LBB159_349:
	s_delay_alu instid0(SALU_CYCLE_1)
	s_and_not1_b32 vcc_lo, exec_lo, s2
	s_cbranch_vccnz .LBB159_360
; %bb.350:
	v_cmp_gt_i16_e32 vcc_lo, 6, v6
	s_cbranch_vccnz .LBB159_353
; %bb.351:
	v_cmp_lt_i16_e32 vcc_lo, 6, v6
	s_cbranch_vccz .LBB159_354
; %bb.352:
	global_load_b64 v[3:4], v[1:2], off
	s_mov_b32 s2, 0
	s_waitcnt vmcnt(0)
	v_trunc_f64_e32 v[3:4], v[3:4]
	s_delay_alu instid0(VALU_DEP_1) | instskip(NEXT) | instid1(VALU_DEP_1)
	v_ldexp_f64 v[8:9], v[3:4], 0xffffffe0
	v_floor_f64_e32 v[8:9], v[8:9]
	s_delay_alu instid0(VALU_DEP_1) | instskip(NEXT) | instid1(VALU_DEP_1)
	v_fma_f64 v[3:4], 0xc1f00000, v[8:9], v[3:4]
	v_cvt_u32_f64_e32 v3, v[3:4]
	s_branch .LBB159_355
.LBB159_353:
	s_mov_b32 s2, -1
                                        ; implicit-def: $vgpr3
	s_branch .LBB159_358
.LBB159_354:
	s_mov_b32 s2, -1
                                        ; implicit-def: $vgpr3
.LBB159_355:
	s_delay_alu instid0(SALU_CYCLE_1)
	s_and_not1_b32 vcc_lo, exec_lo, s2
	s_cbranch_vccnz .LBB159_357
; %bb.356:
	global_load_b32 v3, v[1:2], off
	s_waitcnt vmcnt(0)
	v_trunc_f32_e32 v3, v3
	s_delay_alu instid0(VALU_DEP_1) | instskip(NEXT) | instid1(VALU_DEP_1)
	v_mul_f32_e64 v4, 0x2f800000, |v3|
	v_floor_f32_e32 v4, v4
	s_delay_alu instid0(VALU_DEP_1) | instskip(SKIP_1) | instid1(VALU_DEP_2)
	v_fma_f32 v4, 0xcf800000, v4, |v3|
	v_ashrrev_i32_e32 v3, 31, v3
	v_cvt_u32_f32_e32 v4, v4
	s_delay_alu instid0(VALU_DEP_1) | instskip(NEXT) | instid1(VALU_DEP_1)
	v_xor_b32_e32 v4, v4, v3
	v_sub_nc_u32_e32 v3, v4, v3
.LBB159_357:
	s_mov_b32 s2, 0
.LBB159_358:
	s_delay_alu instid0(SALU_CYCLE_1)
	s_and_not1_b32 vcc_lo, exec_lo, s2
	s_cbranch_vccnz .LBB159_360
; %bb.359:
	global_load_u16 v3, v[1:2], off
	s_waitcnt vmcnt(0)
	v_cvt_f32_f16_e32 v3, v3
	s_delay_alu instid0(VALU_DEP_1)
	v_cvt_i32_f32_e32 v3, v3
.LBB159_360:
	s_mov_b32 s2, 0
.LBB159_361:
	s_delay_alu instid0(SALU_CYCLE_1)
	s_and_not1_b32 vcc_lo, exec_lo, s2
	s_cbranch_vccnz .LBB159_381
; %bb.362:
	v_cmp_gt_i16_e32 vcc_lo, 2, v6
	s_cbranch_vccnz .LBB159_366
; %bb.363:
	v_cmp_gt_i16_e32 vcc_lo, 3, v6
	s_cbranch_vccnz .LBB159_367
; %bb.364:
	v_cmp_lt_i16_e32 vcc_lo, 3, v6
	s_cbranch_vccz .LBB159_368
; %bb.365:
	global_load_b64 v[3:4], v[1:2], off
	s_mov_b32 s2, 0
	s_branch .LBB159_369
.LBB159_366:
	s_mov_b32 s2, -1
                                        ; implicit-def: $vgpr3
	s_branch .LBB159_375
.LBB159_367:
	s_mov_b32 s2, -1
                                        ; implicit-def: $vgpr3
	s_branch .LBB159_372
.LBB159_368:
	s_mov_b32 s2, -1
                                        ; implicit-def: $vgpr3
.LBB159_369:
	s_delay_alu instid0(SALU_CYCLE_1)
	s_and_not1_b32 vcc_lo, exec_lo, s2
	s_cbranch_vccnz .LBB159_371
; %bb.370:
	global_load_b32 v3, v[1:2], off
.LBB159_371:
	s_mov_b32 s2, 0
.LBB159_372:
	s_delay_alu instid0(SALU_CYCLE_1)
	s_and_not1_b32 vcc_lo, exec_lo, s2
	s_cbranch_vccnz .LBB159_374
; %bb.373:
	global_load_u16 v3, v[1:2], off
.LBB159_374:
	s_mov_b32 s2, 0
.LBB159_375:
	s_delay_alu instid0(SALU_CYCLE_1)
	s_and_not1_b32 vcc_lo, exec_lo, s2
	s_cbranch_vccnz .LBB159_381
; %bb.376:
	v_cmp_lt_i16_e32 vcc_lo, 0, v6
	s_mov_b32 s2, 0
	s_cbranch_vccz .LBB159_378
; %bb.377:
	global_load_u8 v3, v[1:2], off
	s_branch .LBB159_379
.LBB159_378:
	s_mov_b32 s2, -1
                                        ; implicit-def: $vgpr3
.LBB159_379:
	s_delay_alu instid0(SALU_CYCLE_1)
	s_and_not1_b32 vcc_lo, exec_lo, s2
	s_cbranch_vccnz .LBB159_381
; %bb.380:
	global_load_u8 v3, v[1:2], off
.LBB159_381:
	s_branch .LBB159_31
.LBB159_382:
	s_mov_b32 s2, 0
.LBB159_383:
	s_mov_b32 s43, 0
                                        ; implicit-def: $vgpr7
.LBB159_384:
	s_and_b32 s38, s2, exec_lo
	s_and_b32 s39, s39, exec_lo
	;; [unrolled: 1-line block ×3, first 2 shown]
	s_or_not1_b32 s2, s43, exec_lo
.LBB159_385:
	s_or_b32 exec_lo, exec_lo, s41
	s_mov_b32 s44, 0
	s_mov_b32 s43, 0
                                        ; implicit-def: $vgpr4
                                        ; implicit-def: $vgpr2_vgpr3
                                        ; implicit-def: $vgpr0
                                        ; implicit-def: $vgpr1
                                        ; implicit-def: $vgpr6
	s_and_saveexec_b32 s41, s2
	s_cbranch_execz .LBB159_1269
; %bb.386:
	s_mov_b32 s47, -1
	s_mov_b32 s42, s40
	s_mov_b32 s44, s39
	;; [unrolled: 1-line block ×3, first 2 shown]
	s_mov_b32 s45, exec_lo
	v_cmpx_gt_i32_e64 s36, v7
	s_cbranch_execz .LBB159_703
; %bb.387:
	s_and_not1_b32 vcc_lo, exec_lo, s29
	s_cbranch_vccnz .LBB159_393
; %bb.388:
	v_dual_mov_b32 v0, 0 :: v_dual_mov_b32 v1, 0
	v_mov_b32_e32 v2, 0
	s_and_not1_b32 vcc_lo, exec_lo, s37
	s_mov_b32 s42, 0
	s_cbranch_vccnz .LBB159_394
; %bb.389:
	s_add_i32 s2, s35, 1
	v_dual_mov_b32 v1, 0 :: v_dual_mov_b32 v2, 0
	s_waitcnt vmcnt(0)
	v_dual_mov_b32 v0, 0 :: v_dual_mov_b32 v3, v7
	s_and_b32 s43, s2, 30
	s_add_u32 s2, s20, 0xffffffec
	s_addc_u32 s3, s21, -1
	s_set_inst_prefetch_distance 0x1
	.p2align	6
.LBB159_390:                            ; =>This Inner Loop Header: Depth=1
	s_clause 0x2
	s_load_b128 s[48:51], s[2:3], 0x18
	s_load_b64 s[46:47], s[2:3], 0x28
	s_load_b128 s[52:55], s[2:3], 0xd8
	s_waitcnt lgkmcnt(0)
	v_mul_hi_u32 v4, s49, v3
	s_delay_alu instid0(VALU_DEP_1) | instskip(NEXT) | instid1(VALU_DEP_1)
	v_add_nc_u32_e32 v4, v3, v4
	v_lshrrev_b32_e32 v4, s50, v4
	s_delay_alu instid0(VALU_DEP_1)
	v_mul_hi_u32 v5, s46, v4
	v_mul_lo_u32 v6, v4, s48
	s_load_b64 s[48:49], s[2:3], 0xe8
	s_add_u32 s2, s2, 24
	s_addc_u32 s3, s3, 0
	s_add_i32 s43, s43, -2
	s_delay_alu instid0(SALU_CYCLE_1) | instskip(NEXT) | instid1(VALU_DEP_2)
	s_cmp_eq_u32 s43, 0
	v_add_nc_u32_e32 v5, v4, v5
	s_delay_alu instid0(VALU_DEP_2) | instskip(NEXT) | instid1(VALU_DEP_2)
	v_sub_nc_u32_e32 v6, v3, v6
	v_lshrrev_b32_e32 v3, s47, v5
	s_delay_alu instid0(VALU_DEP_2) | instskip(NEXT) | instid1(VALU_DEP_2)
	v_mul_lo_u32 v8, v6, s52
	v_mul_lo_u32 v5, v3, s51
	s_delay_alu instid0(VALU_DEP_1) | instskip(SKIP_2) | instid1(VALU_DEP_3)
	v_sub_nc_u32_e32 v4, v4, v5
	v_mul_lo_u32 v5, v6, s53
	v_mul_lo_u32 v6, v6, s54
	;; [unrolled: 1-line block ×3, first 2 shown]
	s_waitcnt lgkmcnt(0)
	v_mul_lo_u32 v10, v4, s48
	v_mul_lo_u32 v4, v4, s49
	s_delay_alu instid0(VALU_DEP_3) | instskip(NEXT) | instid1(VALU_DEP_3)
	v_add3_u32 v0, v8, v0, v9
	v_add3_u32 v2, v5, v2, v10
	s_delay_alu instid0(VALU_DEP_3)
	v_add3_u32 v1, v6, v1, v4
	s_cbranch_scc0 .LBB159_390
; %bb.391:
	s_set_inst_prefetch_distance 0x2
	s_bitcmp1_b32 s35, 0
	s_cselect_b32 s43, -1, 0
	s_delay_alu instid0(SALU_CYCLE_1)
	s_and_b32 vcc_lo, exec_lo, s43
	s_cbranch_vccnz .LBB159_394
; %bb.392:
	s_clause 0x3
	s_load_b64 s[46:47], s[2:3], 0x18
	s_load_b32 s43, s[2:3], 0x20
	s_load_b64 s[48:49], s[2:3], 0xd8
	s_load_b32 s2, s[2:3], 0xe0
	s_waitcnt lgkmcnt(0)
	v_mul_hi_u32 v4, s47, v3
	s_delay_alu instid0(VALU_DEP_1) | instskip(NEXT) | instid1(VALU_DEP_1)
	v_add_nc_u32_e32 v4, v3, v4
	v_lshrrev_b32_e32 v4, s43, v4
	s_delay_alu instid0(VALU_DEP_1) | instskip(NEXT) | instid1(VALU_DEP_1)
	v_mul_lo_u32 v4, v4, s46
	v_sub_nc_u32_e32 v8, v3, v4
	s_delay_alu instid0(VALU_DEP_1) | instskip(NEXT) | instid1(VALU_DEP_1)
	v_mad_u64_u32 v[3:4], null, v8, s48, v[0:1]
	v_mad_u64_u32 v[4:5], null, v8, s49, v[2:3]
	;; [unrolled: 1-line block ×3, first 2 shown]
	v_mov_b32_e32 v0, v3
	s_delay_alu instid0(VALU_DEP_2)
	v_dual_mov_b32 v2, v4 :: v_dual_mov_b32 v1, v5
	s_branch .LBB159_394
.LBB159_393:
	s_mov_b32 s42, -1
                                        ; implicit-def: $vgpr0
                                        ; implicit-def: $vgpr2
                                        ; implicit-def: $vgpr1
.LBB159_394:
	s_delay_alu instid0(SALU_CYCLE_1)
	s_and_not1_b32 vcc_lo, exec_lo, s42
	s_cbranch_vccnz .LBB159_397
; %bb.395:
	v_mul_hi_u32 v0, s17, v7
	s_and_not1_b32 vcc_lo, exec_lo, s34
	s_delay_alu instid0(VALU_DEP_1) | instskip(SKIP_1) | instid1(VALU_DEP_1)
	v_add_nc_u32_e32 v0, v7, v0
	s_waitcnt vmcnt(0)
	v_lshrrev_b32_e32 v3, s18, v0
	s_delay_alu instid0(VALU_DEP_1) | instskip(NEXT) | instid1(VALU_DEP_1)
	v_mul_lo_u32 v0, v3, s16
	v_sub_nc_u32_e32 v1, v7, v0
	s_delay_alu instid0(VALU_DEP_1)
	v_mul_lo_u32 v0, v1, s12
	v_mul_lo_u32 v2, v1, s13
	;; [unrolled: 1-line block ×3, first 2 shown]
	s_cbranch_vccnz .LBB159_397
; %bb.396:
	v_mul_hi_u32 v4, s24, v3
	s_delay_alu instid0(VALU_DEP_1) | instskip(NEXT) | instid1(VALU_DEP_1)
	v_add_nc_u32_e32 v4, v3, v4
	v_lshrrev_b32_e32 v4, s25, v4
	s_delay_alu instid0(VALU_DEP_1) | instskip(NEXT) | instid1(VALU_DEP_1)
	v_mul_lo_u32 v4, v4, s19
	v_sub_nc_u32_e32 v8, v3, v4
	s_delay_alu instid0(VALU_DEP_1) | instskip(NEXT) | instid1(VALU_DEP_1)
	v_mad_u64_u32 v[3:4], null, v8, s15, v[0:1]
	v_mad_u64_u32 v[4:5], null, v8, s22, v[2:3]
	;; [unrolled: 1-line block ×3, first 2 shown]
	v_mov_b32_e32 v0, v3
	s_delay_alu instid0(VALU_DEP_2)
	v_dual_mov_b32 v2, v4 :: v_dual_mov_b32 v1, v5
.LBB159_397:
	s_waitcnt vmcnt(0)
	v_and_b32_e64 v4, 0xff, s33
	s_delay_alu instid0(VALU_DEP_2) | instskip(NEXT) | instid1(VALU_DEP_1)
	v_add_co_u32 v2, s2, s6, v2
	v_add_co_ci_u32_e64 v3, null, s7, 0, s2
	s_delay_alu instid0(VALU_DEP_3)
	v_cmp_gt_i16_e32 vcc_lo, 11, v4
	s_mov_b32 s2, 0
	s_cbranch_vccnz .LBB159_404
; %bb.398:
	v_cmp_lt_i16_e32 vcc_lo, 25, v4
	s_cbranch_vccz .LBB159_413
; %bb.399:
	v_cmp_lt_i16_e32 vcc_lo, 28, v4
	s_cbranch_vccz .LBB159_415
	;; [unrolled: 3-line block ×4, first 2 shown]
; %bb.402:
	v_cmp_eq_u16_e32 vcc_lo, 46, v4
	s_mov_b32 s42, 0
	s_cbranch_vccz .LBB159_421
; %bb.403:
	global_load_b32 v5, v[2:3], off
	s_mov_b32 s2, -1
	s_mov_b32 s3, 0
	s_waitcnt vmcnt(0)
	v_lshlrev_b32_e32 v5, 16, v5
	s_branch .LBB159_423
.LBB159_404:
	s_mov_b32 s3, s40
                                        ; implicit-def: $vgpr5
	s_cbranch_execnz .LBB159_489
.LBB159_405:
	s_and_not1_b32 vcc_lo, exec_lo, s2
	s_cbranch_vccnz .LBB159_537
.LBB159_406:
	v_and_b32_e64 v6, 0xff, s31
	v_add_co_u32 v1, s2, s8, v1
	s_delay_alu instid0(VALU_DEP_1) | instskip(NEXT) | instid1(VALU_DEP_3)
	v_add_co_ci_u32_e64 v2, null, s9, 0, s2
	v_cmp_gt_i16_e32 vcc_lo, 11, v6
	s_mov_b32 s2, 0
	s_cbranch_vccnz .LBB159_414
; %bb.407:
	v_cmp_lt_i16_e32 vcc_lo, 25, v6
	s_cbranch_vccz .LBB159_416
; %bb.408:
	v_cmp_lt_i16_e32 vcc_lo, 28, v6
	s_cbranch_vccz .LBB159_418
	;; [unrolled: 3-line block ×4, first 2 shown]
; %bb.411:
	v_cmp_eq_u16_e32 vcc_lo, 46, v6
	s_mov_b32 s43, 0
	s_cbranch_vccz .LBB159_540
; %bb.412:
	global_load_b32 v3, v[1:2], off
	s_mov_b32 s2, -1
	s_mov_b32 s42, 0
	s_waitcnt vmcnt(0)
	v_lshlrev_b32_e32 v3, 16, v3
	s_delay_alu instid0(VALU_DEP_1) | instskip(NEXT) | instid1(VALU_DEP_1)
	v_trunc_f32_e32 v3, v3
	v_mul_f32_e64 v4, 0x2f800000, |v3|
	s_delay_alu instid0(VALU_DEP_1) | instskip(NEXT) | instid1(VALU_DEP_1)
	v_floor_f32_e32 v4, v4
	v_fma_f32 v4, 0xcf800000, v4, |v3|
	v_ashrrev_i32_e32 v3, 31, v3
	s_delay_alu instid0(VALU_DEP_2) | instskip(NEXT) | instid1(VALU_DEP_1)
	v_cvt_u32_f32_e32 v4, v4
	v_xor_b32_e32 v4, v4, v3
	s_delay_alu instid0(VALU_DEP_1)
	v_sub_nc_u32_e32 v3, v4, v3
	s_branch .LBB159_542
.LBB159_413:
	s_mov_b32 s42, -1
	s_mov_b32 s3, s40
                                        ; implicit-def: $vgpr5
	s_branch .LBB159_453
.LBB159_414:
	s_mov_b32 s43, -1
	s_mov_b32 s42, s39
                                        ; implicit-def: $vgpr3
	s_branch .LBB159_603
.LBB159_415:
	s_mov_b32 s42, -1
	s_mov_b32 s3, s40
                                        ; implicit-def: $vgpr5
	s_branch .LBB159_434
.LBB159_416:
	s_mov_b32 s43, -1
	s_mov_b32 s42, s39
                                        ; implicit-def: $vgpr3
	s_branch .LBB159_569
.LBB159_417:
	s_mov_b32 s42, -1
	s_mov_b32 s3, s40
                                        ; implicit-def: $vgpr5
	s_branch .LBB159_429
.LBB159_418:
	s_mov_b32 s43, -1
	s_mov_b32 s42, s39
                                        ; implicit-def: $vgpr3
	s_branch .LBB159_552
.LBB159_419:
	s_mov_b32 s42, -1
	s_mov_b32 s3, s40
	s_branch .LBB159_422
.LBB159_420:
	s_mov_b32 s43, -1
	s_mov_b32 s42, s39
                                        ; implicit-def: $vgpr3
	s_branch .LBB159_547
.LBB159_421:
	s_mov_b32 s3, -1
.LBB159_422:
                                        ; implicit-def: $vgpr5
.LBB159_423:
	s_and_b32 vcc_lo, exec_lo, s42
	s_cbranch_vccz .LBB159_428
; %bb.424:
	v_cmp_eq_u16_e32 vcc_lo, 44, v4
	s_cbranch_vccz .LBB159_427
; %bb.425:
	global_load_u8 v5, v[2:3], off
	s_mov_b32 s3, 0
	s_mov_b32 s2, -1
	s_waitcnt vmcnt(0)
	v_lshlrev_b32_e32 v6, 23, v5
	v_cmp_ne_u32_e32 vcc_lo, 0xff, v5
	s_delay_alu instid0(VALU_DEP_2) | instskip(SKIP_1) | instid1(VALU_DEP_2)
	v_cndmask_b32_e32 v6, 0x7f800001, v6, vcc_lo
	v_cmp_ne_u32_e32 vcc_lo, 0, v5
	v_cndmask_b32_e32 v5, 0x400000, v6, vcc_lo
	s_branch .LBB159_428
.LBB159_426:
	s_mov_b32 s43, -1
	s_mov_b32 s42, s39
	s_branch .LBB159_541
.LBB159_427:
	s_mov_b32 s3, -1
                                        ; implicit-def: $vgpr5
.LBB159_428:
	s_mov_b32 s42, 0
.LBB159_429:
	s_delay_alu instid0(SALU_CYCLE_1)
	s_and_b32 vcc_lo, exec_lo, s42
	s_cbranch_vccz .LBB159_433
; %bb.430:
	v_cmp_eq_u16_e32 vcc_lo, 29, v4
	s_cbranch_vccz .LBB159_432
; %bb.431:
	global_load_b64 v[5:6], v[2:3], off
	s_mov_b32 s2, -1
	s_mov_b32 s3, 0
	s_mov_b32 s42, 0
	s_waitcnt vmcnt(0)
	v_clz_i32_u32_e32 v8, v6
	s_delay_alu instid0(VALU_DEP_1) | instskip(NEXT) | instid1(VALU_DEP_1)
	v_min_u32_e32 v8, 32, v8
	v_lshlrev_b64 v[5:6], v8, v[5:6]
	s_delay_alu instid0(VALU_DEP_1) | instskip(NEXT) | instid1(VALU_DEP_1)
	v_min_u32_e32 v5, 1, v5
	v_or_b32_e32 v5, v6, v5
	v_sub_nc_u32_e32 v6, 32, v8
	s_delay_alu instid0(VALU_DEP_2) | instskip(NEXT) | instid1(VALU_DEP_1)
	v_cvt_f32_u32_e32 v5, v5
	v_ldexp_f32 v5, v5, v6
	s_branch .LBB159_434
.LBB159_432:
	s_mov_b32 s3, -1
                                        ; implicit-def: $vgpr5
.LBB159_433:
	s_mov_b32 s42, 0
.LBB159_434:
	s_delay_alu instid0(SALU_CYCLE_1)
	s_and_b32 vcc_lo, exec_lo, s42
	s_cbranch_vccz .LBB159_452
; %bb.435:
	v_cmp_gt_i16_e32 vcc_lo, 27, v4
	s_cbranch_vccnz .LBB159_438
; %bb.436:
	v_cmp_lt_i16_e32 vcc_lo, 27, v4
	s_cbranch_vccz .LBB159_439
; %bb.437:
	global_load_b32 v5, v[2:3], off
	s_mov_b32 s2, 0
	s_waitcnt vmcnt(0)
	v_cvt_f32_u32_e32 v5, v5
	s_branch .LBB159_440
.LBB159_438:
	s_mov_b32 s2, -1
                                        ; implicit-def: $vgpr5
	s_branch .LBB159_443
.LBB159_439:
	s_mov_b32 s2, -1
                                        ; implicit-def: $vgpr5
.LBB159_440:
	s_delay_alu instid0(SALU_CYCLE_1)
	s_and_not1_b32 vcc_lo, exec_lo, s2
	s_cbranch_vccnz .LBB159_442
; %bb.441:
	global_load_u16 v5, v[2:3], off
	s_waitcnt vmcnt(0)
	v_cvt_f32_u32_e32 v5, v5
.LBB159_442:
	s_mov_b32 s2, 0
.LBB159_443:
	s_delay_alu instid0(SALU_CYCLE_1)
	s_and_not1_b32 vcc_lo, exec_lo, s2
	s_cbranch_vccnz .LBB159_451
; %bb.444:
	global_load_u8 v6, v[2:3], off
	s_mov_b32 s2, 0
	s_mov_b32 s43, exec_lo
                                        ; implicit-def: $sgpr42
	s_waitcnt vmcnt(0)
	v_cmpx_lt_i16_e32 0x7f, v6
	s_xor_b32 s43, exec_lo, s43
	s_cbranch_execz .LBB159_465
; %bb.445:
	s_mov_b32 s2, -1
	s_mov_b32 s44, exec_lo
                                        ; implicit-def: $sgpr42
	v_cmpx_eq_u16_e32 0x80, v6
; %bb.446:
	s_mov_b32 s42, 0x7f800001
	s_xor_b32 s2, exec_lo, -1
; %bb.447:
	s_or_b32 exec_lo, exec_lo, s44
	s_delay_alu instid0(SALU_CYCLE_1)
	s_and_b32 s2, s2, exec_lo
	s_or_saveexec_b32 s43, s43
	v_mov_b32_e32 v5, s42
	s_xor_b32 exec_lo, exec_lo, s43
	s_cbranch_execnz .LBB159_466
.LBB159_448:
	s_or_b32 exec_lo, exec_lo, s43
	s_and_saveexec_b32 s42, s2
	s_cbranch_execz .LBB159_450
.LBB159_449:
	v_and_b32_e32 v5, 0xffff, v6
	v_lshlrev_b32_e32 v6, 24, v6
	s_delay_alu instid0(VALU_DEP_2) | instskip(NEXT) | instid1(VALU_DEP_2)
	v_and_b32_e32 v8, 7, v5
	v_and_b32_e32 v6, 0x80000000, v6
	s_delay_alu instid0(VALU_DEP_2) | instskip(NEXT) | instid1(VALU_DEP_1)
	v_clz_i32_u32_e32 v9, v8
	v_min_u32_e32 v9, 32, v9
	s_delay_alu instid0(VALU_DEP_1) | instskip(SKIP_1) | instid1(VALU_DEP_2)
	v_subrev_nc_u32_e32 v10, 28, v9
	v_sub_nc_u32_e32 v9, 29, v9
	v_lshlrev_b32_e32 v10, v10, v5
	v_bfe_u32 v5, v5, 3, 4
	s_delay_alu instid0(VALU_DEP_1) | instskip(NEXT) | instid1(VALU_DEP_3)
	v_cmp_eq_u32_e32 vcc_lo, 0, v5
	v_dual_cndmask_b32 v5, v5, v9 :: v_dual_and_b32 v10, 7, v10
	s_delay_alu instid0(VALU_DEP_1) | instskip(NEXT) | instid1(VALU_DEP_2)
	v_cndmask_b32_e32 v8, v8, v10, vcc_lo
	v_lshl_add_u32 v5, v5, 23, 0x3b800000
	s_delay_alu instid0(VALU_DEP_2) | instskip(NEXT) | instid1(VALU_DEP_1)
	v_lshlrev_b32_e32 v8, 20, v8
	v_or3_b32 v5, v6, v5, v8
.LBB159_450:
	s_or_b32 exec_lo, exec_lo, s42
.LBB159_451:
	s_mov_b32 s2, -1
.LBB159_452:
	s_mov_b32 s42, 0
.LBB159_453:
	s_delay_alu instid0(SALU_CYCLE_1)
	s_and_b32 vcc_lo, exec_lo, s42
	s_cbranch_vccz .LBB159_488
; %bb.454:
	v_cmp_lt_i16_e32 vcc_lo, 22, v4
	s_cbranch_vccz .LBB159_464
; %bb.455:
	v_cmp_gt_i16_e32 vcc_lo, 24, v4
	s_cbranch_vccnz .LBB159_467
; %bb.456:
	v_cmp_lt_i16_e32 vcc_lo, 24, v4
	s_cbranch_vccz .LBB159_468
; %bb.457:
	global_load_u8 v6, v[2:3], off
	s_mov_b32 s2, 0
	s_mov_b32 s43, exec_lo
                                        ; implicit-def: $sgpr42
	s_waitcnt vmcnt(0)
	v_cmpx_lt_i16_e32 0x7f, v6
	s_xor_b32 s43, exec_lo, s43
	s_cbranch_execz .LBB159_480
; %bb.458:
	s_mov_b32 s2, -1
	s_mov_b32 s44, exec_lo
                                        ; implicit-def: $sgpr42
	v_cmpx_eq_u16_e32 0x80, v6
; %bb.459:
	s_mov_b32 s42, 0x7f800001
	s_xor_b32 s2, exec_lo, -1
; %bb.460:
	s_or_b32 exec_lo, exec_lo, s44
	s_delay_alu instid0(SALU_CYCLE_1)
	s_and_b32 s2, s2, exec_lo
	s_or_saveexec_b32 s43, s43
	v_mov_b32_e32 v5, s42
	s_xor_b32 exec_lo, exec_lo, s43
	s_cbranch_execnz .LBB159_481
.LBB159_461:
	s_or_b32 exec_lo, exec_lo, s43
	s_and_saveexec_b32 s42, s2
	s_cbranch_execz .LBB159_463
.LBB159_462:
	v_and_b32_e32 v5, 0xffff, v6
	v_lshlrev_b32_e32 v6, 24, v6
	s_delay_alu instid0(VALU_DEP_2) | instskip(NEXT) | instid1(VALU_DEP_2)
	v_and_b32_e32 v8, 3, v5
	v_and_b32_e32 v6, 0x80000000, v6
	s_delay_alu instid0(VALU_DEP_2) | instskip(NEXT) | instid1(VALU_DEP_1)
	v_clz_i32_u32_e32 v9, v8
	v_min_u32_e32 v9, 32, v9
	s_delay_alu instid0(VALU_DEP_1) | instskip(SKIP_1) | instid1(VALU_DEP_2)
	v_subrev_nc_u32_e32 v10, 29, v9
	v_sub_nc_u32_e32 v9, 30, v9
	v_lshlrev_b32_e32 v10, v10, v5
	v_bfe_u32 v5, v5, 2, 5
	s_delay_alu instid0(VALU_DEP_1) | instskip(NEXT) | instid1(VALU_DEP_3)
	v_cmp_eq_u32_e32 vcc_lo, 0, v5
	v_dual_cndmask_b32 v5, v5, v9 :: v_dual_and_b32 v10, 3, v10
	s_delay_alu instid0(VALU_DEP_1) | instskip(NEXT) | instid1(VALU_DEP_2)
	v_cndmask_b32_e32 v8, v8, v10, vcc_lo
	v_lshl_add_u32 v5, v5, 23, 0x37800000
	s_delay_alu instid0(VALU_DEP_2) | instskip(NEXT) | instid1(VALU_DEP_1)
	v_lshlrev_b32_e32 v8, 21, v8
	v_or3_b32 v5, v6, v5, v8
.LBB159_463:
	s_or_b32 exec_lo, exec_lo, s42
	s_mov_b32 s2, 0
	s_branch .LBB159_469
.LBB159_464:
	s_mov_b32 s42, -1
                                        ; implicit-def: $vgpr5
	s_branch .LBB159_475
.LBB159_465:
	s_or_saveexec_b32 s43, s43
	v_mov_b32_e32 v5, s42
	s_xor_b32 exec_lo, exec_lo, s43
	s_cbranch_execz .LBB159_448
.LBB159_466:
	v_cmp_ne_u16_e32 vcc_lo, 0, v6
	v_mov_b32_e32 v5, 0
	s_and_not1_b32 s2, s2, exec_lo
	s_and_b32 s42, vcc_lo, exec_lo
	s_delay_alu instid0(SALU_CYCLE_1)
	s_or_b32 s2, s2, s42
	s_or_b32 exec_lo, exec_lo, s43
	s_and_saveexec_b32 s42, s2
	s_cbranch_execnz .LBB159_449
	s_branch .LBB159_450
.LBB159_467:
	s_mov_b32 s2, -1
                                        ; implicit-def: $vgpr5
	s_branch .LBB159_472
.LBB159_468:
	s_mov_b32 s2, -1
                                        ; implicit-def: $vgpr5
.LBB159_469:
	s_delay_alu instid0(SALU_CYCLE_1)
	s_and_b32 vcc_lo, exec_lo, s2
	s_cbranch_vccz .LBB159_471
; %bb.470:
	global_load_u8 v5, v[2:3], off
	s_waitcnt vmcnt(0)
	v_lshlrev_b32_e32 v5, 24, v5
	s_delay_alu instid0(VALU_DEP_1) | instskip(NEXT) | instid1(VALU_DEP_1)
	v_and_b32_e32 v6, 0x7f000000, v5
	v_clz_i32_u32_e32 v8, v6
	v_add_nc_u32_e32 v10, 0x1000000, v6
	v_cmp_ne_u32_e32 vcc_lo, 0, v6
	s_delay_alu instid0(VALU_DEP_3) | instskip(NEXT) | instid1(VALU_DEP_1)
	v_min_u32_e32 v8, 32, v8
	v_sub_nc_u32_e64 v8, v8, 4 clamp
	s_delay_alu instid0(VALU_DEP_1) | instskip(SKIP_1) | instid1(VALU_DEP_2)
	v_lshlrev_b32_e32 v9, v8, v6
	v_lshlrev_b32_e32 v8, 23, v8
	v_lshrrev_b32_e32 v9, 4, v9
	s_delay_alu instid0(VALU_DEP_1) | instskip(SKIP_1) | instid1(VALU_DEP_2)
	v_sub_nc_u32_e32 v8, v9, v8
	v_ashrrev_i32_e32 v9, 8, v10
	v_add_nc_u32_e32 v8, 0x3c000000, v8
	s_delay_alu instid0(VALU_DEP_1) | instskip(NEXT) | instid1(VALU_DEP_1)
	v_and_or_b32 v8, 0x7f800000, v9, v8
	v_cndmask_b32_e32 v6, 0, v8, vcc_lo
	s_delay_alu instid0(VALU_DEP_1)
	v_and_or_b32 v5, 0x80000000, v5, v6
.LBB159_471:
	s_mov_b32 s2, 0
.LBB159_472:
	s_delay_alu instid0(SALU_CYCLE_1)
	s_and_not1_b32 vcc_lo, exec_lo, s2
	s_cbranch_vccnz .LBB159_474
; %bb.473:
	global_load_u8 v5, v[2:3], off
	s_waitcnt vmcnt(0)
	v_lshlrev_b32_e32 v6, 25, v5
	v_lshlrev_b16 v5, 8, v5
	s_delay_alu instid0(VALU_DEP_2) | instskip(NEXT) | instid1(VALU_DEP_2)
	v_lshrrev_b32_e32 v8, 4, v6
	v_and_or_b32 v9, 0x7f00, v5, 0.5
	v_cmp_gt_u32_e32 vcc_lo, 0x8000000, v6
	v_bfe_i32 v5, v5, 0, 16
	s_delay_alu instid0(VALU_DEP_4) | instskip(NEXT) | instid1(VALU_DEP_1)
	v_or_b32_e32 v8, 0x70000000, v8
	v_dual_add_f32 v9, -0.5, v9 :: v_dual_mul_f32 v8, 0x7800000, v8
	s_delay_alu instid0(VALU_DEP_1) | instskip(NEXT) | instid1(VALU_DEP_1)
	v_cndmask_b32_e32 v6, v8, v9, vcc_lo
	v_and_or_b32 v5, 0x80000000, v5, v6
.LBB159_474:
	s_mov_b32 s42, 0
	s_mov_b32 s2, -1
.LBB159_475:
	s_and_not1_b32 vcc_lo, exec_lo, s42
	s_cbranch_vccnz .LBB159_488
; %bb.476:
	v_cmp_lt_i16_e32 vcc_lo, 14, v4
	s_cbranch_vccz .LBB159_479
; %bb.477:
	v_cmp_eq_u16_e32 vcc_lo, 15, v4
	s_cbranch_vccz .LBB159_482
; %bb.478:
	global_load_u16 v5, v[2:3], off
	s_mov_b32 s2, -1
	s_mov_b32 s3, 0
	s_waitcnt vmcnt(0)
	v_lshlrev_b32_e32 v5, 16, v5
	s_branch .LBB159_483
.LBB159_479:
	s_mov_b32 s42, -1
                                        ; implicit-def: $vgpr5
	s_branch .LBB159_484
.LBB159_480:
	s_or_saveexec_b32 s43, s43
	v_mov_b32_e32 v5, s42
	s_xor_b32 exec_lo, exec_lo, s43
	s_cbranch_execz .LBB159_461
.LBB159_481:
	v_cmp_ne_u16_e32 vcc_lo, 0, v6
	v_mov_b32_e32 v5, 0
	s_and_not1_b32 s2, s2, exec_lo
	s_and_b32 s42, vcc_lo, exec_lo
	s_delay_alu instid0(SALU_CYCLE_1)
	s_or_b32 s2, s2, s42
	s_or_b32 exec_lo, exec_lo, s43
	s_and_saveexec_b32 s42, s2
	s_cbranch_execnz .LBB159_462
	s_branch .LBB159_463
.LBB159_482:
	s_mov_b32 s3, -1
                                        ; implicit-def: $vgpr5
.LBB159_483:
	s_mov_b32 s42, 0
.LBB159_484:
	s_delay_alu instid0(SALU_CYCLE_1)
	s_and_b32 vcc_lo, exec_lo, s42
	s_cbranch_vccz .LBB159_488
; %bb.485:
	v_cmp_eq_u16_e32 vcc_lo, 11, v4
	s_cbranch_vccz .LBB159_487
; %bb.486:
	global_load_u8 v5, v[2:3], off
	s_mov_b32 s3, 0
	s_mov_b32 s2, -1
	s_waitcnt vmcnt(0)
	v_cmp_ne_u16_e32 vcc_lo, 0, v5
	v_cndmask_b32_e64 v5, 0, 1.0, vcc_lo
	s_branch .LBB159_488
.LBB159_487:
	s_mov_b32 s3, -1
                                        ; implicit-def: $vgpr5
.LBB159_488:
	s_branch .LBB159_405
.LBB159_489:
	v_cmp_gt_i16_e32 vcc_lo, 5, v4
	s_cbranch_vccnz .LBB159_494
; %bb.490:
	v_cmp_gt_i16_e32 vcc_lo, 8, v4
	s_cbranch_vccnz .LBB159_495
; %bb.491:
	;; [unrolled: 3-line block ×3, first 2 shown]
	v_cmp_lt_i16_e32 vcc_lo, 9, v4
	s_cbranch_vccz .LBB159_497
; %bb.493:
	global_load_b64 v[5:6], v[2:3], off
	s_mov_b32 s2, 0
	s_waitcnt vmcnt(0)
	v_cvt_f32_f64_e32 v5, v[5:6]
	s_branch .LBB159_498
.LBB159_494:
	s_mov_b32 s2, -1
                                        ; implicit-def: $vgpr5
	s_branch .LBB159_516
.LBB159_495:
	s_mov_b32 s2, -1
                                        ; implicit-def: $vgpr5
	s_branch .LBB159_504
.LBB159_496:
	s_mov_b32 s2, -1
                                        ; implicit-def: $vgpr5
	s_branch .LBB159_501
.LBB159_497:
	s_mov_b32 s2, -1
                                        ; implicit-def: $vgpr5
.LBB159_498:
	s_delay_alu instid0(SALU_CYCLE_1)
	s_and_not1_b32 vcc_lo, exec_lo, s2
	s_cbranch_vccnz .LBB159_500
; %bb.499:
	global_load_b32 v5, v[2:3], off
.LBB159_500:
	s_mov_b32 s2, 0
.LBB159_501:
	s_delay_alu instid0(SALU_CYCLE_1)
	s_and_not1_b32 vcc_lo, exec_lo, s2
	s_cbranch_vccnz .LBB159_503
; %bb.502:
	global_load_b32 v5, v[2:3], off
	s_waitcnt vmcnt(0)
	v_cvt_f32_f16_e32 v5, v5
.LBB159_503:
	s_mov_b32 s2, 0
.LBB159_504:
	s_delay_alu instid0(SALU_CYCLE_1)
	s_and_not1_b32 vcc_lo, exec_lo, s2
	s_cbranch_vccnz .LBB159_515
; %bb.505:
	v_cmp_gt_i16_e32 vcc_lo, 6, v4
	s_cbranch_vccnz .LBB159_508
; %bb.506:
	v_cmp_lt_i16_e32 vcc_lo, 6, v4
	s_cbranch_vccz .LBB159_509
; %bb.507:
	global_load_b64 v[5:6], v[2:3], off
	s_mov_b32 s2, 0
	s_waitcnt vmcnt(0)
	v_cvt_f32_f64_e32 v5, v[5:6]
	s_branch .LBB159_510
.LBB159_508:
	s_mov_b32 s2, -1
                                        ; implicit-def: $vgpr5
	s_branch .LBB159_513
.LBB159_509:
	s_mov_b32 s2, -1
                                        ; implicit-def: $vgpr5
.LBB159_510:
	s_delay_alu instid0(SALU_CYCLE_1)
	s_and_not1_b32 vcc_lo, exec_lo, s2
	s_cbranch_vccnz .LBB159_512
; %bb.511:
	global_load_b32 v5, v[2:3], off
.LBB159_512:
	s_mov_b32 s2, 0
.LBB159_513:
	s_delay_alu instid0(SALU_CYCLE_1)
	s_and_not1_b32 vcc_lo, exec_lo, s2
	s_cbranch_vccnz .LBB159_515
; %bb.514:
	global_load_u16 v5, v[2:3], off
	s_waitcnt vmcnt(0)
	v_cvt_f32_f16_e32 v5, v5
.LBB159_515:
	s_mov_b32 s2, 0
.LBB159_516:
	s_delay_alu instid0(SALU_CYCLE_1)
	s_and_not1_b32 vcc_lo, exec_lo, s2
	s_cbranch_vccnz .LBB159_536
; %bb.517:
	v_cmp_gt_i16_e32 vcc_lo, 2, v4
	s_cbranch_vccnz .LBB159_521
; %bb.518:
	v_cmp_gt_i16_e32 vcc_lo, 3, v4
	s_cbranch_vccnz .LBB159_522
; %bb.519:
	v_cmp_lt_i16_e32 vcc_lo, 3, v4
	s_cbranch_vccz .LBB159_523
; %bb.520:
	global_load_b64 v[5:6], v[2:3], off
	s_mov_b32 s2, 0
	s_waitcnt vmcnt(0)
	v_xor_b32_e32 v8, v5, v6
	v_cls_i32_e32 v9, v6
	s_delay_alu instid0(VALU_DEP_2) | instskip(NEXT) | instid1(VALU_DEP_2)
	v_ashrrev_i32_e32 v8, 31, v8
	v_add_nc_u32_e32 v9, -1, v9
	s_delay_alu instid0(VALU_DEP_2) | instskip(NEXT) | instid1(VALU_DEP_1)
	v_add_nc_u32_e32 v8, 32, v8
	v_min_u32_e32 v8, v9, v8
	s_delay_alu instid0(VALU_DEP_1) | instskip(NEXT) | instid1(VALU_DEP_1)
	v_lshlrev_b64 v[5:6], v8, v[5:6]
	v_min_u32_e32 v5, 1, v5
	s_delay_alu instid0(VALU_DEP_1) | instskip(SKIP_1) | instid1(VALU_DEP_2)
	v_or_b32_e32 v5, v6, v5
	v_sub_nc_u32_e32 v6, 32, v8
	v_cvt_f32_i32_e32 v5, v5
	s_delay_alu instid0(VALU_DEP_1)
	v_ldexp_f32 v5, v5, v6
	s_branch .LBB159_524
.LBB159_521:
	s_mov_b32 s2, -1
                                        ; implicit-def: $vgpr5
	s_branch .LBB159_530
.LBB159_522:
	s_mov_b32 s2, -1
                                        ; implicit-def: $vgpr5
	s_branch .LBB159_527
.LBB159_523:
	s_mov_b32 s2, -1
                                        ; implicit-def: $vgpr5
.LBB159_524:
	s_delay_alu instid0(SALU_CYCLE_1)
	s_and_not1_b32 vcc_lo, exec_lo, s2
	s_cbranch_vccnz .LBB159_526
; %bb.525:
	global_load_b32 v5, v[2:3], off
	s_waitcnt vmcnt(0)
	v_cvt_f32_i32_e32 v5, v5
.LBB159_526:
	s_mov_b32 s2, 0
.LBB159_527:
	s_delay_alu instid0(SALU_CYCLE_1)
	s_and_not1_b32 vcc_lo, exec_lo, s2
	s_cbranch_vccnz .LBB159_529
; %bb.528:
	global_load_i16 v5, v[2:3], off
	s_waitcnt vmcnt(0)
	v_cvt_f32_i32_e32 v5, v5
.LBB159_529:
	s_mov_b32 s2, 0
.LBB159_530:
	s_delay_alu instid0(SALU_CYCLE_1)
	s_and_not1_b32 vcc_lo, exec_lo, s2
	s_cbranch_vccnz .LBB159_536
; %bb.531:
	v_cmp_lt_i16_e32 vcc_lo, 0, v4
	s_mov_b32 s2, 0
	s_cbranch_vccz .LBB159_533
; %bb.532:
	global_load_i8 v4, v[2:3], off
	s_waitcnt vmcnt(0)
	v_cvt_f32_i32_e32 v5, v4
	s_branch .LBB159_534
.LBB159_533:
	s_mov_b32 s2, -1
                                        ; implicit-def: $vgpr5
.LBB159_534:
	s_delay_alu instid0(SALU_CYCLE_1)
	s_and_not1_b32 vcc_lo, exec_lo, s2
	s_cbranch_vccnz .LBB159_536
; %bb.535:
	global_load_u8 v2, v[2:3], off
	s_waitcnt vmcnt(0)
	v_cvt_f32_ubyte0_e32 v5, v2
.LBB159_536:
	s_branch .LBB159_406
.LBB159_537:
	s_mov_b32 s46, 0
	s_mov_b32 s2, s38
	;; [unrolled: 1-line block ×3, first 2 shown]
	s_branch .LBB159_701
.LBB159_538:
	s_or_saveexec_b32 s43, s43
                                        ; implicit-def: $sgpr44
	s_delay_alu instid0(SALU_CYCLE_1)
	s_xor_b32 exec_lo, exec_lo, s43
	s_cbranch_execz .LBB159_72
.LBB159_539:
	v_add_f32_e64 v3, 0x42800000, |v2|
	s_and_not1_b32 s40, s40, exec_lo
	s_mov_b32 s44, 0
	s_delay_alu instid0(VALU_DEP_1) | instskip(NEXT) | instid1(VALU_DEP_1)
	v_and_b32_e32 v3, 0xff, v3
	v_cmp_ne_u32_e32 vcc_lo, 0, v3
	s_and_b32 s45, vcc_lo, exec_lo
	s_delay_alu instid0(SALU_CYCLE_1)
	s_or_b32 s40, s40, s45
	s_or_b32 exec_lo, exec_lo, s43
	v_mov_b32_e32 v5, s44
	s_and_saveexec_b32 s43, s40
	s_cbranch_execnz .LBB159_73
	s_branch .LBB159_74
.LBB159_540:
	s_mov_b32 s42, -1
.LBB159_541:
                                        ; implicit-def: $vgpr3
.LBB159_542:
	s_and_b32 vcc_lo, exec_lo, s43
	s_cbranch_vccz .LBB159_546
; %bb.543:
	v_cmp_eq_u16_e32 vcc_lo, 44, v6
	s_cbranch_vccz .LBB159_545
; %bb.544:
	global_load_u8 v3, v[1:2], off
	s_mov_b32 s42, 0
	s_mov_b32 s2, -1
	s_waitcnt vmcnt(0)
	v_lshlrev_b32_e32 v4, 23, v3
	v_cmp_ne_u32_e32 vcc_lo, 0, v3
	s_delay_alu instid0(VALU_DEP_2) | instskip(NEXT) | instid1(VALU_DEP_1)
	v_trunc_f32_e32 v4, v4
	v_mul_f32_e64 v8, 0x2f800000, |v4|
	s_delay_alu instid0(VALU_DEP_1) | instskip(NEXT) | instid1(VALU_DEP_1)
	v_floor_f32_e32 v8, v8
	v_fma_f32 v8, 0xcf800000, v8, |v4|
	v_ashrrev_i32_e32 v4, 31, v4
	s_delay_alu instid0(VALU_DEP_2) | instskip(NEXT) | instid1(VALU_DEP_1)
	v_cvt_u32_f32_e32 v8, v8
	v_xor_b32_e32 v8, v8, v4
	s_delay_alu instid0(VALU_DEP_1) | instskip(NEXT) | instid1(VALU_DEP_1)
	v_sub_nc_u32_e32 v4, v8, v4
	v_cndmask_b32_e32 v3, 0, v4, vcc_lo
	s_branch .LBB159_546
.LBB159_545:
	s_mov_b32 s42, -1
                                        ; implicit-def: $vgpr3
.LBB159_546:
	s_mov_b32 s43, 0
.LBB159_547:
	s_delay_alu instid0(SALU_CYCLE_1)
	s_and_b32 vcc_lo, exec_lo, s43
	s_cbranch_vccz .LBB159_551
; %bb.548:
	v_cmp_eq_u16_e32 vcc_lo, 29, v6
	s_cbranch_vccz .LBB159_550
; %bb.549:
	global_load_b64 v[3:4], v[1:2], off
	s_mov_b32 s2, -1
	s_mov_b32 s42, 0
	s_branch .LBB159_551
.LBB159_550:
	s_mov_b32 s42, -1
                                        ; implicit-def: $vgpr3
.LBB159_551:
	s_mov_b32 s43, 0
.LBB159_552:
	s_delay_alu instid0(SALU_CYCLE_1)
	s_and_b32 vcc_lo, exec_lo, s43
	s_cbranch_vccz .LBB159_568
; %bb.553:
	v_cmp_gt_i16_e32 vcc_lo, 27, v6
	s_cbranch_vccnz .LBB159_556
; %bb.554:
	v_cmp_lt_i16_e32 vcc_lo, 27, v6
	s_cbranch_vccz .LBB159_557
; %bb.555:
	global_load_b32 v3, v[1:2], off
	s_mov_b32 s2, 0
	s_branch .LBB159_558
.LBB159_556:
	s_mov_b32 s2, -1
                                        ; implicit-def: $vgpr3
	s_branch .LBB159_561
.LBB159_557:
	s_mov_b32 s2, -1
                                        ; implicit-def: $vgpr3
.LBB159_558:
	s_delay_alu instid0(SALU_CYCLE_1)
	s_and_not1_b32 vcc_lo, exec_lo, s2
	s_cbranch_vccnz .LBB159_560
; %bb.559:
	global_load_u16 v3, v[1:2], off
.LBB159_560:
	s_mov_b32 s2, 0
.LBB159_561:
	s_delay_alu instid0(SALU_CYCLE_1)
	s_and_not1_b32 vcc_lo, exec_lo, s2
	s_cbranch_vccnz .LBB159_567
; %bb.562:
	global_load_u8 v4, v[1:2], off
	s_mov_b32 s43, 0
	s_mov_b32 s2, exec_lo
                                        ; implicit-def: $sgpr44
	s_waitcnt vmcnt(0)
	v_cmpx_lt_i16_e32 0x7f, v4
	s_xor_b32 s2, exec_lo, s2
	s_cbranch_execz .LBB159_579
; %bb.563:
	v_cmp_ne_u16_e32 vcc_lo, 0x80, v4
	s_mov_b32 s44, 0
	s_and_b32 s43, vcc_lo, exec_lo
	s_or_saveexec_b32 s2, s2
	v_mov_b32_e32 v3, s44
	s_xor_b32 exec_lo, exec_lo, s2
	s_cbranch_execnz .LBB159_580
.LBB159_564:
	s_or_b32 exec_lo, exec_lo, s2
	s_and_saveexec_b32 s2, s43
	s_cbranch_execz .LBB159_566
.LBB159_565:
	v_and_b32_e32 v3, 0xffff, v4
	v_lshlrev_b32_e32 v4, 24, v4
	s_delay_alu instid0(VALU_DEP_2) | instskip(NEXT) | instid1(VALU_DEP_2)
	v_and_b32_e32 v8, 7, v3
	v_and_b32_e32 v4, 0x80000000, v4
	s_delay_alu instid0(VALU_DEP_2) | instskip(NEXT) | instid1(VALU_DEP_1)
	v_clz_i32_u32_e32 v9, v8
	v_min_u32_e32 v9, 32, v9
	s_delay_alu instid0(VALU_DEP_1) | instskip(SKIP_1) | instid1(VALU_DEP_2)
	v_subrev_nc_u32_e32 v10, 28, v9
	v_sub_nc_u32_e32 v9, 29, v9
	v_lshlrev_b32_e32 v10, v10, v3
	v_bfe_u32 v3, v3, 3, 4
	s_delay_alu instid0(VALU_DEP_2) | instskip(NEXT) | instid1(VALU_DEP_2)
	v_and_b32_e32 v10, 7, v10
	v_cmp_eq_u32_e32 vcc_lo, 0, v3
	s_delay_alu instid0(VALU_DEP_2) | instskip(NEXT) | instid1(VALU_DEP_1)
	v_dual_cndmask_b32 v3, v3, v9 :: v_dual_cndmask_b32 v8, v8, v10
	v_lshl_add_u32 v3, v3, 23, 0x3b800000
	s_delay_alu instid0(VALU_DEP_2) | instskip(NEXT) | instid1(VALU_DEP_1)
	v_lshlrev_b32_e32 v8, 20, v8
	v_or3_b32 v3, v4, v3, v8
	s_delay_alu instid0(VALU_DEP_1) | instskip(NEXT) | instid1(VALU_DEP_1)
	v_trunc_f32_e32 v3, v3
	v_mul_f32_e64 v4, 0x2f800000, |v3|
	s_delay_alu instid0(VALU_DEP_1) | instskip(NEXT) | instid1(VALU_DEP_1)
	v_floor_f32_e32 v4, v4
	v_fma_f32 v4, 0xcf800000, v4, |v3|
	v_ashrrev_i32_e32 v3, 31, v3
	s_delay_alu instid0(VALU_DEP_2) | instskip(NEXT) | instid1(VALU_DEP_1)
	v_cvt_u32_f32_e32 v4, v4
	v_xor_b32_e32 v4, v4, v3
	s_delay_alu instid0(VALU_DEP_1)
	v_sub_nc_u32_e32 v3, v4, v3
.LBB159_566:
	s_or_b32 exec_lo, exec_lo, s2
.LBB159_567:
	s_mov_b32 s2, -1
.LBB159_568:
	s_mov_b32 s43, 0
.LBB159_569:
	s_delay_alu instid0(SALU_CYCLE_1)
	s_and_b32 vcc_lo, exec_lo, s43
	s_cbranch_vccz .LBB159_602
; %bb.570:
	v_cmp_lt_i16_e32 vcc_lo, 22, v6
	s_cbranch_vccz .LBB159_578
; %bb.571:
	v_cmp_gt_i16_e32 vcc_lo, 24, v6
	s_cbranch_vccnz .LBB159_581
; %bb.572:
	v_cmp_lt_i16_e32 vcc_lo, 24, v6
	s_cbranch_vccz .LBB159_582
; %bb.573:
	global_load_u8 v4, v[1:2], off
	s_mov_b32 s43, 0
	s_mov_b32 s2, exec_lo
                                        ; implicit-def: $sgpr44
	s_waitcnt vmcnt(0)
	v_cmpx_lt_i16_e32 0x7f, v4
	s_xor_b32 s2, exec_lo, s2
	s_cbranch_execz .LBB159_594
; %bb.574:
	v_cmp_ne_u16_e32 vcc_lo, 0x80, v4
	s_mov_b32 s44, 0
	s_and_b32 s43, vcc_lo, exec_lo
	s_or_saveexec_b32 s2, s2
	v_mov_b32_e32 v3, s44
	s_xor_b32 exec_lo, exec_lo, s2
	s_cbranch_execnz .LBB159_595
.LBB159_575:
	s_or_b32 exec_lo, exec_lo, s2
	s_and_saveexec_b32 s2, s43
	s_cbranch_execz .LBB159_577
.LBB159_576:
	v_and_b32_e32 v3, 0xffff, v4
	v_lshlrev_b32_e32 v4, 24, v4
	s_delay_alu instid0(VALU_DEP_2) | instskip(NEXT) | instid1(VALU_DEP_2)
	v_and_b32_e32 v8, 3, v3
	v_and_b32_e32 v4, 0x80000000, v4
	s_delay_alu instid0(VALU_DEP_2) | instskip(NEXT) | instid1(VALU_DEP_1)
	v_clz_i32_u32_e32 v9, v8
	v_min_u32_e32 v9, 32, v9
	s_delay_alu instid0(VALU_DEP_1) | instskip(SKIP_1) | instid1(VALU_DEP_2)
	v_subrev_nc_u32_e32 v10, 29, v9
	v_sub_nc_u32_e32 v9, 30, v9
	v_lshlrev_b32_e32 v10, v10, v3
	v_bfe_u32 v3, v3, 2, 5
	s_delay_alu instid0(VALU_DEP_2) | instskip(NEXT) | instid1(VALU_DEP_2)
	v_and_b32_e32 v10, 3, v10
	v_cmp_eq_u32_e32 vcc_lo, 0, v3
	s_delay_alu instid0(VALU_DEP_2) | instskip(NEXT) | instid1(VALU_DEP_1)
	v_dual_cndmask_b32 v3, v3, v9 :: v_dual_cndmask_b32 v8, v8, v10
	v_lshl_add_u32 v3, v3, 23, 0x37800000
	s_delay_alu instid0(VALU_DEP_2) | instskip(NEXT) | instid1(VALU_DEP_1)
	v_lshlrev_b32_e32 v8, 21, v8
	v_or3_b32 v3, v4, v3, v8
	s_delay_alu instid0(VALU_DEP_1) | instskip(NEXT) | instid1(VALU_DEP_1)
	v_trunc_f32_e32 v3, v3
	v_mul_f32_e64 v4, 0x2f800000, |v3|
	s_delay_alu instid0(VALU_DEP_1) | instskip(NEXT) | instid1(VALU_DEP_1)
	v_floor_f32_e32 v4, v4
	v_fma_f32 v4, 0xcf800000, v4, |v3|
	v_ashrrev_i32_e32 v3, 31, v3
	s_delay_alu instid0(VALU_DEP_2) | instskip(NEXT) | instid1(VALU_DEP_1)
	v_cvt_u32_f32_e32 v4, v4
	v_xor_b32_e32 v4, v4, v3
	s_delay_alu instid0(VALU_DEP_1)
	v_sub_nc_u32_e32 v3, v4, v3
.LBB159_577:
	s_or_b32 exec_lo, exec_lo, s2
	s_mov_b32 s2, 0
	s_branch .LBB159_583
.LBB159_578:
	s_mov_b32 s43, -1
                                        ; implicit-def: $vgpr3
	s_branch .LBB159_589
.LBB159_579:
	s_or_saveexec_b32 s2, s2
	v_mov_b32_e32 v3, s44
	s_xor_b32 exec_lo, exec_lo, s2
	s_cbranch_execz .LBB159_564
.LBB159_580:
	v_cmp_ne_u16_e32 vcc_lo, 0, v4
	v_mov_b32_e32 v3, 0
	s_and_not1_b32 s43, s43, exec_lo
	s_and_b32 s44, vcc_lo, exec_lo
	s_delay_alu instid0(SALU_CYCLE_1)
	s_or_b32 s43, s43, s44
	s_or_b32 exec_lo, exec_lo, s2
	s_and_saveexec_b32 s2, s43
	s_cbranch_execnz .LBB159_565
	s_branch .LBB159_566
.LBB159_581:
	s_mov_b32 s2, -1
                                        ; implicit-def: $vgpr3
	s_branch .LBB159_586
.LBB159_582:
	s_mov_b32 s2, -1
                                        ; implicit-def: $vgpr3
.LBB159_583:
	s_delay_alu instid0(SALU_CYCLE_1)
	s_and_b32 vcc_lo, exec_lo, s2
	s_cbranch_vccz .LBB159_585
; %bb.584:
	global_load_u8 v3, v[1:2], off
	s_waitcnt vmcnt(0)
	v_lshlrev_b32_e32 v3, 24, v3
	s_delay_alu instid0(VALU_DEP_1) | instskip(NEXT) | instid1(VALU_DEP_1)
	v_and_b32_e32 v4, 0x7f000000, v3
	v_clz_i32_u32_e32 v8, v4
	v_add_nc_u32_e32 v10, 0x1000000, v4
	v_cmp_ne_u32_e32 vcc_lo, 0, v4
	s_delay_alu instid0(VALU_DEP_3) | instskip(NEXT) | instid1(VALU_DEP_1)
	v_min_u32_e32 v8, 32, v8
	v_sub_nc_u32_e64 v8, v8, 4 clamp
	s_delay_alu instid0(VALU_DEP_1) | instskip(SKIP_1) | instid1(VALU_DEP_2)
	v_lshlrev_b32_e32 v9, v8, v4
	v_lshlrev_b32_e32 v8, 23, v8
	v_lshrrev_b32_e32 v9, 4, v9
	s_delay_alu instid0(VALU_DEP_1) | instskip(SKIP_1) | instid1(VALU_DEP_2)
	v_sub_nc_u32_e32 v8, v9, v8
	v_ashrrev_i32_e32 v9, 8, v10
	v_add_nc_u32_e32 v8, 0x3c000000, v8
	s_delay_alu instid0(VALU_DEP_1) | instskip(NEXT) | instid1(VALU_DEP_1)
	v_and_or_b32 v8, 0x7f800000, v9, v8
	v_cndmask_b32_e32 v4, 0, v8, vcc_lo
	s_delay_alu instid0(VALU_DEP_1) | instskip(NEXT) | instid1(VALU_DEP_1)
	v_and_or_b32 v3, 0x80000000, v3, v4
	v_trunc_f32_e32 v3, v3
	s_delay_alu instid0(VALU_DEP_1) | instskip(NEXT) | instid1(VALU_DEP_1)
	v_mul_f32_e64 v4, 0x2f800000, |v3|
	v_floor_f32_e32 v4, v4
	s_delay_alu instid0(VALU_DEP_1) | instskip(SKIP_1) | instid1(VALU_DEP_2)
	v_fma_f32 v4, 0xcf800000, v4, |v3|
	v_ashrrev_i32_e32 v3, 31, v3
	v_cvt_u32_f32_e32 v4, v4
	s_delay_alu instid0(VALU_DEP_1) | instskip(NEXT) | instid1(VALU_DEP_1)
	v_xor_b32_e32 v4, v4, v3
	v_sub_nc_u32_e32 v3, v4, v3
.LBB159_585:
	s_mov_b32 s2, 0
.LBB159_586:
	s_delay_alu instid0(SALU_CYCLE_1)
	s_and_not1_b32 vcc_lo, exec_lo, s2
	s_cbranch_vccnz .LBB159_588
; %bb.587:
	global_load_u8 v3, v[1:2], off
	s_waitcnt vmcnt(0)
	v_lshlrev_b32_e32 v4, 25, v3
	v_lshlrev_b16 v3, 8, v3
	s_delay_alu instid0(VALU_DEP_1) | instskip(SKIP_1) | instid1(VALU_DEP_2)
	v_and_or_b32 v9, 0x7f00, v3, 0.5
	v_bfe_i32 v3, v3, 0, 16
	v_add_f32_e32 v9, -0.5, v9
	v_lshrrev_b32_e32 v8, 4, v4
	v_cmp_gt_u32_e32 vcc_lo, 0x8000000, v4
	s_delay_alu instid0(VALU_DEP_2) | instskip(NEXT) | instid1(VALU_DEP_1)
	v_or_b32_e32 v8, 0x70000000, v8
	v_mul_f32_e32 v8, 0x7800000, v8
	s_delay_alu instid0(VALU_DEP_1) | instskip(NEXT) | instid1(VALU_DEP_1)
	v_cndmask_b32_e32 v4, v8, v9, vcc_lo
	v_and_or_b32 v3, 0x80000000, v3, v4
	s_delay_alu instid0(VALU_DEP_1) | instskip(NEXT) | instid1(VALU_DEP_1)
	v_trunc_f32_e32 v3, v3
	v_mul_f32_e64 v4, 0x2f800000, |v3|
	s_delay_alu instid0(VALU_DEP_1) | instskip(NEXT) | instid1(VALU_DEP_1)
	v_floor_f32_e32 v4, v4
	v_fma_f32 v4, 0xcf800000, v4, |v3|
	v_ashrrev_i32_e32 v3, 31, v3
	s_delay_alu instid0(VALU_DEP_2) | instskip(NEXT) | instid1(VALU_DEP_1)
	v_cvt_u32_f32_e32 v4, v4
	v_xor_b32_e32 v4, v4, v3
	s_delay_alu instid0(VALU_DEP_1)
	v_sub_nc_u32_e32 v3, v4, v3
.LBB159_588:
	s_mov_b32 s43, 0
	s_mov_b32 s2, -1
.LBB159_589:
	s_and_not1_b32 vcc_lo, exec_lo, s43
	s_cbranch_vccnz .LBB159_602
; %bb.590:
	v_cmp_lt_i16_e32 vcc_lo, 14, v6
	s_cbranch_vccz .LBB159_593
; %bb.591:
	v_cmp_eq_u16_e32 vcc_lo, 15, v6
	s_cbranch_vccz .LBB159_596
; %bb.592:
	global_load_u16 v3, v[1:2], off
	s_mov_b32 s2, -1
	s_mov_b32 s42, 0
	s_waitcnt vmcnt(0)
	v_lshlrev_b32_e32 v3, 16, v3
	s_delay_alu instid0(VALU_DEP_1) | instskip(NEXT) | instid1(VALU_DEP_1)
	v_trunc_f32_e32 v3, v3
	v_mul_f32_e64 v4, 0x2f800000, |v3|
	s_delay_alu instid0(VALU_DEP_1) | instskip(NEXT) | instid1(VALU_DEP_1)
	v_floor_f32_e32 v4, v4
	v_fma_f32 v4, 0xcf800000, v4, |v3|
	v_ashrrev_i32_e32 v3, 31, v3
	s_delay_alu instid0(VALU_DEP_2) | instskip(NEXT) | instid1(VALU_DEP_1)
	v_cvt_u32_f32_e32 v4, v4
	v_xor_b32_e32 v4, v4, v3
	s_delay_alu instid0(VALU_DEP_1)
	v_sub_nc_u32_e32 v3, v4, v3
	s_branch .LBB159_597
.LBB159_593:
	s_mov_b32 s43, -1
                                        ; implicit-def: $vgpr3
	s_branch .LBB159_598
.LBB159_594:
	s_or_saveexec_b32 s2, s2
	v_mov_b32_e32 v3, s44
	s_xor_b32 exec_lo, exec_lo, s2
	s_cbranch_execz .LBB159_575
.LBB159_595:
	v_cmp_ne_u16_e32 vcc_lo, 0, v4
	v_mov_b32_e32 v3, 0
	s_and_not1_b32 s43, s43, exec_lo
	s_and_b32 s44, vcc_lo, exec_lo
	s_delay_alu instid0(SALU_CYCLE_1)
	s_or_b32 s43, s43, s44
	s_or_b32 exec_lo, exec_lo, s2
	s_and_saveexec_b32 s2, s43
	s_cbranch_execnz .LBB159_576
	s_branch .LBB159_577
.LBB159_596:
	s_mov_b32 s42, -1
                                        ; implicit-def: $vgpr3
.LBB159_597:
	s_mov_b32 s43, 0
.LBB159_598:
	s_delay_alu instid0(SALU_CYCLE_1)
	s_and_b32 vcc_lo, exec_lo, s43
	s_cbranch_vccz .LBB159_602
; %bb.599:
	v_cmp_eq_u16_e32 vcc_lo, 11, v6
	s_cbranch_vccz .LBB159_601
; %bb.600:
	global_load_u8 v3, v[1:2], off
	s_mov_b32 s42, 0
	s_mov_b32 s2, -1
	s_waitcnt vmcnt(0)
	v_cmp_ne_u16_e32 vcc_lo, 0, v3
	v_cndmask_b32_e64 v3, 0, 1, vcc_lo
	s_branch .LBB159_602
.LBB159_601:
	s_mov_b32 s42, -1
                                        ; implicit-def: $vgpr3
.LBB159_602:
	s_mov_b32 s43, 0
.LBB159_603:
	s_delay_alu instid0(SALU_CYCLE_1)
	s_and_b32 vcc_lo, exec_lo, s43
	s_cbranch_vccz .LBB159_652
; %bb.604:
	v_cmp_gt_i16_e32 vcc_lo, 5, v6
	s_cbranch_vccnz .LBB159_609
; %bb.605:
	v_cmp_gt_i16_e32 vcc_lo, 8, v6
	s_cbranch_vccnz .LBB159_610
	;; [unrolled: 3-line block ×3, first 2 shown]
; %bb.607:
	v_cmp_lt_i16_e32 vcc_lo, 9, v6
	s_cbranch_vccz .LBB159_612
; %bb.608:
	global_load_b64 v[3:4], v[1:2], off
	s_mov_b32 s2, 0
	s_waitcnt vmcnt(0)
	v_trunc_f64_e32 v[3:4], v[3:4]
	s_delay_alu instid0(VALU_DEP_1) | instskip(NEXT) | instid1(VALU_DEP_1)
	v_ldexp_f64 v[8:9], v[3:4], 0xffffffe0
	v_floor_f64_e32 v[8:9], v[8:9]
	s_delay_alu instid0(VALU_DEP_1) | instskip(NEXT) | instid1(VALU_DEP_1)
	v_fma_f64 v[3:4], 0xc1f00000, v[8:9], v[3:4]
	v_cvt_u32_f64_e32 v3, v[3:4]
	s_branch .LBB159_613
.LBB159_609:
	s_mov_b32 s2, -1
                                        ; implicit-def: $vgpr3
	s_branch .LBB159_631
.LBB159_610:
	s_mov_b32 s2, -1
                                        ; implicit-def: $vgpr3
	s_branch .LBB159_619
.LBB159_611:
	s_mov_b32 s2, -1
                                        ; implicit-def: $vgpr3
	s_branch .LBB159_616
.LBB159_612:
	s_mov_b32 s2, -1
                                        ; implicit-def: $vgpr3
.LBB159_613:
	s_delay_alu instid0(SALU_CYCLE_1)
	s_and_not1_b32 vcc_lo, exec_lo, s2
	s_cbranch_vccnz .LBB159_615
; %bb.614:
	global_load_b32 v3, v[1:2], off
	s_waitcnt vmcnt(0)
	v_trunc_f32_e32 v3, v3
	s_delay_alu instid0(VALU_DEP_1) | instskip(NEXT) | instid1(VALU_DEP_1)
	v_mul_f32_e64 v4, 0x2f800000, |v3|
	v_floor_f32_e32 v4, v4
	s_delay_alu instid0(VALU_DEP_1) | instskip(SKIP_1) | instid1(VALU_DEP_2)
	v_fma_f32 v4, 0xcf800000, v4, |v3|
	v_ashrrev_i32_e32 v3, 31, v3
	v_cvt_u32_f32_e32 v4, v4
	s_delay_alu instid0(VALU_DEP_1) | instskip(NEXT) | instid1(VALU_DEP_1)
	v_xor_b32_e32 v4, v4, v3
	v_sub_nc_u32_e32 v3, v4, v3
.LBB159_615:
	s_mov_b32 s2, 0
.LBB159_616:
	s_delay_alu instid0(SALU_CYCLE_1)
	s_and_not1_b32 vcc_lo, exec_lo, s2
	s_cbranch_vccnz .LBB159_618
; %bb.617:
	global_load_b32 v3, v[1:2], off
	s_waitcnt vmcnt(0)
	v_cvt_f32_f16_e32 v3, v3
	s_delay_alu instid0(VALU_DEP_1)
	v_cvt_i32_f32_e32 v3, v3
.LBB159_618:
	s_mov_b32 s2, 0
.LBB159_619:
	s_delay_alu instid0(SALU_CYCLE_1)
	s_and_not1_b32 vcc_lo, exec_lo, s2
	s_cbranch_vccnz .LBB159_630
; %bb.620:
	v_cmp_gt_i16_e32 vcc_lo, 6, v6
	s_cbranch_vccnz .LBB159_623
; %bb.621:
	v_cmp_lt_i16_e32 vcc_lo, 6, v6
	s_cbranch_vccz .LBB159_624
; %bb.622:
	global_load_b64 v[3:4], v[1:2], off
	s_mov_b32 s2, 0
	s_waitcnt vmcnt(0)
	v_trunc_f64_e32 v[3:4], v[3:4]
	s_delay_alu instid0(VALU_DEP_1) | instskip(NEXT) | instid1(VALU_DEP_1)
	v_ldexp_f64 v[8:9], v[3:4], 0xffffffe0
	v_floor_f64_e32 v[8:9], v[8:9]
	s_delay_alu instid0(VALU_DEP_1) | instskip(NEXT) | instid1(VALU_DEP_1)
	v_fma_f64 v[3:4], 0xc1f00000, v[8:9], v[3:4]
	v_cvt_u32_f64_e32 v3, v[3:4]
	s_branch .LBB159_625
.LBB159_623:
	s_mov_b32 s2, -1
                                        ; implicit-def: $vgpr3
	s_branch .LBB159_628
.LBB159_624:
	s_mov_b32 s2, -1
                                        ; implicit-def: $vgpr3
.LBB159_625:
	s_delay_alu instid0(SALU_CYCLE_1)
	s_and_not1_b32 vcc_lo, exec_lo, s2
	s_cbranch_vccnz .LBB159_627
; %bb.626:
	global_load_b32 v3, v[1:2], off
	s_waitcnt vmcnt(0)
	v_trunc_f32_e32 v3, v3
	s_delay_alu instid0(VALU_DEP_1) | instskip(NEXT) | instid1(VALU_DEP_1)
	v_mul_f32_e64 v4, 0x2f800000, |v3|
	v_floor_f32_e32 v4, v4
	s_delay_alu instid0(VALU_DEP_1) | instskip(SKIP_1) | instid1(VALU_DEP_2)
	v_fma_f32 v4, 0xcf800000, v4, |v3|
	v_ashrrev_i32_e32 v3, 31, v3
	v_cvt_u32_f32_e32 v4, v4
	s_delay_alu instid0(VALU_DEP_1) | instskip(NEXT) | instid1(VALU_DEP_1)
	v_xor_b32_e32 v4, v4, v3
	v_sub_nc_u32_e32 v3, v4, v3
.LBB159_627:
	s_mov_b32 s2, 0
.LBB159_628:
	s_delay_alu instid0(SALU_CYCLE_1)
	s_and_not1_b32 vcc_lo, exec_lo, s2
	s_cbranch_vccnz .LBB159_630
; %bb.629:
	global_load_u16 v3, v[1:2], off
	s_waitcnt vmcnt(0)
	v_cvt_f32_f16_e32 v3, v3
	s_delay_alu instid0(VALU_DEP_1)
	v_cvt_i32_f32_e32 v3, v3
.LBB159_630:
	s_mov_b32 s2, 0
.LBB159_631:
	s_delay_alu instid0(SALU_CYCLE_1)
	s_and_not1_b32 vcc_lo, exec_lo, s2
	s_cbranch_vccnz .LBB159_651
; %bb.632:
	v_cmp_gt_i16_e32 vcc_lo, 2, v6
	s_cbranch_vccnz .LBB159_636
; %bb.633:
	v_cmp_gt_i16_e32 vcc_lo, 3, v6
	s_cbranch_vccnz .LBB159_637
; %bb.634:
	v_cmp_lt_i16_e32 vcc_lo, 3, v6
	s_cbranch_vccz .LBB159_638
; %bb.635:
	global_load_b64 v[3:4], v[1:2], off
	s_mov_b32 s2, 0
	s_branch .LBB159_639
.LBB159_636:
	s_mov_b32 s2, -1
                                        ; implicit-def: $vgpr3
	s_branch .LBB159_645
.LBB159_637:
	s_mov_b32 s2, -1
                                        ; implicit-def: $vgpr3
	s_branch .LBB159_642
.LBB159_638:
	s_mov_b32 s2, -1
                                        ; implicit-def: $vgpr3
.LBB159_639:
	s_delay_alu instid0(SALU_CYCLE_1)
	s_and_not1_b32 vcc_lo, exec_lo, s2
	s_cbranch_vccnz .LBB159_641
; %bb.640:
	global_load_b32 v3, v[1:2], off
.LBB159_641:
	s_mov_b32 s2, 0
.LBB159_642:
	s_delay_alu instid0(SALU_CYCLE_1)
	s_and_not1_b32 vcc_lo, exec_lo, s2
	s_cbranch_vccnz .LBB159_644
; %bb.643:
	global_load_u16 v3, v[1:2], off
.LBB159_644:
	s_mov_b32 s2, 0
.LBB159_645:
	s_delay_alu instid0(SALU_CYCLE_1)
	s_and_not1_b32 vcc_lo, exec_lo, s2
	s_cbranch_vccnz .LBB159_651
; %bb.646:
	v_cmp_lt_i16_e32 vcc_lo, 0, v6
	s_mov_b32 s2, 0
	s_cbranch_vccz .LBB159_648
; %bb.647:
	global_load_u8 v3, v[1:2], off
	s_branch .LBB159_649
.LBB159_648:
	s_mov_b32 s2, -1
                                        ; implicit-def: $vgpr3
.LBB159_649:
	s_delay_alu instid0(SALU_CYCLE_1)
	s_and_not1_b32 vcc_lo, exec_lo, s2
	s_cbranch_vccnz .LBB159_651
; %bb.650:
	global_load_u8 v3, v[1:2], off
.LBB159_651:
	s_mov_b32 s2, -1
.LBB159_652:
	s_delay_alu instid0(SALU_CYCLE_1)
	s_and_not1_b32 vcc_lo, exec_lo, s2
	s_cbranch_vccnz .LBB159_660
; %bb.653:
	s_waitcnt vmcnt(0)
	s_delay_alu instid0(VALU_DEP_1) | instskip(SKIP_3) | instid1(VALU_DEP_3)
	v_cvt_f32_ubyte0_e32 v1, v3
	v_and_b32_e64 v4, 0xff, s11
	v_add_co_u32 v0, s2, s4, v0
	s_mov_b32 s43, 0
	v_mul_f32_e32 v2, v5, v1
	s_delay_alu instid0(VALU_DEP_3) | instskip(SKIP_2) | instid1(VALU_DEP_3)
	v_cmp_gt_i16_e32 vcc_lo, 11, v4
	v_add_co_ci_u32_e64 v1, null, s5, 0, s2
	s_mov_b32 s44, -1
	v_mul_f32_e32 v2, s10, v2
	s_mov_b32 s2, s38
	s_cbranch_vccnz .LBB159_661
; %bb.654:
	v_cmp_lt_i16_e32 vcc_lo, 25, v4
	s_cbranch_vccz .LBB159_724
; %bb.655:
	v_cmp_lt_i16_e32 vcc_lo, 28, v4
	s_cbranch_vccz .LBB159_726
	;; [unrolled: 3-line block ×4, first 2 shown]
; %bb.658:
	v_cmp_eq_u16_e32 vcc_lo, 46, v4
	s_mov_b32 s44, 0
	s_mov_b32 s2, -1
	s_cbranch_vccz .LBB159_731
; %bb.659:
	v_bfe_u32 v3, v2, 16, 1
	v_cmp_o_f32_e32 vcc_lo, v2, v2
	s_mov_b32 s43, -1
	s_mov_b32 s2, 0
	s_delay_alu instid0(VALU_DEP_2) | instskip(NEXT) | instid1(VALU_DEP_1)
	v_add3_u32 v3, v2, v3, 0x7fff
	v_lshrrev_b32_e32 v3, 16, v3
	s_delay_alu instid0(VALU_DEP_1)
	v_cndmask_b32_e32 v3, 0x7fc0, v3, vcc_lo
	global_store_b32 v[0:1], v3, off
	s_branch .LBB159_731
.LBB159_660:
	s_mov_b32 s46, 0
	s_mov_b32 s2, s38
	s_branch .LBB159_701
.LBB159_661:
	s_and_b32 vcc_lo, exec_lo, s44
	s_cbranch_vccz .LBB159_800
; %bb.662:
	v_cmp_gt_i16_e32 vcc_lo, 5, v4
	s_mov_b32 s43, -1
	s_cbranch_vccnz .LBB159_683
; %bb.663:
	v_cmp_gt_i16_e32 vcc_lo, 8, v4
	s_cbranch_vccnz .LBB159_673
; %bb.664:
	v_cmp_gt_i16_e32 vcc_lo, 9, v4
	s_cbranch_vccnz .LBB159_670
; %bb.665:
	v_cmp_lt_i16_e32 vcc_lo, 9, v4
	s_cbranch_vccz .LBB159_667
; %bb.666:
	v_cvt_f64_f32_e32 v[8:9], v2
	v_mov_b32_e32 v10, 0
	s_mov_b32 s43, 0
	s_delay_alu instid0(VALU_DEP_1)
	v_mov_b32_e32 v11, v10
	global_store_b128 v[0:1], v[8:11], off
.LBB159_667:
	s_and_not1_b32 vcc_lo, exec_lo, s43
	s_cbranch_vccnz .LBB159_669
; %bb.668:
	v_mov_b32_e32 v3, 0
	global_store_b64 v[0:1], v[2:3], off
.LBB159_669:
	s_mov_b32 s43, 0
.LBB159_670:
	s_delay_alu instid0(SALU_CYCLE_1)
	s_and_not1_b32 vcc_lo, exec_lo, s43
	s_cbranch_vccnz .LBB159_672
; %bb.671:
	v_cvt_f16_f32_e32 v3, v2
	s_delay_alu instid0(VALU_DEP_1)
	v_and_b32_e32 v3, 0xffff, v3
	global_store_b32 v[0:1], v3, off
.LBB159_672:
	s_mov_b32 s43, 0
.LBB159_673:
	s_delay_alu instid0(SALU_CYCLE_1)
	s_and_not1_b32 vcc_lo, exec_lo, s43
	s_cbranch_vccnz .LBB159_682
; %bb.674:
	v_cmp_gt_i16_e32 vcc_lo, 6, v4
	s_mov_b32 s43, -1
	s_cbranch_vccnz .LBB159_680
; %bb.675:
	v_cmp_lt_i16_e32 vcc_lo, 6, v4
	s_cbranch_vccz .LBB159_677
; %bb.676:
	v_cvt_f64_f32_e32 v[5:6], v2
	s_mov_b32 s43, 0
	global_store_b64 v[0:1], v[5:6], off
.LBB159_677:
	s_and_not1_b32 vcc_lo, exec_lo, s43
	s_cbranch_vccnz .LBB159_679
; %bb.678:
	global_store_b32 v[0:1], v2, off
.LBB159_679:
	s_mov_b32 s43, 0
.LBB159_680:
	s_delay_alu instid0(SALU_CYCLE_1)
	s_and_not1_b32 vcc_lo, exec_lo, s43
	s_cbranch_vccnz .LBB159_682
; %bb.681:
	v_cvt_f16_f32_e32 v3, v2
	global_store_b16 v[0:1], v3, off
.LBB159_682:
	s_mov_b32 s43, 0
.LBB159_683:
	s_delay_alu instid0(SALU_CYCLE_1)
	s_and_not1_b32 vcc_lo, exec_lo, s43
	s_cbranch_vccnz .LBB159_699
; %bb.684:
	v_cmp_gt_i16_e32 vcc_lo, 2, v4
	s_mov_b32 s43, -1
	s_cbranch_vccnz .LBB159_694
; %bb.685:
	v_cmp_gt_i16_e32 vcc_lo, 3, v4
	s_cbranch_vccnz .LBB159_691
; %bb.686:
	v_cmp_lt_i16_e32 vcc_lo, 3, v4
	s_cbranch_vccz .LBB159_688
; %bb.687:
	v_trunc_f32_e32 v3, v2
	s_mov_b32 s43, 0
	s_delay_alu instid0(VALU_DEP_1) | instskip(NEXT) | instid1(VALU_DEP_1)
	v_mul_f32_e64 v5, 0x2f800000, |v3|
	v_floor_f32_e32 v5, v5
	s_delay_alu instid0(VALU_DEP_1) | instskip(SKIP_2) | instid1(VALU_DEP_3)
	v_fma_f32 v6, 0xcf800000, v5, |v3|
	v_ashrrev_i32_e32 v3, 31, v3
	v_cvt_u32_f32_e32 v5, v5
	v_cvt_u32_f32_e32 v6, v6
	s_delay_alu instid0(VALU_DEP_2) | instskip(NEXT) | instid1(VALU_DEP_2)
	v_xor_b32_e32 v8, v5, v3
	v_xor_b32_e32 v6, v6, v3
	s_delay_alu instid0(VALU_DEP_1) | instskip(NEXT) | instid1(VALU_DEP_3)
	v_sub_co_u32 v5, vcc_lo, v6, v3
	v_sub_co_ci_u32_e32 v6, vcc_lo, v8, v3, vcc_lo
	global_store_b64 v[0:1], v[5:6], off
.LBB159_688:
	s_and_not1_b32 vcc_lo, exec_lo, s43
	s_cbranch_vccnz .LBB159_690
; %bb.689:
	v_cvt_i32_f32_e32 v3, v2
	global_store_b32 v[0:1], v3, off
.LBB159_690:
	s_mov_b32 s43, 0
.LBB159_691:
	s_delay_alu instid0(SALU_CYCLE_1)
	s_and_not1_b32 vcc_lo, exec_lo, s43
	s_cbranch_vccnz .LBB159_693
; %bb.692:
	v_cvt_i32_f32_e32 v3, v2
	global_store_b16 v[0:1], v3, off
.LBB159_693:
	s_mov_b32 s43, 0
.LBB159_694:
	s_delay_alu instid0(SALU_CYCLE_1)
	s_and_not1_b32 vcc_lo, exec_lo, s43
	s_cbranch_vccnz .LBB159_699
; %bb.695:
	v_cmp_lt_i16_e32 vcc_lo, 0, v4
	s_mov_b32 s43, -1
	s_cbranch_vccz .LBB159_697
; %bb.696:
	v_cvt_i32_f32_e32 v3, v2
	s_mov_b32 s43, 0
	global_store_b8 v[0:1], v3, off
.LBB159_697:
	s_and_not1_b32 vcc_lo, exec_lo, s43
	s_cbranch_vccnz .LBB159_699
; %bb.698:
	v_trunc_f32_e32 v2, v2
	s_delay_alu instid0(VALU_DEP_1) | instskip(NEXT) | instid1(VALU_DEP_1)
	v_mul_f32_e64 v3, 0x2f800000, |v2|
	v_floor_f32_e32 v3, v3
	s_delay_alu instid0(VALU_DEP_1) | instskip(SKIP_1) | instid1(VALU_DEP_2)
	v_fma_f32 v3, 0xcf800000, v3, |v2|
	v_ashrrev_i32_e32 v2, 31, v2
	v_cvt_u32_f32_e32 v3, v3
	s_delay_alu instid0(VALU_DEP_1) | instskip(NEXT) | instid1(VALU_DEP_1)
	v_xor_b32_e32 v3, v3, v2
	v_sub_nc_u32_e32 v2, v3, v2
	global_store_b8 v[0:1], v2, off
.LBB159_699:
	s_branch .LBB159_801
.LBB159_700:
	s_mov_b32 s46, 0
.LBB159_701:
                                        ; implicit-def: $vgpr7
.LBB159_702:
	s_and_not1_b32 s43, s38, exec_lo
	s_and_b32 s2, s2, exec_lo
	s_and_b32 s42, s42, exec_lo
	s_or_b32 s43, s43, s2
	s_and_not1_b32 s2, s39, exec_lo
	s_and_not1_b32 s47, s40, exec_lo
	s_and_b32 s3, s3, exec_lo
	s_or_b32 s44, s2, s42
	s_or_b32 s42, s47, s3
	s_or_not1_b32 s47, s46, exec_lo
.LBB159_703:
	s_or_b32 exec_lo, exec_lo, s45
	s_mov_b32 s2, 0
	s_mov_b32 s3, 0
	;; [unrolled: 1-line block ×3, first 2 shown]
                                        ; implicit-def: $vgpr4
                                        ; implicit-def: $vgpr2_vgpr3
                                        ; implicit-def: $vgpr0
                                        ; implicit-def: $vgpr1
                                        ; implicit-def: $vgpr6
	s_and_saveexec_b32 s45, s47
	s_cbranch_execz .LBB159_1268
; %bb.704:
	s_mov_b32 s51, -1
	s_mov_b32 s47, s42
	s_mov_b32 s49, s44
	;; [unrolled: 1-line block ×3, first 2 shown]
	s_mov_b32 s46, exec_lo
	v_cmpx_gt_i32_e64 s36, v7
	s_cbranch_execz .LBB159_1099
; %bb.705:
	s_and_not1_b32 vcc_lo, exec_lo, s29
	s_cbranch_vccnz .LBB159_711
; %bb.706:
	v_dual_mov_b32 v0, 0 :: v_dual_mov_b32 v1, 0
	v_mov_b32_e32 v2, 0
	s_and_not1_b32 vcc_lo, exec_lo, s37
	s_mov_b32 s47, 0
	s_cbranch_vccnz .LBB159_712
; %bb.707:
	s_add_i32 s2, s35, 1
	v_dual_mov_b32 v1, 0 :: v_dual_mov_b32 v2, 0
	s_waitcnt vmcnt(0)
	v_dual_mov_b32 v0, 0 :: v_dual_mov_b32 v3, v7
	s_and_b32 s48, s2, 30
	s_add_u32 s2, s20, 0xffffffec
	s_addc_u32 s3, s21, -1
	s_set_inst_prefetch_distance 0x1
	.p2align	6
.LBB159_708:                            ; =>This Inner Loop Header: Depth=1
	s_clause 0x2
	s_load_b128 s[52:55], s[2:3], 0x18
	s_load_b64 s[50:51], s[2:3], 0x28
	s_load_b128 s[56:59], s[2:3], 0xd8
	s_waitcnt lgkmcnt(0)
	v_mul_hi_u32 v4, s53, v3
	s_delay_alu instid0(VALU_DEP_1) | instskip(NEXT) | instid1(VALU_DEP_1)
	v_add_nc_u32_e32 v4, v3, v4
	v_lshrrev_b32_e32 v4, s54, v4
	s_delay_alu instid0(VALU_DEP_1)
	v_mul_hi_u32 v5, s50, v4
	v_mul_lo_u32 v6, v4, s52
	s_load_b64 s[52:53], s[2:3], 0xe8
	s_add_u32 s2, s2, 24
	s_addc_u32 s3, s3, 0
	s_add_i32 s48, s48, -2
	s_delay_alu instid0(SALU_CYCLE_1) | instskip(NEXT) | instid1(VALU_DEP_2)
	s_cmp_eq_u32 s48, 0
	v_add_nc_u32_e32 v5, v4, v5
	s_delay_alu instid0(VALU_DEP_2) | instskip(NEXT) | instid1(VALU_DEP_2)
	v_sub_nc_u32_e32 v6, v3, v6
	v_lshrrev_b32_e32 v3, s51, v5
	s_delay_alu instid0(VALU_DEP_2) | instskip(NEXT) | instid1(VALU_DEP_2)
	v_mul_lo_u32 v8, v6, s56
	v_mul_lo_u32 v5, v3, s55
	s_delay_alu instid0(VALU_DEP_1) | instskip(SKIP_2) | instid1(VALU_DEP_3)
	v_sub_nc_u32_e32 v4, v4, v5
	v_mul_lo_u32 v5, v6, s57
	v_mul_lo_u32 v6, v6, s58
	;; [unrolled: 1-line block ×3, first 2 shown]
	s_waitcnt lgkmcnt(0)
	v_mul_lo_u32 v10, v4, s52
	v_mul_lo_u32 v4, v4, s53
	s_delay_alu instid0(VALU_DEP_3) | instskip(NEXT) | instid1(VALU_DEP_3)
	v_add3_u32 v0, v8, v0, v9
	v_add3_u32 v2, v5, v2, v10
	s_delay_alu instid0(VALU_DEP_3)
	v_add3_u32 v1, v6, v1, v4
	s_cbranch_scc0 .LBB159_708
; %bb.709:
	s_set_inst_prefetch_distance 0x2
	s_bitcmp1_b32 s35, 0
	s_cselect_b32 s48, -1, 0
	s_delay_alu instid0(SALU_CYCLE_1)
	s_and_b32 vcc_lo, exec_lo, s48
	s_cbranch_vccnz .LBB159_712
; %bb.710:
	s_clause 0x3
	s_load_b64 s[48:49], s[2:3], 0x18
	s_load_b32 s52, s[2:3], 0x20
	s_load_b64 s[50:51], s[2:3], 0xd8
	s_load_b32 s2, s[2:3], 0xe0
	s_waitcnt lgkmcnt(0)
	v_mul_hi_u32 v4, s49, v3
	s_delay_alu instid0(VALU_DEP_1) | instskip(NEXT) | instid1(VALU_DEP_1)
	v_add_nc_u32_e32 v4, v3, v4
	v_lshrrev_b32_e32 v4, s52, v4
	s_delay_alu instid0(VALU_DEP_1) | instskip(NEXT) | instid1(VALU_DEP_1)
	v_mul_lo_u32 v4, v4, s48
	v_sub_nc_u32_e32 v8, v3, v4
	s_delay_alu instid0(VALU_DEP_1) | instskip(NEXT) | instid1(VALU_DEP_1)
	v_mad_u64_u32 v[3:4], null, v8, s50, v[0:1]
	v_mad_u64_u32 v[4:5], null, v8, s51, v[2:3]
	;; [unrolled: 1-line block ×3, first 2 shown]
	v_mov_b32_e32 v0, v3
	s_delay_alu instid0(VALU_DEP_2)
	v_dual_mov_b32 v2, v4 :: v_dual_mov_b32 v1, v5
	s_branch .LBB159_712
.LBB159_711:
	s_mov_b32 s47, -1
                                        ; implicit-def: $vgpr0
                                        ; implicit-def: $vgpr2
                                        ; implicit-def: $vgpr1
.LBB159_712:
	s_delay_alu instid0(SALU_CYCLE_1)
	s_and_not1_b32 vcc_lo, exec_lo, s47
	s_cbranch_vccnz .LBB159_715
; %bb.713:
	v_mul_hi_u32 v0, s17, v7
	s_and_not1_b32 vcc_lo, exec_lo, s34
	s_delay_alu instid0(VALU_DEP_1) | instskip(SKIP_1) | instid1(VALU_DEP_1)
	v_add_nc_u32_e32 v0, v7, v0
	s_waitcnt vmcnt(0)
	v_lshrrev_b32_e32 v3, s18, v0
	s_delay_alu instid0(VALU_DEP_1) | instskip(NEXT) | instid1(VALU_DEP_1)
	v_mul_lo_u32 v0, v3, s16
	v_sub_nc_u32_e32 v1, v7, v0
	s_delay_alu instid0(VALU_DEP_1)
	v_mul_lo_u32 v0, v1, s12
	v_mul_lo_u32 v2, v1, s13
	;; [unrolled: 1-line block ×3, first 2 shown]
	s_cbranch_vccnz .LBB159_715
; %bb.714:
	v_mul_hi_u32 v4, s24, v3
	s_delay_alu instid0(VALU_DEP_1) | instskip(NEXT) | instid1(VALU_DEP_1)
	v_add_nc_u32_e32 v4, v3, v4
	v_lshrrev_b32_e32 v4, s25, v4
	s_delay_alu instid0(VALU_DEP_1) | instskip(NEXT) | instid1(VALU_DEP_1)
	v_mul_lo_u32 v4, v4, s19
	v_sub_nc_u32_e32 v8, v3, v4
	s_delay_alu instid0(VALU_DEP_1) | instskip(NEXT) | instid1(VALU_DEP_1)
	v_mad_u64_u32 v[3:4], null, v8, s15, v[0:1]
	v_mad_u64_u32 v[4:5], null, v8, s22, v[2:3]
	;; [unrolled: 1-line block ×3, first 2 shown]
	v_mov_b32_e32 v0, v3
	s_delay_alu instid0(VALU_DEP_2)
	v_dual_mov_b32 v2, v4 :: v_dual_mov_b32 v1, v5
.LBB159_715:
	s_waitcnt vmcnt(0)
	v_and_b32_e64 v4, 0xff, s33
	s_delay_alu instid0(VALU_DEP_2) | instskip(NEXT) | instid1(VALU_DEP_1)
	v_add_co_u32 v2, s2, s6, v2
	v_add_co_ci_u32_e64 v3, null, s7, 0, s2
	s_delay_alu instid0(VALU_DEP_3)
	v_cmp_gt_i16_e32 vcc_lo, 11, v4
	s_mov_b32 s2, 0
	s_cbranch_vccnz .LBB159_722
; %bb.716:
	v_cmp_lt_i16_e32 vcc_lo, 25, v4
	s_cbranch_vccz .LBB159_723
; %bb.717:
	v_cmp_lt_i16_e32 vcc_lo, 28, v4
	s_cbranch_vccz .LBB159_725
	;; [unrolled: 3-line block ×4, first 2 shown]
; %bb.720:
	v_cmp_eq_u16_e32 vcc_lo, 46, v4
	s_mov_b32 s47, 0
	s_cbranch_vccz .LBB159_802
; %bb.721:
	global_load_b32 v5, v[2:3], off
	s_mov_b32 s2, -1
	s_mov_b32 s3, 0
	s_waitcnt vmcnt(0)
	v_lshlrev_b32_e32 v5, 16, v5
	s_branch .LBB159_804
.LBB159_722:
	s_mov_b32 s47, -1
	s_mov_b32 s3, s42
                                        ; implicit-def: $vgpr5
	s_branch .LBB159_871
.LBB159_723:
	s_mov_b32 s47, -1
	s_mov_b32 s3, s42
                                        ; implicit-def: $vgpr5
	s_branch .LBB159_835
.LBB159_724:
	s_mov_b32 s2, s38
	s_branch .LBB159_758
.LBB159_725:
	s_mov_b32 s47, -1
	s_mov_b32 s3, s42
                                        ; implicit-def: $vgpr5
	s_branch .LBB159_816
.LBB159_726:
	s_mov_b32 s2, s38
	s_branch .LBB159_741
.LBB159_727:
	s_mov_b32 s47, -1
	s_mov_b32 s3, s42
                                        ; implicit-def: $vgpr5
	s_branch .LBB159_811
.LBB159_728:
	s_mov_b32 s2, s38
	s_branch .LBB159_737
.LBB159_729:
	s_mov_b32 s47, -1
	s_mov_b32 s3, s42
	s_branch .LBB159_803
.LBB159_730:
	s_mov_b32 s2, s38
.LBB159_731:
	s_and_b32 vcc_lo, exec_lo, s44
	s_cbranch_vccz .LBB159_736
; %bb.732:
	v_cmp_eq_u16_e32 vcc_lo, 44, v4
	s_mov_b32 s2, -1
	s_cbranch_vccz .LBB159_736
; %bb.733:
	v_bfe_u32 v5, v2, 23, 8
	v_mov_b32_e32 v3, 0xff
	s_mov_b32 s43, exec_lo
	s_delay_alu instid0(VALU_DEP_2)
	v_cmpx_ne_u32_e32 0xff, v5
; %bb.734:
	v_and_b32_e32 v3, 0x400000, v2
	v_and_or_b32 v5, 0x3fffff, v2, v5
	s_delay_alu instid0(VALU_DEP_2) | instskip(NEXT) | instid1(VALU_DEP_2)
	v_cmp_ne_u32_e32 vcc_lo, 0, v3
	v_cmp_ne_u32_e64 s2, 0, v5
	v_lshrrev_b32_e32 v3, 23, v2
	s_delay_alu instid0(VALU_DEP_2) | instskip(NEXT) | instid1(SALU_CYCLE_1)
	s_and_b32 s2, vcc_lo, s2
	v_cndmask_b32_e64 v5, 0, 1, s2
	s_delay_alu instid0(VALU_DEP_1)
	v_add_nc_u32_e32 v3, v3, v5
; %bb.735:
	s_or_b32 exec_lo, exec_lo, s43
	s_mov_b32 s43, -1
	s_mov_b32 s2, 0
	global_store_b8 v[0:1], v3, off
.LBB159_736:
	s_mov_b32 s44, 0
.LBB159_737:
	s_delay_alu instid0(SALU_CYCLE_1)
	s_and_b32 vcc_lo, exec_lo, s44
	s_cbranch_vccz .LBB159_740
; %bb.738:
	v_cmp_eq_u16_e32 vcc_lo, 29, v4
	s_mov_b32 s2, -1
	s_cbranch_vccz .LBB159_740
; %bb.739:
	v_trunc_f32_e32 v3, v2
	s_mov_b32 s43, -1
	s_mov_b32 s2, 0
	s_mov_b32 s44, 0
	s_delay_alu instid0(VALU_DEP_1) | instskip(NEXT) | instid1(VALU_DEP_1)
	v_mul_f32_e32 v5, 0x2f800000, v3
	v_floor_f32_e32 v5, v5
	s_delay_alu instid0(VALU_DEP_1) | instskip(SKIP_1) | instid1(VALU_DEP_2)
	v_fmamk_f32 v3, v5, 0xcf800000, v3
	v_cvt_u32_f32_e32 v6, v5
	v_cvt_u32_f32_e32 v5, v3
	global_store_b64 v[0:1], v[5:6], off
	s_branch .LBB159_741
.LBB159_740:
	s_mov_b32 s44, 0
.LBB159_741:
	s_delay_alu instid0(SALU_CYCLE_1)
	s_and_b32 vcc_lo, exec_lo, s44
	s_cbranch_vccz .LBB159_757
; %bb.742:
	v_cmp_gt_i16_e32 vcc_lo, 27, v4
	s_mov_b32 s43, -1
	s_cbranch_vccnz .LBB159_748
; %bb.743:
	v_cmp_lt_i16_e32 vcc_lo, 27, v4
	s_cbranch_vccz .LBB159_745
; %bb.744:
	v_cvt_u32_f32_e32 v3, v2
	s_mov_b32 s43, 0
	global_store_b32 v[0:1], v3, off
.LBB159_745:
	s_and_not1_b32 vcc_lo, exec_lo, s43
	s_cbranch_vccnz .LBB159_747
; %bb.746:
	v_cvt_u32_f32_e32 v3, v2
	global_store_b16 v[0:1], v3, off
.LBB159_747:
	s_mov_b32 s43, 0
.LBB159_748:
	s_delay_alu instid0(SALU_CYCLE_1)
	s_and_not1_b32 vcc_lo, exec_lo, s43
	s_cbranch_vccnz .LBB159_756
; %bb.749:
	v_and_b32_e32 v3, 0x7fffffff, v2
	v_mov_b32_e32 v5, 0x80
	s_mov_b32 s43, exec_lo
	s_delay_alu instid0(VALU_DEP_2)
	v_cmpx_gt_u32_e32 0x43800000, v3
	s_cbranch_execz .LBB159_755
; %bb.750:
	v_cmp_lt_u32_e32 vcc_lo, 0x3bffffff, v3
	s_mov_b32 s44, 0
                                        ; implicit-def: $vgpr3
	s_and_saveexec_b32 s46, vcc_lo
	s_delay_alu instid0(SALU_CYCLE_1)
	s_xor_b32 s46, exec_lo, s46
	s_cbranch_execz .LBB159_807
; %bb.751:
	v_bfe_u32 v3, v2, 20, 1
	s_mov_b32 s44, exec_lo
	s_delay_alu instid0(VALU_DEP_1) | instskip(NEXT) | instid1(VALU_DEP_1)
	v_add3_u32 v3, v2, v3, 0x487ffff
	v_lshrrev_b32_e32 v3, 20, v3
	s_or_saveexec_b32 s46, s46
                                        ; implicit-def: $sgpr47
	s_delay_alu instid0(SALU_CYCLE_1)
	s_xor_b32 exec_lo, exec_lo, s46
	s_cbranch_execnz .LBB159_808
.LBB159_752:
	s_or_b32 exec_lo, exec_lo, s46
	v_mov_b32_e32 v5, s47
	s_and_saveexec_b32 s46, s44
.LBB159_753:
	v_lshrrev_b32_e32 v5, 24, v2
	s_delay_alu instid0(VALU_DEP_1)
	v_and_or_b32 v5, 0x80, v5, v3
.LBB159_754:
	s_or_b32 exec_lo, exec_lo, s46
.LBB159_755:
	s_delay_alu instid0(SALU_CYCLE_1)
	s_or_b32 exec_lo, exec_lo, s43
	global_store_b8 v[0:1], v5, off
.LBB159_756:
	s_mov_b32 s43, -1
.LBB159_757:
	s_mov_b32 s44, 0
.LBB159_758:
	s_delay_alu instid0(SALU_CYCLE_1)
	s_and_b32 vcc_lo, exec_lo, s44
	s_cbranch_vccz .LBB159_799
; %bb.759:
	v_cmp_lt_i16_e32 vcc_lo, 22, v4
	s_mov_b32 s44, -1
	s_cbranch_vccz .LBB159_791
; %bb.760:
	v_cmp_gt_i16_e32 vcc_lo, 24, v4
	s_mov_b32 s43, -1
	s_cbranch_vccnz .LBB159_780
; %bb.761:
	v_cmp_lt_i16_e32 vcc_lo, 24, v4
	s_cbranch_vccz .LBB159_769
; %bb.762:
	v_and_b32_e32 v3, 0x7fffffff, v2
	v_mov_b32_e32 v5, 0x80
	s_mov_b32 s43, exec_lo
	s_delay_alu instid0(VALU_DEP_2)
	v_cmpx_gt_u32_e32 0x47800000, v3
	s_cbranch_execz .LBB159_768
; %bb.763:
	v_cmp_lt_u32_e32 vcc_lo, 0x37ffffff, v3
	s_mov_b32 s44, 0
                                        ; implicit-def: $vgpr3
	s_and_saveexec_b32 s46, vcc_lo
	s_delay_alu instid0(SALU_CYCLE_1)
	s_xor_b32 s46, exec_lo, s46
	s_cbranch_execz .LBB159_934
; %bb.764:
	v_bfe_u32 v3, v2, 21, 1
	s_mov_b32 s44, exec_lo
	s_delay_alu instid0(VALU_DEP_1) | instskip(NEXT) | instid1(VALU_DEP_1)
	v_add3_u32 v3, v2, v3, 0x88fffff
	v_lshrrev_b32_e32 v3, 21, v3
	s_or_saveexec_b32 s46, s46
                                        ; implicit-def: $sgpr47
	s_delay_alu instid0(SALU_CYCLE_1)
	s_xor_b32 exec_lo, exec_lo, s46
	s_cbranch_execnz .LBB159_935
.LBB159_765:
	s_or_b32 exec_lo, exec_lo, s46
	v_mov_b32_e32 v5, s47
	s_and_saveexec_b32 s46, s44
.LBB159_766:
	v_lshrrev_b32_e32 v5, 24, v2
	s_delay_alu instid0(VALU_DEP_1)
	v_and_or_b32 v5, 0x80, v5, v3
.LBB159_767:
	s_or_b32 exec_lo, exec_lo, s46
.LBB159_768:
	s_delay_alu instid0(SALU_CYCLE_1)
	s_or_b32 exec_lo, exec_lo, s43
	s_mov_b32 s43, 0
	global_store_b8 v[0:1], v5, off
.LBB159_769:
	s_and_b32 vcc_lo, exec_lo, s43
	s_cbranch_vccz .LBB159_779
; %bb.770:
	v_and_b32_e32 v5, 0x7fffffff, v2
	s_mov_b32 s43, exec_lo
                                        ; implicit-def: $vgpr3
	s_delay_alu instid0(VALU_DEP_1)
	v_cmpx_gt_u32_e32 0x43f00000, v5
	s_xor_b32 s43, exec_lo, s43
	s_cbranch_execz .LBB159_776
; %bb.771:
	s_mov_b32 s44, exec_lo
                                        ; implicit-def: $vgpr3
	v_cmpx_lt_u32_e32 0x3c7fffff, v5
	s_xor_b32 s44, exec_lo, s44
; %bb.772:
	v_bfe_u32 v3, v2, 20, 1
	s_delay_alu instid0(VALU_DEP_1) | instskip(NEXT) | instid1(VALU_DEP_1)
	v_add3_u32 v3, v2, v3, 0x407ffff
	v_and_b32_e32 v5, 0xff00000, v3
	v_lshrrev_b32_e32 v3, 20, v3
	s_delay_alu instid0(VALU_DEP_2) | instskip(NEXT) | instid1(VALU_DEP_2)
	v_cmp_ne_u32_e32 vcc_lo, 0x7f00000, v5
	v_cndmask_b32_e32 v3, 0x7e, v3, vcc_lo
; %bb.773:
	s_and_not1_saveexec_b32 s44, s44
; %bb.774:
	v_add_f32_e64 v3, 0x46800000, |v2|
; %bb.775:
	s_or_b32 exec_lo, exec_lo, s44
                                        ; implicit-def: $vgpr5
.LBB159_776:
	s_and_not1_saveexec_b32 s43, s43
; %bb.777:
	v_mov_b32_e32 v3, 0x7f
	v_cmp_lt_u32_e32 vcc_lo, 0x7f800000, v5
	s_delay_alu instid0(VALU_DEP_2)
	v_cndmask_b32_e32 v3, 0x7e, v3, vcc_lo
; %bb.778:
	s_or_b32 exec_lo, exec_lo, s43
	v_lshrrev_b32_e32 v5, 24, v2
	s_delay_alu instid0(VALU_DEP_1)
	v_and_or_b32 v3, 0x80, v5, v3
	global_store_b8 v[0:1], v3, off
.LBB159_779:
	s_mov_b32 s43, 0
.LBB159_780:
	s_delay_alu instid0(SALU_CYCLE_1)
	s_and_not1_b32 vcc_lo, exec_lo, s43
	s_cbranch_vccnz .LBB159_790
; %bb.781:
	v_and_b32_e32 v5, 0x7fffffff, v2
	s_mov_b32 s43, exec_lo
                                        ; implicit-def: $vgpr3
	s_delay_alu instid0(VALU_DEP_1)
	v_cmpx_gt_u32_e32 0x47800000, v5
	s_xor_b32 s43, exec_lo, s43
	s_cbranch_execz .LBB159_787
; %bb.782:
	s_mov_b32 s44, exec_lo
                                        ; implicit-def: $vgpr3
	v_cmpx_lt_u32_e32 0x387fffff, v5
	s_xor_b32 s44, exec_lo, s44
; %bb.783:
	v_bfe_u32 v3, v2, 21, 1
	s_delay_alu instid0(VALU_DEP_1) | instskip(NEXT) | instid1(VALU_DEP_1)
	v_add3_u32 v3, v2, v3, 0x80fffff
	v_lshrrev_b32_e32 v3, 21, v3
; %bb.784:
	s_and_not1_saveexec_b32 s44, s44
; %bb.785:
	v_add_f32_e64 v3, 0x43000000, |v2|
; %bb.786:
	s_or_b32 exec_lo, exec_lo, s44
                                        ; implicit-def: $vgpr5
.LBB159_787:
	s_and_not1_saveexec_b32 s43, s43
; %bb.788:
	v_mov_b32_e32 v3, 0x7f
	v_cmp_lt_u32_e32 vcc_lo, 0x7f800000, v5
	s_delay_alu instid0(VALU_DEP_2)
	v_cndmask_b32_e32 v3, 0x7c, v3, vcc_lo
; %bb.789:
	s_or_b32 exec_lo, exec_lo, s43
	v_lshrrev_b32_e32 v5, 24, v2
	s_delay_alu instid0(VALU_DEP_1)
	v_and_or_b32 v3, 0x80, v5, v3
	global_store_b8 v[0:1], v3, off
.LBB159_790:
	s_mov_b32 s44, 0
	s_mov_b32 s43, -1
.LBB159_791:
	s_and_not1_b32 vcc_lo, exec_lo, s44
	s_cbranch_vccnz .LBB159_799
; %bb.792:
	v_cmp_lt_i16_e32 vcc_lo, 14, v4
	s_mov_b32 s44, -1
	s_cbranch_vccz .LBB159_796
; %bb.793:
	v_cmp_eq_u16_e32 vcc_lo, 15, v4
	s_mov_b32 s2, -1
	s_cbranch_vccz .LBB159_795
; %bb.794:
	v_bfe_u32 v3, v2, 16, 1
	v_cmp_o_f32_e32 vcc_lo, v2, v2
	s_mov_b32 s43, -1
	s_mov_b32 s2, 0
	s_delay_alu instid0(VALU_DEP_2) | instskip(NEXT) | instid1(VALU_DEP_1)
	v_add3_u32 v3, v2, v3, 0x7fff
	v_lshrrev_b32_e32 v3, 16, v3
	s_delay_alu instid0(VALU_DEP_1)
	v_cndmask_b32_e32 v3, 0x7fc0, v3, vcc_lo
	global_store_b16 v[0:1], v3, off
.LBB159_795:
	s_mov_b32 s44, 0
.LBB159_796:
	s_delay_alu instid0(SALU_CYCLE_1)
	s_and_b32 vcc_lo, exec_lo, s44
	s_cbranch_vccz .LBB159_799
; %bb.797:
	v_cmp_eq_u16_e32 vcc_lo, 11, v4
	s_mov_b32 s2, -1
	s_cbranch_vccz .LBB159_799
; %bb.798:
	v_cmp_neq_f32_e32 vcc_lo, 0, v2
	s_mov_b32 s2, 0
	s_mov_b32 s43, -1
	v_cndmask_b32_e64 v3, 0, 1, vcc_lo
	global_store_b8 v[0:1], v3, off
.LBB159_799:
.LBB159_800:
	s_and_not1_b32 vcc_lo, exec_lo, s43
	s_cbranch_vccnz .LBB159_700
.LBB159_801:
	v_add_nc_u32_e32 v7, 0x80, v7
	s_mov_b32 s46, -1
	s_branch .LBB159_702
.LBB159_802:
	s_mov_b32 s3, -1
.LBB159_803:
                                        ; implicit-def: $vgpr5
.LBB159_804:
	s_and_b32 vcc_lo, exec_lo, s47
	s_cbranch_vccz .LBB159_810
; %bb.805:
	v_cmp_eq_u16_e32 vcc_lo, 44, v4
	s_cbranch_vccz .LBB159_809
; %bb.806:
	global_load_u8 v5, v[2:3], off
	s_mov_b32 s3, 0
	s_mov_b32 s2, -1
	s_waitcnt vmcnt(0)
	v_lshlrev_b32_e32 v6, 23, v5
	v_cmp_ne_u32_e32 vcc_lo, 0xff, v5
	s_delay_alu instid0(VALU_DEP_2) | instskip(SKIP_1) | instid1(VALU_DEP_2)
	v_cndmask_b32_e32 v6, 0x7f800001, v6, vcc_lo
	v_cmp_ne_u32_e32 vcc_lo, 0, v5
	v_cndmask_b32_e32 v5, 0x400000, v6, vcc_lo
	s_branch .LBB159_810
.LBB159_807:
	s_or_saveexec_b32 s46, s46
                                        ; implicit-def: $sgpr47
	s_delay_alu instid0(SALU_CYCLE_1)
	s_xor_b32 exec_lo, exec_lo, s46
	s_cbranch_execz .LBB159_752
.LBB159_808:
	v_add_f32_e64 v3, 0x46000000, |v2|
	s_and_not1_b32 s44, s44, exec_lo
	s_mov_b32 s47, 0
	s_delay_alu instid0(VALU_DEP_1) | instskip(NEXT) | instid1(VALU_DEP_1)
	v_and_b32_e32 v3, 0xff, v3
	v_cmp_ne_u32_e32 vcc_lo, 0, v3
	s_and_b32 s48, vcc_lo, exec_lo
	s_delay_alu instid0(SALU_CYCLE_1)
	s_or_b32 s44, s44, s48
	s_or_b32 exec_lo, exec_lo, s46
	v_mov_b32_e32 v5, s47
	s_and_saveexec_b32 s46, s44
	s_cbranch_execnz .LBB159_753
	s_branch .LBB159_754
.LBB159_809:
	s_mov_b32 s3, -1
                                        ; implicit-def: $vgpr5
.LBB159_810:
	s_mov_b32 s47, 0
.LBB159_811:
	s_delay_alu instid0(SALU_CYCLE_1)
	s_and_b32 vcc_lo, exec_lo, s47
	s_cbranch_vccz .LBB159_815
; %bb.812:
	v_cmp_eq_u16_e32 vcc_lo, 29, v4
	s_cbranch_vccz .LBB159_814
; %bb.813:
	global_load_b64 v[5:6], v[2:3], off
	s_mov_b32 s2, -1
	s_mov_b32 s3, 0
	s_mov_b32 s47, 0
	s_waitcnt vmcnt(0)
	v_clz_i32_u32_e32 v8, v6
	s_delay_alu instid0(VALU_DEP_1) | instskip(NEXT) | instid1(VALU_DEP_1)
	v_min_u32_e32 v8, 32, v8
	v_lshlrev_b64 v[5:6], v8, v[5:6]
	s_delay_alu instid0(VALU_DEP_1) | instskip(NEXT) | instid1(VALU_DEP_1)
	v_min_u32_e32 v5, 1, v5
	v_or_b32_e32 v5, v6, v5
	v_sub_nc_u32_e32 v6, 32, v8
	s_delay_alu instid0(VALU_DEP_2) | instskip(NEXT) | instid1(VALU_DEP_1)
	v_cvt_f32_u32_e32 v5, v5
	v_ldexp_f32 v5, v5, v6
	s_branch .LBB159_816
.LBB159_814:
	s_mov_b32 s3, -1
                                        ; implicit-def: $vgpr5
.LBB159_815:
	s_mov_b32 s47, 0
.LBB159_816:
	s_delay_alu instid0(SALU_CYCLE_1)
	s_and_b32 vcc_lo, exec_lo, s47
	s_cbranch_vccz .LBB159_834
; %bb.817:
	v_cmp_gt_i16_e32 vcc_lo, 27, v4
	s_cbranch_vccnz .LBB159_820
; %bb.818:
	v_cmp_lt_i16_e32 vcc_lo, 27, v4
	s_cbranch_vccz .LBB159_821
; %bb.819:
	global_load_b32 v5, v[2:3], off
	s_mov_b32 s2, 0
	s_waitcnt vmcnt(0)
	v_cvt_f32_u32_e32 v5, v5
	s_branch .LBB159_822
.LBB159_820:
	s_mov_b32 s2, -1
                                        ; implicit-def: $vgpr5
	s_branch .LBB159_825
.LBB159_821:
	s_mov_b32 s2, -1
                                        ; implicit-def: $vgpr5
.LBB159_822:
	s_delay_alu instid0(SALU_CYCLE_1)
	s_and_not1_b32 vcc_lo, exec_lo, s2
	s_cbranch_vccnz .LBB159_824
; %bb.823:
	global_load_u16 v5, v[2:3], off
	s_waitcnt vmcnt(0)
	v_cvt_f32_u32_e32 v5, v5
.LBB159_824:
	s_mov_b32 s2, 0
.LBB159_825:
	s_delay_alu instid0(SALU_CYCLE_1)
	s_and_not1_b32 vcc_lo, exec_lo, s2
	s_cbranch_vccnz .LBB159_833
; %bb.826:
	global_load_u8 v6, v[2:3], off
	s_mov_b32 s2, 0
	s_mov_b32 s48, exec_lo
                                        ; implicit-def: $sgpr47
	s_waitcnt vmcnt(0)
	v_cmpx_lt_i16_e32 0x7f, v6
	s_xor_b32 s48, exec_lo, s48
	s_cbranch_execz .LBB159_847
; %bb.827:
	s_mov_b32 s2, -1
	s_mov_b32 s49, exec_lo
                                        ; implicit-def: $sgpr47
	v_cmpx_eq_u16_e32 0x80, v6
; %bb.828:
	s_mov_b32 s47, 0x7f800001
	s_xor_b32 s2, exec_lo, -1
; %bb.829:
	s_or_b32 exec_lo, exec_lo, s49
	s_delay_alu instid0(SALU_CYCLE_1)
	s_and_b32 s2, s2, exec_lo
	s_or_saveexec_b32 s48, s48
	v_mov_b32_e32 v5, s47
	s_xor_b32 exec_lo, exec_lo, s48
	s_cbranch_execnz .LBB159_848
.LBB159_830:
	s_or_b32 exec_lo, exec_lo, s48
	s_and_saveexec_b32 s47, s2
	s_cbranch_execz .LBB159_832
.LBB159_831:
	v_and_b32_e32 v5, 0xffff, v6
	v_lshlrev_b32_e32 v6, 24, v6
	s_delay_alu instid0(VALU_DEP_2) | instskip(NEXT) | instid1(VALU_DEP_2)
	v_and_b32_e32 v8, 7, v5
	v_and_b32_e32 v6, 0x80000000, v6
	s_delay_alu instid0(VALU_DEP_2) | instskip(NEXT) | instid1(VALU_DEP_1)
	v_clz_i32_u32_e32 v9, v8
	v_min_u32_e32 v9, 32, v9
	s_delay_alu instid0(VALU_DEP_1) | instskip(SKIP_1) | instid1(VALU_DEP_2)
	v_subrev_nc_u32_e32 v10, 28, v9
	v_sub_nc_u32_e32 v9, 29, v9
	v_lshlrev_b32_e32 v10, v10, v5
	v_bfe_u32 v5, v5, 3, 4
	s_delay_alu instid0(VALU_DEP_1) | instskip(NEXT) | instid1(VALU_DEP_3)
	v_cmp_eq_u32_e32 vcc_lo, 0, v5
	v_dual_cndmask_b32 v5, v5, v9 :: v_dual_and_b32 v10, 7, v10
	s_delay_alu instid0(VALU_DEP_1) | instskip(NEXT) | instid1(VALU_DEP_2)
	v_cndmask_b32_e32 v8, v8, v10, vcc_lo
	v_lshl_add_u32 v5, v5, 23, 0x3b800000
	s_delay_alu instid0(VALU_DEP_2) | instskip(NEXT) | instid1(VALU_DEP_1)
	v_lshlrev_b32_e32 v8, 20, v8
	v_or3_b32 v5, v6, v5, v8
.LBB159_832:
	s_or_b32 exec_lo, exec_lo, s47
.LBB159_833:
	s_mov_b32 s2, -1
.LBB159_834:
	s_mov_b32 s47, 0
.LBB159_835:
	s_delay_alu instid0(SALU_CYCLE_1)
	s_and_b32 vcc_lo, exec_lo, s47
	s_cbranch_vccz .LBB159_870
; %bb.836:
	v_cmp_lt_i16_e32 vcc_lo, 22, v4
	s_cbranch_vccz .LBB159_846
; %bb.837:
	v_cmp_gt_i16_e32 vcc_lo, 24, v4
	s_cbranch_vccnz .LBB159_849
; %bb.838:
	v_cmp_lt_i16_e32 vcc_lo, 24, v4
	s_cbranch_vccz .LBB159_850
; %bb.839:
	global_load_u8 v6, v[2:3], off
	s_mov_b32 s2, 0
	s_mov_b32 s48, exec_lo
                                        ; implicit-def: $sgpr47
	s_waitcnt vmcnt(0)
	v_cmpx_lt_i16_e32 0x7f, v6
	s_xor_b32 s48, exec_lo, s48
	s_cbranch_execz .LBB159_862
; %bb.840:
	s_mov_b32 s2, -1
	s_mov_b32 s49, exec_lo
                                        ; implicit-def: $sgpr47
	v_cmpx_eq_u16_e32 0x80, v6
; %bb.841:
	s_mov_b32 s47, 0x7f800001
	s_xor_b32 s2, exec_lo, -1
; %bb.842:
	s_or_b32 exec_lo, exec_lo, s49
	s_delay_alu instid0(SALU_CYCLE_1)
	s_and_b32 s2, s2, exec_lo
	s_or_saveexec_b32 s48, s48
	v_mov_b32_e32 v5, s47
	s_xor_b32 exec_lo, exec_lo, s48
	s_cbranch_execnz .LBB159_863
.LBB159_843:
	s_or_b32 exec_lo, exec_lo, s48
	s_and_saveexec_b32 s47, s2
	s_cbranch_execz .LBB159_845
.LBB159_844:
	v_and_b32_e32 v5, 0xffff, v6
	v_lshlrev_b32_e32 v6, 24, v6
	s_delay_alu instid0(VALU_DEP_2) | instskip(NEXT) | instid1(VALU_DEP_2)
	v_and_b32_e32 v8, 3, v5
	v_and_b32_e32 v6, 0x80000000, v6
	s_delay_alu instid0(VALU_DEP_2) | instskip(NEXT) | instid1(VALU_DEP_1)
	v_clz_i32_u32_e32 v9, v8
	v_min_u32_e32 v9, 32, v9
	s_delay_alu instid0(VALU_DEP_1) | instskip(SKIP_1) | instid1(VALU_DEP_2)
	v_subrev_nc_u32_e32 v10, 29, v9
	v_sub_nc_u32_e32 v9, 30, v9
	v_lshlrev_b32_e32 v10, v10, v5
	v_bfe_u32 v5, v5, 2, 5
	s_delay_alu instid0(VALU_DEP_1) | instskip(NEXT) | instid1(VALU_DEP_3)
	v_cmp_eq_u32_e32 vcc_lo, 0, v5
	v_dual_cndmask_b32 v5, v5, v9 :: v_dual_and_b32 v10, 3, v10
	s_delay_alu instid0(VALU_DEP_1) | instskip(NEXT) | instid1(VALU_DEP_2)
	v_cndmask_b32_e32 v8, v8, v10, vcc_lo
	v_lshl_add_u32 v5, v5, 23, 0x37800000
	s_delay_alu instid0(VALU_DEP_2) | instskip(NEXT) | instid1(VALU_DEP_1)
	v_lshlrev_b32_e32 v8, 21, v8
	v_or3_b32 v5, v6, v5, v8
.LBB159_845:
	s_or_b32 exec_lo, exec_lo, s47
	s_mov_b32 s2, 0
	s_branch .LBB159_851
.LBB159_846:
	s_mov_b32 s47, -1
                                        ; implicit-def: $vgpr5
	s_branch .LBB159_857
.LBB159_847:
	s_or_saveexec_b32 s48, s48
	v_mov_b32_e32 v5, s47
	s_xor_b32 exec_lo, exec_lo, s48
	s_cbranch_execz .LBB159_830
.LBB159_848:
	v_cmp_ne_u16_e32 vcc_lo, 0, v6
	v_mov_b32_e32 v5, 0
	s_and_not1_b32 s2, s2, exec_lo
	s_and_b32 s47, vcc_lo, exec_lo
	s_delay_alu instid0(SALU_CYCLE_1)
	s_or_b32 s2, s2, s47
	s_or_b32 exec_lo, exec_lo, s48
	s_and_saveexec_b32 s47, s2
	s_cbranch_execnz .LBB159_831
	s_branch .LBB159_832
.LBB159_849:
	s_mov_b32 s2, -1
                                        ; implicit-def: $vgpr5
	s_branch .LBB159_854
.LBB159_850:
	s_mov_b32 s2, -1
                                        ; implicit-def: $vgpr5
.LBB159_851:
	s_delay_alu instid0(SALU_CYCLE_1)
	s_and_b32 vcc_lo, exec_lo, s2
	s_cbranch_vccz .LBB159_853
; %bb.852:
	global_load_u8 v5, v[2:3], off
	s_waitcnt vmcnt(0)
	v_lshlrev_b32_e32 v5, 24, v5
	s_delay_alu instid0(VALU_DEP_1) | instskip(NEXT) | instid1(VALU_DEP_1)
	v_and_b32_e32 v6, 0x7f000000, v5
	v_clz_i32_u32_e32 v8, v6
	v_add_nc_u32_e32 v10, 0x1000000, v6
	v_cmp_ne_u32_e32 vcc_lo, 0, v6
	s_delay_alu instid0(VALU_DEP_3) | instskip(NEXT) | instid1(VALU_DEP_1)
	v_min_u32_e32 v8, 32, v8
	v_sub_nc_u32_e64 v8, v8, 4 clamp
	s_delay_alu instid0(VALU_DEP_1) | instskip(SKIP_1) | instid1(VALU_DEP_2)
	v_lshlrev_b32_e32 v9, v8, v6
	v_lshlrev_b32_e32 v8, 23, v8
	v_lshrrev_b32_e32 v9, 4, v9
	s_delay_alu instid0(VALU_DEP_1) | instskip(SKIP_1) | instid1(VALU_DEP_2)
	v_sub_nc_u32_e32 v8, v9, v8
	v_ashrrev_i32_e32 v9, 8, v10
	v_add_nc_u32_e32 v8, 0x3c000000, v8
	s_delay_alu instid0(VALU_DEP_1) | instskip(NEXT) | instid1(VALU_DEP_1)
	v_and_or_b32 v8, 0x7f800000, v9, v8
	v_cndmask_b32_e32 v6, 0, v8, vcc_lo
	s_delay_alu instid0(VALU_DEP_1)
	v_and_or_b32 v5, 0x80000000, v5, v6
.LBB159_853:
	s_mov_b32 s2, 0
.LBB159_854:
	s_delay_alu instid0(SALU_CYCLE_1)
	s_and_not1_b32 vcc_lo, exec_lo, s2
	s_cbranch_vccnz .LBB159_856
; %bb.855:
	global_load_u8 v5, v[2:3], off
	s_waitcnt vmcnt(0)
	v_lshlrev_b32_e32 v6, 25, v5
	v_lshlrev_b16 v5, 8, v5
	s_delay_alu instid0(VALU_DEP_2) | instskip(NEXT) | instid1(VALU_DEP_2)
	v_lshrrev_b32_e32 v8, 4, v6
	v_and_or_b32 v9, 0x7f00, v5, 0.5
	v_cmp_gt_u32_e32 vcc_lo, 0x8000000, v6
	v_bfe_i32 v5, v5, 0, 16
	s_delay_alu instid0(VALU_DEP_4) | instskip(NEXT) | instid1(VALU_DEP_1)
	v_or_b32_e32 v8, 0x70000000, v8
	v_dual_add_f32 v9, -0.5, v9 :: v_dual_mul_f32 v8, 0x7800000, v8
	s_delay_alu instid0(VALU_DEP_1) | instskip(NEXT) | instid1(VALU_DEP_1)
	v_cndmask_b32_e32 v6, v8, v9, vcc_lo
	v_and_or_b32 v5, 0x80000000, v5, v6
.LBB159_856:
	s_mov_b32 s47, 0
	s_mov_b32 s2, -1
.LBB159_857:
	s_and_not1_b32 vcc_lo, exec_lo, s47
	s_cbranch_vccnz .LBB159_870
; %bb.858:
	v_cmp_lt_i16_e32 vcc_lo, 14, v4
	s_cbranch_vccz .LBB159_861
; %bb.859:
	v_cmp_eq_u16_e32 vcc_lo, 15, v4
	s_cbranch_vccz .LBB159_864
; %bb.860:
	global_load_u16 v5, v[2:3], off
	s_mov_b32 s2, -1
	s_mov_b32 s3, 0
	s_waitcnt vmcnt(0)
	v_lshlrev_b32_e32 v5, 16, v5
	s_branch .LBB159_865
.LBB159_861:
	s_mov_b32 s47, -1
                                        ; implicit-def: $vgpr5
	s_branch .LBB159_866
.LBB159_862:
	s_or_saveexec_b32 s48, s48
	v_mov_b32_e32 v5, s47
	s_xor_b32 exec_lo, exec_lo, s48
	s_cbranch_execz .LBB159_843
.LBB159_863:
	v_cmp_ne_u16_e32 vcc_lo, 0, v6
	v_mov_b32_e32 v5, 0
	s_and_not1_b32 s2, s2, exec_lo
	s_and_b32 s47, vcc_lo, exec_lo
	s_delay_alu instid0(SALU_CYCLE_1)
	s_or_b32 s2, s2, s47
	s_or_b32 exec_lo, exec_lo, s48
	s_and_saveexec_b32 s47, s2
	s_cbranch_execnz .LBB159_844
	s_branch .LBB159_845
.LBB159_864:
	s_mov_b32 s3, -1
                                        ; implicit-def: $vgpr5
.LBB159_865:
	s_mov_b32 s47, 0
.LBB159_866:
	s_delay_alu instid0(SALU_CYCLE_1)
	s_and_b32 vcc_lo, exec_lo, s47
	s_cbranch_vccz .LBB159_870
; %bb.867:
	v_cmp_eq_u16_e32 vcc_lo, 11, v4
	s_cbranch_vccz .LBB159_869
; %bb.868:
	global_load_u8 v5, v[2:3], off
	s_mov_b32 s3, 0
	s_mov_b32 s2, -1
	s_waitcnt vmcnt(0)
	v_cmp_ne_u16_e32 vcc_lo, 0, v5
	v_cndmask_b32_e64 v5, 0, 1.0, vcc_lo
	s_branch .LBB159_870
.LBB159_869:
	s_mov_b32 s3, -1
                                        ; implicit-def: $vgpr5
.LBB159_870:
	s_mov_b32 s47, 0
.LBB159_871:
	s_delay_alu instid0(SALU_CYCLE_1)
	s_and_b32 vcc_lo, exec_lo, s47
	s_cbranch_vccz .LBB159_920
; %bb.872:
	v_cmp_gt_i16_e32 vcc_lo, 5, v4
	s_cbranch_vccnz .LBB159_877
; %bb.873:
	v_cmp_gt_i16_e32 vcc_lo, 8, v4
	s_cbranch_vccnz .LBB159_878
	;; [unrolled: 3-line block ×3, first 2 shown]
; %bb.875:
	v_cmp_lt_i16_e32 vcc_lo, 9, v4
	s_cbranch_vccz .LBB159_880
; %bb.876:
	global_load_b64 v[5:6], v[2:3], off
	s_mov_b32 s2, 0
	s_waitcnt vmcnt(0)
	v_cvt_f32_f64_e32 v5, v[5:6]
	s_branch .LBB159_881
.LBB159_877:
	s_mov_b32 s2, -1
                                        ; implicit-def: $vgpr5
	s_branch .LBB159_899
.LBB159_878:
	s_mov_b32 s2, -1
                                        ; implicit-def: $vgpr5
	s_branch .LBB159_887
.LBB159_879:
	s_mov_b32 s2, -1
                                        ; implicit-def: $vgpr5
	s_branch .LBB159_884
.LBB159_880:
	s_mov_b32 s2, -1
                                        ; implicit-def: $vgpr5
.LBB159_881:
	s_delay_alu instid0(SALU_CYCLE_1)
	s_and_not1_b32 vcc_lo, exec_lo, s2
	s_cbranch_vccnz .LBB159_883
; %bb.882:
	global_load_b32 v5, v[2:3], off
.LBB159_883:
	s_mov_b32 s2, 0
.LBB159_884:
	s_delay_alu instid0(SALU_CYCLE_1)
	s_and_not1_b32 vcc_lo, exec_lo, s2
	s_cbranch_vccnz .LBB159_886
; %bb.885:
	global_load_b32 v5, v[2:3], off
	s_waitcnt vmcnt(0)
	v_cvt_f32_f16_e32 v5, v5
.LBB159_886:
	s_mov_b32 s2, 0
.LBB159_887:
	s_delay_alu instid0(SALU_CYCLE_1)
	s_and_not1_b32 vcc_lo, exec_lo, s2
	s_cbranch_vccnz .LBB159_898
; %bb.888:
	v_cmp_gt_i16_e32 vcc_lo, 6, v4
	s_cbranch_vccnz .LBB159_891
; %bb.889:
	v_cmp_lt_i16_e32 vcc_lo, 6, v4
	s_cbranch_vccz .LBB159_892
; %bb.890:
	global_load_b64 v[5:6], v[2:3], off
	s_mov_b32 s2, 0
	s_waitcnt vmcnt(0)
	v_cvt_f32_f64_e32 v5, v[5:6]
	s_branch .LBB159_893
.LBB159_891:
	s_mov_b32 s2, -1
                                        ; implicit-def: $vgpr5
	s_branch .LBB159_896
.LBB159_892:
	s_mov_b32 s2, -1
                                        ; implicit-def: $vgpr5
.LBB159_893:
	s_delay_alu instid0(SALU_CYCLE_1)
	s_and_not1_b32 vcc_lo, exec_lo, s2
	s_cbranch_vccnz .LBB159_895
; %bb.894:
	global_load_b32 v5, v[2:3], off
.LBB159_895:
	s_mov_b32 s2, 0
.LBB159_896:
	s_delay_alu instid0(SALU_CYCLE_1)
	s_and_not1_b32 vcc_lo, exec_lo, s2
	s_cbranch_vccnz .LBB159_898
; %bb.897:
	global_load_u16 v5, v[2:3], off
	s_waitcnt vmcnt(0)
	v_cvt_f32_f16_e32 v5, v5
.LBB159_898:
	s_mov_b32 s2, 0
.LBB159_899:
	s_delay_alu instid0(SALU_CYCLE_1)
	s_and_not1_b32 vcc_lo, exec_lo, s2
	s_cbranch_vccnz .LBB159_919
; %bb.900:
	v_cmp_gt_i16_e32 vcc_lo, 2, v4
	s_cbranch_vccnz .LBB159_904
; %bb.901:
	v_cmp_gt_i16_e32 vcc_lo, 3, v4
	s_cbranch_vccnz .LBB159_905
; %bb.902:
	v_cmp_lt_i16_e32 vcc_lo, 3, v4
	s_cbranch_vccz .LBB159_906
; %bb.903:
	global_load_b64 v[5:6], v[2:3], off
	s_mov_b32 s2, 0
	s_waitcnt vmcnt(0)
	v_xor_b32_e32 v8, v5, v6
	v_cls_i32_e32 v9, v6
	s_delay_alu instid0(VALU_DEP_2) | instskip(NEXT) | instid1(VALU_DEP_2)
	v_ashrrev_i32_e32 v8, 31, v8
	v_add_nc_u32_e32 v9, -1, v9
	s_delay_alu instid0(VALU_DEP_2) | instskip(NEXT) | instid1(VALU_DEP_1)
	v_add_nc_u32_e32 v8, 32, v8
	v_min_u32_e32 v8, v9, v8
	s_delay_alu instid0(VALU_DEP_1) | instskip(NEXT) | instid1(VALU_DEP_1)
	v_lshlrev_b64 v[5:6], v8, v[5:6]
	v_min_u32_e32 v5, 1, v5
	s_delay_alu instid0(VALU_DEP_1) | instskip(SKIP_1) | instid1(VALU_DEP_2)
	v_or_b32_e32 v5, v6, v5
	v_sub_nc_u32_e32 v6, 32, v8
	v_cvt_f32_i32_e32 v5, v5
	s_delay_alu instid0(VALU_DEP_1)
	v_ldexp_f32 v5, v5, v6
	s_branch .LBB159_907
.LBB159_904:
	s_mov_b32 s2, -1
                                        ; implicit-def: $vgpr5
	s_branch .LBB159_913
.LBB159_905:
	s_mov_b32 s2, -1
                                        ; implicit-def: $vgpr5
	s_branch .LBB159_910
.LBB159_906:
	s_mov_b32 s2, -1
                                        ; implicit-def: $vgpr5
.LBB159_907:
	s_delay_alu instid0(SALU_CYCLE_1)
	s_and_not1_b32 vcc_lo, exec_lo, s2
	s_cbranch_vccnz .LBB159_909
; %bb.908:
	global_load_b32 v5, v[2:3], off
	s_waitcnt vmcnt(0)
	v_cvt_f32_i32_e32 v5, v5
.LBB159_909:
	s_mov_b32 s2, 0
.LBB159_910:
	s_delay_alu instid0(SALU_CYCLE_1)
	s_and_not1_b32 vcc_lo, exec_lo, s2
	s_cbranch_vccnz .LBB159_912
; %bb.911:
	global_load_i16 v5, v[2:3], off
	s_waitcnt vmcnt(0)
	v_cvt_f32_i32_e32 v5, v5
.LBB159_912:
	s_mov_b32 s2, 0
.LBB159_913:
	s_delay_alu instid0(SALU_CYCLE_1)
	s_and_not1_b32 vcc_lo, exec_lo, s2
	s_cbranch_vccnz .LBB159_919
; %bb.914:
	v_cmp_lt_i16_e32 vcc_lo, 0, v4
	s_mov_b32 s2, 0
	s_cbranch_vccz .LBB159_916
; %bb.915:
	global_load_i8 v4, v[2:3], off
	s_waitcnt vmcnt(0)
	v_cvt_f32_i32_e32 v5, v4
	s_branch .LBB159_917
.LBB159_916:
	s_mov_b32 s2, -1
                                        ; implicit-def: $vgpr5
.LBB159_917:
	s_delay_alu instid0(SALU_CYCLE_1)
	s_and_not1_b32 vcc_lo, exec_lo, s2
	s_cbranch_vccnz .LBB159_919
; %bb.918:
	global_load_u8 v2, v[2:3], off
	s_waitcnt vmcnt(0)
	v_cvt_f32_ubyte0_e32 v5, v2
.LBB159_919:
	s_mov_b32 s2, -1
.LBB159_920:
	s_delay_alu instid0(SALU_CYCLE_1)
	s_and_not1_b32 vcc_lo, exec_lo, s2
	s_cbranch_vccnz .LBB159_928
; %bb.921:
	v_and_b32_e64 v6, 0xff, s31
	v_add_co_u32 v1, s2, s8, v1
	s_delay_alu instid0(VALU_DEP_1) | instskip(NEXT) | instid1(VALU_DEP_3)
	v_add_co_ci_u32_e64 v2, null, s9, 0, s2
	v_cmp_gt_i16_e32 vcc_lo, 11, v6
	s_mov_b32 s2, 0
	s_cbranch_vccnz .LBB159_929
; %bb.922:
	v_cmp_lt_i16_e32 vcc_lo, 25, v6
	s_cbranch_vccz .LBB159_930
; %bb.923:
	v_cmp_lt_i16_e32 vcc_lo, 28, v6
	s_cbranch_vccz .LBB159_931
; %bb.924:
	v_cmp_lt_i16_e32 vcc_lo, 43, v6
	s_cbranch_vccz .LBB159_932
; %bb.925:
	v_cmp_lt_i16_e32 vcc_lo, 45, v6
	s_cbranch_vccz .LBB159_933
; %bb.926:
	v_cmp_eq_u16_e32 vcc_lo, 46, v6
	s_mov_b32 s48, 0
	s_cbranch_vccz .LBB159_936
; %bb.927:
	global_load_b32 v3, v[1:2], off
	s_mov_b32 s2, -1
	s_mov_b32 s47, 0
	s_waitcnt vmcnt(0)
	v_lshlrev_b32_e32 v3, 16, v3
	s_delay_alu instid0(VALU_DEP_1) | instskip(NEXT) | instid1(VALU_DEP_1)
	v_trunc_f32_e32 v3, v3
	v_mul_f32_e64 v4, 0x2f800000, |v3|
	s_delay_alu instid0(VALU_DEP_1) | instskip(NEXT) | instid1(VALU_DEP_1)
	v_floor_f32_e32 v4, v4
	v_fma_f32 v4, 0xcf800000, v4, |v3|
	v_ashrrev_i32_e32 v3, 31, v3
	s_delay_alu instid0(VALU_DEP_2) | instskip(NEXT) | instid1(VALU_DEP_1)
	v_cvt_u32_f32_e32 v4, v4
	v_xor_b32_e32 v4, v4, v3
	s_delay_alu instid0(VALU_DEP_1)
	v_sub_nc_u32_e32 v3, v4, v3
	s_branch .LBB159_938
.LBB159_928:
	s_mov_b32 s50, 0
	s_mov_b32 s2, s43
	;; [unrolled: 1-line block ×3, first 2 shown]
	s_branch .LBB159_1097
.LBB159_929:
	s_mov_b32 s48, -1
	s_mov_b32 s47, s44
                                        ; implicit-def: $vgpr3
	s_branch .LBB159_999
.LBB159_930:
	s_mov_b32 s48, -1
	s_mov_b32 s47, s44
                                        ; implicit-def: $vgpr3
	s_branch .LBB159_965
.LBB159_931:
	s_mov_b32 s48, -1
	s_mov_b32 s47, s44
                                        ; implicit-def: $vgpr3
	s_branch .LBB159_948
.LBB159_932:
	s_mov_b32 s48, -1
	s_mov_b32 s47, s44
                                        ; implicit-def: $vgpr3
	s_branch .LBB159_943
.LBB159_933:
	s_mov_b32 s48, -1
	s_mov_b32 s47, s44
	s_branch .LBB159_937
.LBB159_934:
	s_or_saveexec_b32 s46, s46
                                        ; implicit-def: $sgpr47
	s_delay_alu instid0(SALU_CYCLE_1)
	s_xor_b32 exec_lo, exec_lo, s46
	s_cbranch_execz .LBB159_765
.LBB159_935:
	v_add_f32_e64 v3, 0x42800000, |v2|
	s_and_not1_b32 s44, s44, exec_lo
	s_mov_b32 s47, 0
	s_delay_alu instid0(VALU_DEP_1) | instskip(NEXT) | instid1(VALU_DEP_1)
	v_and_b32_e32 v3, 0xff, v3
	v_cmp_ne_u32_e32 vcc_lo, 0, v3
	s_and_b32 s48, vcc_lo, exec_lo
	s_delay_alu instid0(SALU_CYCLE_1)
	s_or_b32 s44, s44, s48
	s_or_b32 exec_lo, exec_lo, s46
	v_mov_b32_e32 v5, s47
	s_and_saveexec_b32 s46, s44
	s_cbranch_execnz .LBB159_766
	s_branch .LBB159_767
.LBB159_936:
	s_mov_b32 s47, -1
.LBB159_937:
                                        ; implicit-def: $vgpr3
.LBB159_938:
	s_and_b32 vcc_lo, exec_lo, s48
	s_cbranch_vccz .LBB159_942
; %bb.939:
	v_cmp_eq_u16_e32 vcc_lo, 44, v6
	s_cbranch_vccz .LBB159_941
; %bb.940:
	global_load_u8 v3, v[1:2], off
	s_mov_b32 s47, 0
	s_mov_b32 s2, -1
	s_waitcnt vmcnt(0)
	v_lshlrev_b32_e32 v4, 23, v3
	v_cmp_ne_u32_e32 vcc_lo, 0, v3
	s_delay_alu instid0(VALU_DEP_2) | instskip(NEXT) | instid1(VALU_DEP_1)
	v_trunc_f32_e32 v4, v4
	v_mul_f32_e64 v8, 0x2f800000, |v4|
	s_delay_alu instid0(VALU_DEP_1) | instskip(NEXT) | instid1(VALU_DEP_1)
	v_floor_f32_e32 v8, v8
	v_fma_f32 v8, 0xcf800000, v8, |v4|
	v_ashrrev_i32_e32 v4, 31, v4
	s_delay_alu instid0(VALU_DEP_2) | instskip(NEXT) | instid1(VALU_DEP_1)
	v_cvt_u32_f32_e32 v8, v8
	v_xor_b32_e32 v8, v8, v4
	s_delay_alu instid0(VALU_DEP_1) | instskip(NEXT) | instid1(VALU_DEP_1)
	v_sub_nc_u32_e32 v4, v8, v4
	v_cndmask_b32_e32 v3, 0, v4, vcc_lo
	s_branch .LBB159_942
.LBB159_941:
	s_mov_b32 s47, -1
                                        ; implicit-def: $vgpr3
.LBB159_942:
	s_mov_b32 s48, 0
.LBB159_943:
	s_delay_alu instid0(SALU_CYCLE_1)
	s_and_b32 vcc_lo, exec_lo, s48
	s_cbranch_vccz .LBB159_947
; %bb.944:
	v_cmp_eq_u16_e32 vcc_lo, 29, v6
	s_cbranch_vccz .LBB159_946
; %bb.945:
	global_load_b64 v[3:4], v[1:2], off
	s_mov_b32 s2, -1
	s_mov_b32 s47, 0
	s_branch .LBB159_947
.LBB159_946:
	s_mov_b32 s47, -1
                                        ; implicit-def: $vgpr3
.LBB159_947:
	s_mov_b32 s48, 0
.LBB159_948:
	s_delay_alu instid0(SALU_CYCLE_1)
	s_and_b32 vcc_lo, exec_lo, s48
	s_cbranch_vccz .LBB159_964
; %bb.949:
	v_cmp_gt_i16_e32 vcc_lo, 27, v6
	s_cbranch_vccnz .LBB159_952
; %bb.950:
	v_cmp_lt_i16_e32 vcc_lo, 27, v6
	s_cbranch_vccz .LBB159_953
; %bb.951:
	global_load_b32 v3, v[1:2], off
	s_mov_b32 s2, 0
	s_branch .LBB159_954
.LBB159_952:
	s_mov_b32 s2, -1
                                        ; implicit-def: $vgpr3
	s_branch .LBB159_957
.LBB159_953:
	s_mov_b32 s2, -1
                                        ; implicit-def: $vgpr3
.LBB159_954:
	s_delay_alu instid0(SALU_CYCLE_1)
	s_and_not1_b32 vcc_lo, exec_lo, s2
	s_cbranch_vccnz .LBB159_956
; %bb.955:
	global_load_u16 v3, v[1:2], off
.LBB159_956:
	s_mov_b32 s2, 0
.LBB159_957:
	s_delay_alu instid0(SALU_CYCLE_1)
	s_and_not1_b32 vcc_lo, exec_lo, s2
	s_cbranch_vccnz .LBB159_963
; %bb.958:
	global_load_u8 v4, v[1:2], off
	s_mov_b32 s48, 0
	s_mov_b32 s2, exec_lo
                                        ; implicit-def: $sgpr49
	s_waitcnt vmcnt(0)
	v_cmpx_lt_i16_e32 0x7f, v4
	s_xor_b32 s2, exec_lo, s2
	s_cbranch_execz .LBB159_975
; %bb.959:
	v_cmp_ne_u16_e32 vcc_lo, 0x80, v4
	s_mov_b32 s49, 0
	s_and_b32 s48, vcc_lo, exec_lo
	s_or_saveexec_b32 s2, s2
	v_mov_b32_e32 v3, s49
	s_xor_b32 exec_lo, exec_lo, s2
	s_cbranch_execnz .LBB159_976
.LBB159_960:
	s_or_b32 exec_lo, exec_lo, s2
	s_and_saveexec_b32 s2, s48
	s_cbranch_execz .LBB159_962
.LBB159_961:
	v_and_b32_e32 v3, 0xffff, v4
	v_lshlrev_b32_e32 v4, 24, v4
	s_delay_alu instid0(VALU_DEP_2) | instskip(NEXT) | instid1(VALU_DEP_2)
	v_and_b32_e32 v8, 7, v3
	v_and_b32_e32 v4, 0x80000000, v4
	s_delay_alu instid0(VALU_DEP_2) | instskip(NEXT) | instid1(VALU_DEP_1)
	v_clz_i32_u32_e32 v9, v8
	v_min_u32_e32 v9, 32, v9
	s_delay_alu instid0(VALU_DEP_1) | instskip(SKIP_1) | instid1(VALU_DEP_2)
	v_subrev_nc_u32_e32 v10, 28, v9
	v_sub_nc_u32_e32 v9, 29, v9
	v_lshlrev_b32_e32 v10, v10, v3
	v_bfe_u32 v3, v3, 3, 4
	s_delay_alu instid0(VALU_DEP_2) | instskip(NEXT) | instid1(VALU_DEP_2)
	v_and_b32_e32 v10, 7, v10
	v_cmp_eq_u32_e32 vcc_lo, 0, v3
	s_delay_alu instid0(VALU_DEP_2) | instskip(NEXT) | instid1(VALU_DEP_1)
	v_dual_cndmask_b32 v3, v3, v9 :: v_dual_cndmask_b32 v8, v8, v10
	v_lshl_add_u32 v3, v3, 23, 0x3b800000
	s_delay_alu instid0(VALU_DEP_2) | instskip(NEXT) | instid1(VALU_DEP_1)
	v_lshlrev_b32_e32 v8, 20, v8
	v_or3_b32 v3, v4, v3, v8
	s_delay_alu instid0(VALU_DEP_1) | instskip(NEXT) | instid1(VALU_DEP_1)
	v_trunc_f32_e32 v3, v3
	v_mul_f32_e64 v4, 0x2f800000, |v3|
	s_delay_alu instid0(VALU_DEP_1) | instskip(NEXT) | instid1(VALU_DEP_1)
	v_floor_f32_e32 v4, v4
	v_fma_f32 v4, 0xcf800000, v4, |v3|
	v_ashrrev_i32_e32 v3, 31, v3
	s_delay_alu instid0(VALU_DEP_2) | instskip(NEXT) | instid1(VALU_DEP_1)
	v_cvt_u32_f32_e32 v4, v4
	v_xor_b32_e32 v4, v4, v3
	s_delay_alu instid0(VALU_DEP_1)
	v_sub_nc_u32_e32 v3, v4, v3
.LBB159_962:
	s_or_b32 exec_lo, exec_lo, s2
.LBB159_963:
	s_mov_b32 s2, -1
.LBB159_964:
	s_mov_b32 s48, 0
.LBB159_965:
	s_delay_alu instid0(SALU_CYCLE_1)
	s_and_b32 vcc_lo, exec_lo, s48
	s_cbranch_vccz .LBB159_998
; %bb.966:
	v_cmp_lt_i16_e32 vcc_lo, 22, v6
	s_cbranch_vccz .LBB159_974
; %bb.967:
	v_cmp_gt_i16_e32 vcc_lo, 24, v6
	s_cbranch_vccnz .LBB159_977
; %bb.968:
	v_cmp_lt_i16_e32 vcc_lo, 24, v6
	s_cbranch_vccz .LBB159_978
; %bb.969:
	global_load_u8 v4, v[1:2], off
	s_mov_b32 s48, 0
	s_mov_b32 s2, exec_lo
                                        ; implicit-def: $sgpr49
	s_waitcnt vmcnt(0)
	v_cmpx_lt_i16_e32 0x7f, v4
	s_xor_b32 s2, exec_lo, s2
	s_cbranch_execz .LBB159_990
; %bb.970:
	v_cmp_ne_u16_e32 vcc_lo, 0x80, v4
	s_mov_b32 s49, 0
	s_and_b32 s48, vcc_lo, exec_lo
	s_or_saveexec_b32 s2, s2
	v_mov_b32_e32 v3, s49
	s_xor_b32 exec_lo, exec_lo, s2
	s_cbranch_execnz .LBB159_991
.LBB159_971:
	s_or_b32 exec_lo, exec_lo, s2
	s_and_saveexec_b32 s2, s48
	s_cbranch_execz .LBB159_973
.LBB159_972:
	v_and_b32_e32 v3, 0xffff, v4
	v_lshlrev_b32_e32 v4, 24, v4
	s_delay_alu instid0(VALU_DEP_2) | instskip(NEXT) | instid1(VALU_DEP_2)
	v_and_b32_e32 v8, 3, v3
	v_and_b32_e32 v4, 0x80000000, v4
	s_delay_alu instid0(VALU_DEP_2) | instskip(NEXT) | instid1(VALU_DEP_1)
	v_clz_i32_u32_e32 v9, v8
	v_min_u32_e32 v9, 32, v9
	s_delay_alu instid0(VALU_DEP_1) | instskip(SKIP_1) | instid1(VALU_DEP_2)
	v_subrev_nc_u32_e32 v10, 29, v9
	v_sub_nc_u32_e32 v9, 30, v9
	v_lshlrev_b32_e32 v10, v10, v3
	v_bfe_u32 v3, v3, 2, 5
	s_delay_alu instid0(VALU_DEP_2) | instskip(NEXT) | instid1(VALU_DEP_2)
	v_and_b32_e32 v10, 3, v10
	v_cmp_eq_u32_e32 vcc_lo, 0, v3
	s_delay_alu instid0(VALU_DEP_2) | instskip(NEXT) | instid1(VALU_DEP_1)
	v_dual_cndmask_b32 v3, v3, v9 :: v_dual_cndmask_b32 v8, v8, v10
	v_lshl_add_u32 v3, v3, 23, 0x37800000
	s_delay_alu instid0(VALU_DEP_2) | instskip(NEXT) | instid1(VALU_DEP_1)
	v_lshlrev_b32_e32 v8, 21, v8
	v_or3_b32 v3, v4, v3, v8
	s_delay_alu instid0(VALU_DEP_1) | instskip(NEXT) | instid1(VALU_DEP_1)
	v_trunc_f32_e32 v3, v3
	v_mul_f32_e64 v4, 0x2f800000, |v3|
	s_delay_alu instid0(VALU_DEP_1) | instskip(NEXT) | instid1(VALU_DEP_1)
	v_floor_f32_e32 v4, v4
	v_fma_f32 v4, 0xcf800000, v4, |v3|
	v_ashrrev_i32_e32 v3, 31, v3
	s_delay_alu instid0(VALU_DEP_2) | instskip(NEXT) | instid1(VALU_DEP_1)
	v_cvt_u32_f32_e32 v4, v4
	v_xor_b32_e32 v4, v4, v3
	s_delay_alu instid0(VALU_DEP_1)
	v_sub_nc_u32_e32 v3, v4, v3
.LBB159_973:
	s_or_b32 exec_lo, exec_lo, s2
	s_mov_b32 s2, 0
	s_branch .LBB159_979
.LBB159_974:
	s_mov_b32 s48, -1
                                        ; implicit-def: $vgpr3
	s_branch .LBB159_985
.LBB159_975:
	s_or_saveexec_b32 s2, s2
	v_mov_b32_e32 v3, s49
	s_xor_b32 exec_lo, exec_lo, s2
	s_cbranch_execz .LBB159_960
.LBB159_976:
	v_cmp_ne_u16_e32 vcc_lo, 0, v4
	v_mov_b32_e32 v3, 0
	s_and_not1_b32 s48, s48, exec_lo
	s_and_b32 s49, vcc_lo, exec_lo
	s_delay_alu instid0(SALU_CYCLE_1)
	s_or_b32 s48, s48, s49
	s_or_b32 exec_lo, exec_lo, s2
	s_and_saveexec_b32 s2, s48
	s_cbranch_execnz .LBB159_961
	s_branch .LBB159_962
.LBB159_977:
	s_mov_b32 s2, -1
                                        ; implicit-def: $vgpr3
	s_branch .LBB159_982
.LBB159_978:
	s_mov_b32 s2, -1
                                        ; implicit-def: $vgpr3
.LBB159_979:
	s_delay_alu instid0(SALU_CYCLE_1)
	s_and_b32 vcc_lo, exec_lo, s2
	s_cbranch_vccz .LBB159_981
; %bb.980:
	global_load_u8 v3, v[1:2], off
	s_waitcnt vmcnt(0)
	v_lshlrev_b32_e32 v3, 24, v3
	s_delay_alu instid0(VALU_DEP_1) | instskip(NEXT) | instid1(VALU_DEP_1)
	v_and_b32_e32 v4, 0x7f000000, v3
	v_clz_i32_u32_e32 v8, v4
	v_add_nc_u32_e32 v10, 0x1000000, v4
	v_cmp_ne_u32_e32 vcc_lo, 0, v4
	s_delay_alu instid0(VALU_DEP_3) | instskip(NEXT) | instid1(VALU_DEP_1)
	v_min_u32_e32 v8, 32, v8
	v_sub_nc_u32_e64 v8, v8, 4 clamp
	s_delay_alu instid0(VALU_DEP_1) | instskip(SKIP_1) | instid1(VALU_DEP_2)
	v_lshlrev_b32_e32 v9, v8, v4
	v_lshlrev_b32_e32 v8, 23, v8
	v_lshrrev_b32_e32 v9, 4, v9
	s_delay_alu instid0(VALU_DEP_1) | instskip(SKIP_1) | instid1(VALU_DEP_2)
	v_sub_nc_u32_e32 v8, v9, v8
	v_ashrrev_i32_e32 v9, 8, v10
	v_add_nc_u32_e32 v8, 0x3c000000, v8
	s_delay_alu instid0(VALU_DEP_1) | instskip(NEXT) | instid1(VALU_DEP_1)
	v_and_or_b32 v8, 0x7f800000, v9, v8
	v_cndmask_b32_e32 v4, 0, v8, vcc_lo
	s_delay_alu instid0(VALU_DEP_1) | instskip(NEXT) | instid1(VALU_DEP_1)
	v_and_or_b32 v3, 0x80000000, v3, v4
	v_trunc_f32_e32 v3, v3
	s_delay_alu instid0(VALU_DEP_1) | instskip(NEXT) | instid1(VALU_DEP_1)
	v_mul_f32_e64 v4, 0x2f800000, |v3|
	v_floor_f32_e32 v4, v4
	s_delay_alu instid0(VALU_DEP_1) | instskip(SKIP_1) | instid1(VALU_DEP_2)
	v_fma_f32 v4, 0xcf800000, v4, |v3|
	v_ashrrev_i32_e32 v3, 31, v3
	v_cvt_u32_f32_e32 v4, v4
	s_delay_alu instid0(VALU_DEP_1) | instskip(NEXT) | instid1(VALU_DEP_1)
	v_xor_b32_e32 v4, v4, v3
	v_sub_nc_u32_e32 v3, v4, v3
.LBB159_981:
	s_mov_b32 s2, 0
.LBB159_982:
	s_delay_alu instid0(SALU_CYCLE_1)
	s_and_not1_b32 vcc_lo, exec_lo, s2
	s_cbranch_vccnz .LBB159_984
; %bb.983:
	global_load_u8 v3, v[1:2], off
	s_waitcnt vmcnt(0)
	v_lshlrev_b32_e32 v4, 25, v3
	v_lshlrev_b16 v3, 8, v3
	s_delay_alu instid0(VALU_DEP_1) | instskip(SKIP_1) | instid1(VALU_DEP_2)
	v_and_or_b32 v9, 0x7f00, v3, 0.5
	v_bfe_i32 v3, v3, 0, 16
	v_add_f32_e32 v9, -0.5, v9
	v_lshrrev_b32_e32 v8, 4, v4
	v_cmp_gt_u32_e32 vcc_lo, 0x8000000, v4
	s_delay_alu instid0(VALU_DEP_2) | instskip(NEXT) | instid1(VALU_DEP_1)
	v_or_b32_e32 v8, 0x70000000, v8
	v_mul_f32_e32 v8, 0x7800000, v8
	s_delay_alu instid0(VALU_DEP_1) | instskip(NEXT) | instid1(VALU_DEP_1)
	v_cndmask_b32_e32 v4, v8, v9, vcc_lo
	v_and_or_b32 v3, 0x80000000, v3, v4
	s_delay_alu instid0(VALU_DEP_1) | instskip(NEXT) | instid1(VALU_DEP_1)
	v_trunc_f32_e32 v3, v3
	v_mul_f32_e64 v4, 0x2f800000, |v3|
	s_delay_alu instid0(VALU_DEP_1) | instskip(NEXT) | instid1(VALU_DEP_1)
	v_floor_f32_e32 v4, v4
	v_fma_f32 v4, 0xcf800000, v4, |v3|
	v_ashrrev_i32_e32 v3, 31, v3
	s_delay_alu instid0(VALU_DEP_2) | instskip(NEXT) | instid1(VALU_DEP_1)
	v_cvt_u32_f32_e32 v4, v4
	v_xor_b32_e32 v4, v4, v3
	s_delay_alu instid0(VALU_DEP_1)
	v_sub_nc_u32_e32 v3, v4, v3
.LBB159_984:
	s_mov_b32 s48, 0
	s_mov_b32 s2, -1
.LBB159_985:
	s_and_not1_b32 vcc_lo, exec_lo, s48
	s_cbranch_vccnz .LBB159_998
; %bb.986:
	v_cmp_lt_i16_e32 vcc_lo, 14, v6
	s_cbranch_vccz .LBB159_989
; %bb.987:
	v_cmp_eq_u16_e32 vcc_lo, 15, v6
	s_cbranch_vccz .LBB159_992
; %bb.988:
	global_load_u16 v3, v[1:2], off
	s_mov_b32 s2, -1
	s_mov_b32 s47, 0
	s_waitcnt vmcnt(0)
	v_lshlrev_b32_e32 v3, 16, v3
	s_delay_alu instid0(VALU_DEP_1) | instskip(NEXT) | instid1(VALU_DEP_1)
	v_trunc_f32_e32 v3, v3
	v_mul_f32_e64 v4, 0x2f800000, |v3|
	s_delay_alu instid0(VALU_DEP_1) | instskip(NEXT) | instid1(VALU_DEP_1)
	v_floor_f32_e32 v4, v4
	v_fma_f32 v4, 0xcf800000, v4, |v3|
	v_ashrrev_i32_e32 v3, 31, v3
	s_delay_alu instid0(VALU_DEP_2) | instskip(NEXT) | instid1(VALU_DEP_1)
	v_cvt_u32_f32_e32 v4, v4
	v_xor_b32_e32 v4, v4, v3
	s_delay_alu instid0(VALU_DEP_1)
	v_sub_nc_u32_e32 v3, v4, v3
	s_branch .LBB159_993
.LBB159_989:
	s_mov_b32 s48, -1
                                        ; implicit-def: $vgpr3
	s_branch .LBB159_994
.LBB159_990:
	s_or_saveexec_b32 s2, s2
	v_mov_b32_e32 v3, s49
	s_xor_b32 exec_lo, exec_lo, s2
	s_cbranch_execz .LBB159_971
.LBB159_991:
	v_cmp_ne_u16_e32 vcc_lo, 0, v4
	v_mov_b32_e32 v3, 0
	s_and_not1_b32 s48, s48, exec_lo
	s_and_b32 s49, vcc_lo, exec_lo
	s_delay_alu instid0(SALU_CYCLE_1)
	s_or_b32 s48, s48, s49
	s_or_b32 exec_lo, exec_lo, s2
	s_and_saveexec_b32 s2, s48
	s_cbranch_execnz .LBB159_972
	s_branch .LBB159_973
.LBB159_992:
	s_mov_b32 s47, -1
                                        ; implicit-def: $vgpr3
.LBB159_993:
	s_mov_b32 s48, 0
.LBB159_994:
	s_delay_alu instid0(SALU_CYCLE_1)
	s_and_b32 vcc_lo, exec_lo, s48
	s_cbranch_vccz .LBB159_998
; %bb.995:
	v_cmp_eq_u16_e32 vcc_lo, 11, v6
	s_cbranch_vccz .LBB159_997
; %bb.996:
	global_load_u8 v3, v[1:2], off
	s_mov_b32 s47, 0
	s_mov_b32 s2, -1
	s_waitcnt vmcnt(0)
	v_cmp_ne_u16_e32 vcc_lo, 0, v3
	v_cndmask_b32_e64 v3, 0, 1, vcc_lo
	s_branch .LBB159_998
.LBB159_997:
	s_mov_b32 s47, -1
                                        ; implicit-def: $vgpr3
.LBB159_998:
	s_mov_b32 s48, 0
.LBB159_999:
	s_delay_alu instid0(SALU_CYCLE_1)
	s_and_b32 vcc_lo, exec_lo, s48
	s_cbranch_vccz .LBB159_1048
; %bb.1000:
	v_cmp_gt_i16_e32 vcc_lo, 5, v6
	s_cbranch_vccnz .LBB159_1005
; %bb.1001:
	v_cmp_gt_i16_e32 vcc_lo, 8, v6
	s_cbranch_vccnz .LBB159_1006
	;; [unrolled: 3-line block ×3, first 2 shown]
; %bb.1003:
	v_cmp_lt_i16_e32 vcc_lo, 9, v6
	s_cbranch_vccz .LBB159_1008
; %bb.1004:
	global_load_b64 v[3:4], v[1:2], off
	s_mov_b32 s2, 0
	s_waitcnt vmcnt(0)
	v_trunc_f64_e32 v[3:4], v[3:4]
	s_delay_alu instid0(VALU_DEP_1) | instskip(NEXT) | instid1(VALU_DEP_1)
	v_ldexp_f64 v[8:9], v[3:4], 0xffffffe0
	v_floor_f64_e32 v[8:9], v[8:9]
	s_delay_alu instid0(VALU_DEP_1) | instskip(NEXT) | instid1(VALU_DEP_1)
	v_fma_f64 v[3:4], 0xc1f00000, v[8:9], v[3:4]
	v_cvt_u32_f64_e32 v3, v[3:4]
	s_branch .LBB159_1009
.LBB159_1005:
	s_mov_b32 s2, -1
                                        ; implicit-def: $vgpr3
	s_branch .LBB159_1027
.LBB159_1006:
	s_mov_b32 s2, -1
                                        ; implicit-def: $vgpr3
	s_branch .LBB159_1015
.LBB159_1007:
	s_mov_b32 s2, -1
                                        ; implicit-def: $vgpr3
	s_branch .LBB159_1012
.LBB159_1008:
	s_mov_b32 s2, -1
                                        ; implicit-def: $vgpr3
.LBB159_1009:
	s_delay_alu instid0(SALU_CYCLE_1)
	s_and_not1_b32 vcc_lo, exec_lo, s2
	s_cbranch_vccnz .LBB159_1011
; %bb.1010:
	global_load_b32 v3, v[1:2], off
	s_waitcnt vmcnt(0)
	v_trunc_f32_e32 v3, v3
	s_delay_alu instid0(VALU_DEP_1) | instskip(NEXT) | instid1(VALU_DEP_1)
	v_mul_f32_e64 v4, 0x2f800000, |v3|
	v_floor_f32_e32 v4, v4
	s_delay_alu instid0(VALU_DEP_1) | instskip(SKIP_1) | instid1(VALU_DEP_2)
	v_fma_f32 v4, 0xcf800000, v4, |v3|
	v_ashrrev_i32_e32 v3, 31, v3
	v_cvt_u32_f32_e32 v4, v4
	s_delay_alu instid0(VALU_DEP_1) | instskip(NEXT) | instid1(VALU_DEP_1)
	v_xor_b32_e32 v4, v4, v3
	v_sub_nc_u32_e32 v3, v4, v3
.LBB159_1011:
	s_mov_b32 s2, 0
.LBB159_1012:
	s_delay_alu instid0(SALU_CYCLE_1)
	s_and_not1_b32 vcc_lo, exec_lo, s2
	s_cbranch_vccnz .LBB159_1014
; %bb.1013:
	global_load_b32 v3, v[1:2], off
	s_waitcnt vmcnt(0)
	v_cvt_f32_f16_e32 v3, v3
	s_delay_alu instid0(VALU_DEP_1)
	v_cvt_i32_f32_e32 v3, v3
.LBB159_1014:
	s_mov_b32 s2, 0
.LBB159_1015:
	s_delay_alu instid0(SALU_CYCLE_1)
	s_and_not1_b32 vcc_lo, exec_lo, s2
	s_cbranch_vccnz .LBB159_1026
; %bb.1016:
	v_cmp_gt_i16_e32 vcc_lo, 6, v6
	s_cbranch_vccnz .LBB159_1019
; %bb.1017:
	v_cmp_lt_i16_e32 vcc_lo, 6, v6
	s_cbranch_vccz .LBB159_1020
; %bb.1018:
	global_load_b64 v[3:4], v[1:2], off
	s_mov_b32 s2, 0
	s_waitcnt vmcnt(0)
	v_trunc_f64_e32 v[3:4], v[3:4]
	s_delay_alu instid0(VALU_DEP_1) | instskip(NEXT) | instid1(VALU_DEP_1)
	v_ldexp_f64 v[8:9], v[3:4], 0xffffffe0
	v_floor_f64_e32 v[8:9], v[8:9]
	s_delay_alu instid0(VALU_DEP_1) | instskip(NEXT) | instid1(VALU_DEP_1)
	v_fma_f64 v[3:4], 0xc1f00000, v[8:9], v[3:4]
	v_cvt_u32_f64_e32 v3, v[3:4]
	s_branch .LBB159_1021
.LBB159_1019:
	s_mov_b32 s2, -1
                                        ; implicit-def: $vgpr3
	s_branch .LBB159_1024
.LBB159_1020:
	s_mov_b32 s2, -1
                                        ; implicit-def: $vgpr3
.LBB159_1021:
	s_delay_alu instid0(SALU_CYCLE_1)
	s_and_not1_b32 vcc_lo, exec_lo, s2
	s_cbranch_vccnz .LBB159_1023
; %bb.1022:
	global_load_b32 v3, v[1:2], off
	s_waitcnt vmcnt(0)
	v_trunc_f32_e32 v3, v3
	s_delay_alu instid0(VALU_DEP_1) | instskip(NEXT) | instid1(VALU_DEP_1)
	v_mul_f32_e64 v4, 0x2f800000, |v3|
	v_floor_f32_e32 v4, v4
	s_delay_alu instid0(VALU_DEP_1) | instskip(SKIP_1) | instid1(VALU_DEP_2)
	v_fma_f32 v4, 0xcf800000, v4, |v3|
	v_ashrrev_i32_e32 v3, 31, v3
	v_cvt_u32_f32_e32 v4, v4
	s_delay_alu instid0(VALU_DEP_1) | instskip(NEXT) | instid1(VALU_DEP_1)
	v_xor_b32_e32 v4, v4, v3
	v_sub_nc_u32_e32 v3, v4, v3
.LBB159_1023:
	s_mov_b32 s2, 0
.LBB159_1024:
	s_delay_alu instid0(SALU_CYCLE_1)
	s_and_not1_b32 vcc_lo, exec_lo, s2
	s_cbranch_vccnz .LBB159_1026
; %bb.1025:
	global_load_u16 v3, v[1:2], off
	s_waitcnt vmcnt(0)
	v_cvt_f32_f16_e32 v3, v3
	s_delay_alu instid0(VALU_DEP_1)
	v_cvt_i32_f32_e32 v3, v3
.LBB159_1026:
	s_mov_b32 s2, 0
.LBB159_1027:
	s_delay_alu instid0(SALU_CYCLE_1)
	s_and_not1_b32 vcc_lo, exec_lo, s2
	s_cbranch_vccnz .LBB159_1047
; %bb.1028:
	v_cmp_gt_i16_e32 vcc_lo, 2, v6
	s_cbranch_vccnz .LBB159_1032
; %bb.1029:
	v_cmp_gt_i16_e32 vcc_lo, 3, v6
	s_cbranch_vccnz .LBB159_1033
; %bb.1030:
	v_cmp_lt_i16_e32 vcc_lo, 3, v6
	s_cbranch_vccz .LBB159_1034
; %bb.1031:
	global_load_b64 v[3:4], v[1:2], off
	s_mov_b32 s2, 0
	s_branch .LBB159_1035
.LBB159_1032:
	s_mov_b32 s2, -1
                                        ; implicit-def: $vgpr3
	s_branch .LBB159_1041
.LBB159_1033:
	s_mov_b32 s2, -1
                                        ; implicit-def: $vgpr3
	s_branch .LBB159_1038
.LBB159_1034:
	s_mov_b32 s2, -1
                                        ; implicit-def: $vgpr3
.LBB159_1035:
	s_delay_alu instid0(SALU_CYCLE_1)
	s_and_not1_b32 vcc_lo, exec_lo, s2
	s_cbranch_vccnz .LBB159_1037
; %bb.1036:
	global_load_b32 v3, v[1:2], off
.LBB159_1037:
	s_mov_b32 s2, 0
.LBB159_1038:
	s_delay_alu instid0(SALU_CYCLE_1)
	s_and_not1_b32 vcc_lo, exec_lo, s2
	s_cbranch_vccnz .LBB159_1040
; %bb.1039:
	global_load_u16 v3, v[1:2], off
.LBB159_1040:
	s_mov_b32 s2, 0
.LBB159_1041:
	s_delay_alu instid0(SALU_CYCLE_1)
	s_and_not1_b32 vcc_lo, exec_lo, s2
	s_cbranch_vccnz .LBB159_1047
; %bb.1042:
	v_cmp_lt_i16_e32 vcc_lo, 0, v6
	s_mov_b32 s2, 0
	s_cbranch_vccz .LBB159_1044
; %bb.1043:
	global_load_u8 v3, v[1:2], off
	s_branch .LBB159_1045
.LBB159_1044:
	s_mov_b32 s2, -1
                                        ; implicit-def: $vgpr3
.LBB159_1045:
	s_delay_alu instid0(SALU_CYCLE_1)
	s_and_not1_b32 vcc_lo, exec_lo, s2
	s_cbranch_vccnz .LBB159_1047
; %bb.1046:
	global_load_u8 v3, v[1:2], off
.LBB159_1047:
	s_mov_b32 s2, -1
.LBB159_1048:
	s_delay_alu instid0(SALU_CYCLE_1)
	s_and_not1_b32 vcc_lo, exec_lo, s2
	s_cbranch_vccnz .LBB159_1056
; %bb.1049:
	s_waitcnt vmcnt(0)
	s_delay_alu instid0(VALU_DEP_1) | instskip(SKIP_3) | instid1(VALU_DEP_3)
	v_cvt_f32_ubyte0_e32 v1, v3
	v_and_b32_e64 v4, 0xff, s11
	v_add_co_u32 v0, s2, s4, v0
	s_mov_b32 s48, 0
	v_mul_f32_e32 v2, v5, v1
	s_delay_alu instid0(VALU_DEP_3) | instskip(SKIP_2) | instid1(VALU_DEP_3)
	v_cmp_gt_i16_e32 vcc_lo, 11, v4
	v_add_co_ci_u32_e64 v1, null, s5, 0, s2
	s_mov_b32 s49, -1
	v_mul_f32_e32 v2, s10, v2
	s_mov_b32 s2, s43
	s_cbranch_vccnz .LBB159_1057
; %bb.1050:
	v_cmp_lt_i16_e32 vcc_lo, 25, v4
	s_cbranch_vccz .LBB159_1120
; %bb.1051:
	v_cmp_lt_i16_e32 vcc_lo, 28, v4
	s_cbranch_vccz .LBB159_1122
	;; [unrolled: 3-line block ×4, first 2 shown]
; %bb.1054:
	v_cmp_eq_u16_e32 vcc_lo, 46, v4
	s_mov_b32 s49, 0
	s_mov_b32 s2, -1
	s_cbranch_vccz .LBB159_1127
; %bb.1055:
	v_bfe_u32 v3, v2, 16, 1
	v_cmp_o_f32_e32 vcc_lo, v2, v2
	s_mov_b32 s48, -1
	s_mov_b32 s2, 0
	s_delay_alu instid0(VALU_DEP_2) | instskip(NEXT) | instid1(VALU_DEP_1)
	v_add3_u32 v3, v2, v3, 0x7fff
	v_lshrrev_b32_e32 v3, 16, v3
	s_delay_alu instid0(VALU_DEP_1)
	v_cndmask_b32_e32 v3, 0x7fc0, v3, vcc_lo
	global_store_b32 v[0:1], v3, off
	s_branch .LBB159_1127
.LBB159_1056:
	s_mov_b32 s50, 0
	s_mov_b32 s2, s43
	s_branch .LBB159_1097
.LBB159_1057:
	s_and_b32 vcc_lo, exec_lo, s49
	s_cbranch_vccz .LBB159_1196
; %bb.1058:
	v_cmp_gt_i16_e32 vcc_lo, 5, v4
	s_mov_b32 s48, -1
	s_cbranch_vccnz .LBB159_1079
; %bb.1059:
	v_cmp_gt_i16_e32 vcc_lo, 8, v4
	s_cbranch_vccnz .LBB159_1069
; %bb.1060:
	v_cmp_gt_i16_e32 vcc_lo, 9, v4
	s_cbranch_vccnz .LBB159_1066
; %bb.1061:
	v_cmp_lt_i16_e32 vcc_lo, 9, v4
	s_cbranch_vccz .LBB159_1063
; %bb.1062:
	v_cvt_f64_f32_e32 v[8:9], v2
	v_mov_b32_e32 v10, 0
	s_mov_b32 s48, 0
	s_delay_alu instid0(VALU_DEP_1)
	v_mov_b32_e32 v11, v10
	global_store_b128 v[0:1], v[8:11], off
.LBB159_1063:
	s_and_not1_b32 vcc_lo, exec_lo, s48
	s_cbranch_vccnz .LBB159_1065
; %bb.1064:
	v_mov_b32_e32 v3, 0
	global_store_b64 v[0:1], v[2:3], off
.LBB159_1065:
	s_mov_b32 s48, 0
.LBB159_1066:
	s_delay_alu instid0(SALU_CYCLE_1)
	s_and_not1_b32 vcc_lo, exec_lo, s48
	s_cbranch_vccnz .LBB159_1068
; %bb.1067:
	v_cvt_f16_f32_e32 v3, v2
	s_delay_alu instid0(VALU_DEP_1)
	v_and_b32_e32 v3, 0xffff, v3
	global_store_b32 v[0:1], v3, off
.LBB159_1068:
	s_mov_b32 s48, 0
.LBB159_1069:
	s_delay_alu instid0(SALU_CYCLE_1)
	s_and_not1_b32 vcc_lo, exec_lo, s48
	s_cbranch_vccnz .LBB159_1078
; %bb.1070:
	v_cmp_gt_i16_e32 vcc_lo, 6, v4
	s_mov_b32 s48, -1
	s_cbranch_vccnz .LBB159_1076
; %bb.1071:
	v_cmp_lt_i16_e32 vcc_lo, 6, v4
	s_cbranch_vccz .LBB159_1073
; %bb.1072:
	v_cvt_f64_f32_e32 v[5:6], v2
	s_mov_b32 s48, 0
	global_store_b64 v[0:1], v[5:6], off
.LBB159_1073:
	s_and_not1_b32 vcc_lo, exec_lo, s48
	s_cbranch_vccnz .LBB159_1075
; %bb.1074:
	global_store_b32 v[0:1], v2, off
.LBB159_1075:
	s_mov_b32 s48, 0
.LBB159_1076:
	s_delay_alu instid0(SALU_CYCLE_1)
	s_and_not1_b32 vcc_lo, exec_lo, s48
	s_cbranch_vccnz .LBB159_1078
; %bb.1077:
	v_cvt_f16_f32_e32 v3, v2
	global_store_b16 v[0:1], v3, off
.LBB159_1078:
	s_mov_b32 s48, 0
.LBB159_1079:
	s_delay_alu instid0(SALU_CYCLE_1)
	s_and_not1_b32 vcc_lo, exec_lo, s48
	s_cbranch_vccnz .LBB159_1095
; %bb.1080:
	v_cmp_gt_i16_e32 vcc_lo, 2, v4
	s_mov_b32 s48, -1
	s_cbranch_vccnz .LBB159_1090
; %bb.1081:
	v_cmp_gt_i16_e32 vcc_lo, 3, v4
	s_cbranch_vccnz .LBB159_1087
; %bb.1082:
	v_cmp_lt_i16_e32 vcc_lo, 3, v4
	s_cbranch_vccz .LBB159_1084
; %bb.1083:
	v_trunc_f32_e32 v3, v2
	s_mov_b32 s48, 0
	s_delay_alu instid0(VALU_DEP_1) | instskip(NEXT) | instid1(VALU_DEP_1)
	v_mul_f32_e64 v5, 0x2f800000, |v3|
	v_floor_f32_e32 v5, v5
	s_delay_alu instid0(VALU_DEP_1) | instskip(SKIP_2) | instid1(VALU_DEP_3)
	v_fma_f32 v6, 0xcf800000, v5, |v3|
	v_ashrrev_i32_e32 v3, 31, v3
	v_cvt_u32_f32_e32 v5, v5
	v_cvt_u32_f32_e32 v6, v6
	s_delay_alu instid0(VALU_DEP_2) | instskip(NEXT) | instid1(VALU_DEP_2)
	v_xor_b32_e32 v8, v5, v3
	v_xor_b32_e32 v6, v6, v3
	s_delay_alu instid0(VALU_DEP_1) | instskip(NEXT) | instid1(VALU_DEP_3)
	v_sub_co_u32 v5, vcc_lo, v6, v3
	v_sub_co_ci_u32_e32 v6, vcc_lo, v8, v3, vcc_lo
	global_store_b64 v[0:1], v[5:6], off
.LBB159_1084:
	s_and_not1_b32 vcc_lo, exec_lo, s48
	s_cbranch_vccnz .LBB159_1086
; %bb.1085:
	v_cvt_i32_f32_e32 v3, v2
	global_store_b32 v[0:1], v3, off
.LBB159_1086:
	s_mov_b32 s48, 0
.LBB159_1087:
	s_delay_alu instid0(SALU_CYCLE_1)
	s_and_not1_b32 vcc_lo, exec_lo, s48
	s_cbranch_vccnz .LBB159_1089
; %bb.1088:
	v_cvt_i32_f32_e32 v3, v2
	global_store_b16 v[0:1], v3, off
.LBB159_1089:
	s_mov_b32 s48, 0
.LBB159_1090:
	s_delay_alu instid0(SALU_CYCLE_1)
	s_and_not1_b32 vcc_lo, exec_lo, s48
	s_cbranch_vccnz .LBB159_1095
; %bb.1091:
	v_cmp_lt_i16_e32 vcc_lo, 0, v4
	s_mov_b32 s48, -1
	s_cbranch_vccz .LBB159_1093
; %bb.1092:
	v_cvt_i32_f32_e32 v3, v2
	s_mov_b32 s48, 0
	global_store_b8 v[0:1], v3, off
.LBB159_1093:
	s_and_not1_b32 vcc_lo, exec_lo, s48
	s_cbranch_vccnz .LBB159_1095
; %bb.1094:
	v_trunc_f32_e32 v2, v2
	s_delay_alu instid0(VALU_DEP_1) | instskip(NEXT) | instid1(VALU_DEP_1)
	v_mul_f32_e64 v3, 0x2f800000, |v2|
	v_floor_f32_e32 v3, v3
	s_delay_alu instid0(VALU_DEP_1) | instskip(SKIP_1) | instid1(VALU_DEP_2)
	v_fma_f32 v3, 0xcf800000, v3, |v2|
	v_ashrrev_i32_e32 v2, 31, v2
	v_cvt_u32_f32_e32 v3, v3
	s_delay_alu instid0(VALU_DEP_1) | instskip(NEXT) | instid1(VALU_DEP_1)
	v_xor_b32_e32 v3, v3, v2
	v_sub_nc_u32_e32 v2, v3, v2
	global_store_b8 v[0:1], v2, off
.LBB159_1095:
	s_branch .LBB159_1197
.LBB159_1096:
	s_mov_b32 s50, 0
.LBB159_1097:
                                        ; implicit-def: $vgpr7
.LBB159_1098:
	s_and_not1_b32 s48, s43, exec_lo
	s_and_b32 s2, s2, exec_lo
	s_and_b32 s47, s47, exec_lo
	s_or_b32 s48, s48, s2
	s_and_not1_b32 s2, s44, exec_lo
	s_and_not1_b32 s51, s42, exec_lo
	s_and_b32 s3, s3, exec_lo
	s_or_b32 s49, s2, s47
	s_or_b32 s47, s51, s3
	s_or_not1_b32 s51, s50, exec_lo
.LBB159_1099:
	s_or_b32 exec_lo, exec_lo, s46
	s_mov_b32 s2, 0
	s_mov_b32 s3, 0
	;; [unrolled: 1-line block ×3, first 2 shown]
                                        ; implicit-def: $vgpr4
                                        ; implicit-def: $vgpr2_vgpr3
                                        ; implicit-def: $vgpr0
                                        ; implicit-def: $vgpr1
                                        ; implicit-def: $vgpr6
	s_and_saveexec_b32 s46, s51
	s_cbranch_execz .LBB159_1267
; %bb.1100:
	v_cmp_gt_i32_e32 vcc_lo, s36, v7
	s_mov_b32 s52, s47
	s_mov_b32 s51, 0
                                        ; implicit-def: $vgpr4
                                        ; implicit-def: $vgpr2_vgpr3
                                        ; implicit-def: $vgpr0
                                        ; implicit-def: $vgpr1
                                        ; implicit-def: $vgpr6
	s_and_saveexec_b32 s36, vcc_lo
	s_cbranch_execz .LBB159_1266
; %bb.1101:
	s_and_not1_b32 vcc_lo, exec_lo, s29
	s_cbranch_vccnz .LBB159_1107
; %bb.1102:
	v_dual_mov_b32 v0, 0 :: v_dual_mov_b32 v1, 0
	v_mov_b32_e32 v2, 0
	s_and_not1_b32 vcc_lo, exec_lo, s37
	s_mov_b32 s37, 0
	s_cbranch_vccnz .LBB159_1108
; %bb.1103:
	s_add_i32 s2, s35, 1
	v_dual_mov_b32 v1, 0 :: v_dual_mov_b32 v2, 0
	s_waitcnt vmcnt(0)
	v_dual_mov_b32 v0, 0 :: v_dual_mov_b32 v3, v7
	s_and_b32 s50, s2, 30
	s_add_u32 s2, s20, 0xffffffec
	s_addc_u32 s3, s21, -1
	s_set_inst_prefetch_distance 0x1
	.p2align	6
.LBB159_1104:                           ; =>This Inner Loop Header: Depth=1
	s_clause 0x2
	s_load_b128 s[52:55], s[2:3], 0x18
	s_load_b64 s[60:61], s[2:3], 0x28
	s_load_b128 s[56:59], s[2:3], 0xd8
	s_waitcnt lgkmcnt(0)
	v_mul_hi_u32 v4, s53, v3
	s_delay_alu instid0(VALU_DEP_1) | instskip(NEXT) | instid1(VALU_DEP_1)
	v_add_nc_u32_e32 v4, v3, v4
	v_lshrrev_b32_e32 v4, s54, v4
	s_delay_alu instid0(VALU_DEP_1)
	v_mul_hi_u32 v5, s60, v4
	v_mul_lo_u32 v6, v4, s52
	s_load_b64 s[52:53], s[2:3], 0xe8
	s_add_u32 s2, s2, 24
	s_addc_u32 s3, s3, 0
	s_add_i32 s50, s50, -2
	s_delay_alu instid0(SALU_CYCLE_1) | instskip(NEXT) | instid1(VALU_DEP_2)
	s_cmp_eq_u32 s50, 0
	v_add_nc_u32_e32 v5, v4, v5
	s_delay_alu instid0(VALU_DEP_2) | instskip(NEXT) | instid1(VALU_DEP_2)
	v_sub_nc_u32_e32 v6, v3, v6
	v_lshrrev_b32_e32 v3, s61, v5
	s_delay_alu instid0(VALU_DEP_2) | instskip(NEXT) | instid1(VALU_DEP_2)
	v_mul_lo_u32 v8, v6, s56
	v_mul_lo_u32 v5, v3, s55
	s_delay_alu instid0(VALU_DEP_1) | instskip(SKIP_2) | instid1(VALU_DEP_3)
	v_sub_nc_u32_e32 v4, v4, v5
	v_mul_lo_u32 v5, v6, s57
	v_mul_lo_u32 v6, v6, s58
	;; [unrolled: 1-line block ×3, first 2 shown]
	s_waitcnt lgkmcnt(0)
	v_mul_lo_u32 v10, v4, s52
	v_mul_lo_u32 v4, v4, s53
	s_delay_alu instid0(VALU_DEP_3) | instskip(NEXT) | instid1(VALU_DEP_3)
	v_add3_u32 v0, v8, v0, v9
	v_add3_u32 v2, v5, v2, v10
	s_delay_alu instid0(VALU_DEP_3)
	v_add3_u32 v1, v6, v1, v4
	s_cbranch_scc0 .LBB159_1104
; %bb.1105:
	s_set_inst_prefetch_distance 0x2
	s_bitcmp1_b32 s35, 0
	s_cselect_b32 s35, -1, 0
	s_delay_alu instid0(SALU_CYCLE_1)
	s_and_b32 vcc_lo, exec_lo, s35
	s_cbranch_vccnz .LBB159_1108
; %bb.1106:
	s_clause 0x3
	s_load_b64 s[50:51], s[2:3], 0x18
	s_load_b32 s35, s[2:3], 0x20
	s_load_b64 s[52:53], s[2:3], 0xd8
	s_load_b32 s2, s[2:3], 0xe0
	s_waitcnt lgkmcnt(0)
	v_mul_hi_u32 v4, s51, v3
	s_delay_alu instid0(VALU_DEP_1) | instskip(NEXT) | instid1(VALU_DEP_1)
	v_add_nc_u32_e32 v4, v3, v4
	v_lshrrev_b32_e32 v4, s35, v4
	s_delay_alu instid0(VALU_DEP_1) | instskip(NEXT) | instid1(VALU_DEP_1)
	v_mul_lo_u32 v4, v4, s50
	v_sub_nc_u32_e32 v8, v3, v4
	s_delay_alu instid0(VALU_DEP_1) | instskip(NEXT) | instid1(VALU_DEP_1)
	v_mad_u64_u32 v[3:4], null, v8, s52, v[0:1]
	v_mad_u64_u32 v[4:5], null, v8, s53, v[2:3]
	v_mad_u64_u32 v[5:6], null, v8, s2, v[1:2]
	v_mov_b32_e32 v0, v3
	s_delay_alu instid0(VALU_DEP_2)
	v_dual_mov_b32 v2, v4 :: v_dual_mov_b32 v1, v5
	s_branch .LBB159_1108
.LBB159_1107:
	s_mov_b32 s37, -1
                                        ; implicit-def: $vgpr0
                                        ; implicit-def: $vgpr2
                                        ; implicit-def: $vgpr1
.LBB159_1108:
	s_delay_alu instid0(SALU_CYCLE_1)
	s_and_not1_b32 vcc_lo, exec_lo, s37
	s_cbranch_vccnz .LBB159_1111
; %bb.1109:
	v_mul_hi_u32 v0, s17, v7
	s_and_not1_b32 vcc_lo, exec_lo, s34
	s_delay_alu instid0(VALU_DEP_1) | instskip(SKIP_1) | instid1(VALU_DEP_1)
	v_add_nc_u32_e32 v0, v7, v0
	s_waitcnt vmcnt(0)
	v_lshrrev_b32_e32 v3, s18, v0
	s_delay_alu instid0(VALU_DEP_1) | instskip(NEXT) | instid1(VALU_DEP_1)
	v_mul_lo_u32 v0, v3, s16
	v_sub_nc_u32_e32 v1, v7, v0
	s_delay_alu instid0(VALU_DEP_1)
	v_mul_lo_u32 v0, v1, s12
	v_mul_lo_u32 v2, v1, s13
	;; [unrolled: 1-line block ×3, first 2 shown]
	s_cbranch_vccnz .LBB159_1111
; %bb.1110:
	v_mul_hi_u32 v4, s24, v3
	s_delay_alu instid0(VALU_DEP_1) | instskip(NEXT) | instid1(VALU_DEP_1)
	v_add_nc_u32_e32 v4, v3, v4
	v_lshrrev_b32_e32 v4, s25, v4
	s_delay_alu instid0(VALU_DEP_1) | instskip(NEXT) | instid1(VALU_DEP_1)
	v_mul_lo_u32 v4, v4, s19
	v_sub_nc_u32_e32 v7, v3, v4
	s_delay_alu instid0(VALU_DEP_1) | instskip(NEXT) | instid1(VALU_DEP_1)
	v_mad_u64_u32 v[3:4], null, v7, s15, v[0:1]
	v_mad_u64_u32 v[4:5], null, v7, s22, v[2:3]
	v_mad_u64_u32 v[5:6], null, v7, s23, v[1:2]
	v_mov_b32_e32 v0, v3
	s_delay_alu instid0(VALU_DEP_2)
	v_dual_mov_b32 v2, v4 :: v_dual_mov_b32 v1, v5
.LBB159_1111:
	s_waitcnt vmcnt(0)
	v_and_b32_e64 v4, 0xff, s33
	s_delay_alu instid0(VALU_DEP_2) | instskip(NEXT) | instid1(VALU_DEP_1)
	v_add_co_u32 v2, s2, s6, v2
	v_add_co_ci_u32_e64 v3, null, s7, 0, s2
	s_delay_alu instid0(VALU_DEP_3)
	v_cmp_gt_i16_e32 vcc_lo, 11, v4
	s_mov_b32 s6, 0
	s_cbranch_vccnz .LBB159_1118
; %bb.1112:
	v_cmp_lt_i16_e32 vcc_lo, 25, v4
	s_mov_b32 s3, 0
	s_cbranch_vccz .LBB159_1119
; %bb.1113:
	v_cmp_lt_i16_e32 vcc_lo, 28, v4
	s_cbranch_vccz .LBB159_1121
; %bb.1114:
	v_cmp_lt_i16_e32 vcc_lo, 43, v4
	;; [unrolled: 3-line block ×3, first 2 shown]
	s_cbranch_vccz .LBB159_1125
; %bb.1116:
	v_cmp_eq_u16_e32 vcc_lo, 46, v4
	s_mov_b32 s7, 0
	s_cbranch_vccz .LBB159_1198
; %bb.1117:
	global_load_b32 v5, v[2:3], off
	s_mov_b32 s2, 0
	s_mov_b32 s6, -1
	s_waitcnt vmcnt(0)
	v_lshlrev_b32_e32 v6, 16, v5
	s_branch .LBB159_1200
.LBB159_1118:
	s_mov_b32 s7, -1
	s_mov_b32 s3, 0
	s_mov_b32 s2, s47
                                        ; implicit-def: $vgpr6
	s_branch .LBB159_1265
.LBB159_1119:
	s_mov_b32 s7, -1
	s_mov_b32 s2, s47
                                        ; implicit-def: $vgpr6
	s_branch .LBB159_1231
.LBB159_1120:
	s_mov_b32 s2, s43
	s_branch .LBB159_1154
.LBB159_1121:
	s_mov_b32 s7, -1
	s_mov_b32 s2, s47
                                        ; implicit-def: $vgpr6
	s_branch .LBB159_1212
.LBB159_1122:
	s_mov_b32 s2, s43
	s_branch .LBB159_1137
.LBB159_1123:
	s_mov_b32 s7, -1
	s_mov_b32 s2, s47
                                        ; implicit-def: $vgpr6
	s_branch .LBB159_1207
.LBB159_1124:
	s_mov_b32 s2, s43
	s_branch .LBB159_1133
.LBB159_1125:
	s_mov_b32 s7, -1
	s_mov_b32 s2, s47
	s_branch .LBB159_1199
.LBB159_1126:
	s_mov_b32 s2, s43
.LBB159_1127:
	s_and_b32 vcc_lo, exec_lo, s49
	s_cbranch_vccz .LBB159_1132
; %bb.1128:
	v_cmp_eq_u16_e32 vcc_lo, 44, v4
	s_mov_b32 s2, -1
	s_cbranch_vccz .LBB159_1132
; %bb.1129:
	v_bfe_u32 v5, v2, 23, 8
	v_mov_b32_e32 v3, 0xff
	s_mov_b32 s48, exec_lo
	s_delay_alu instid0(VALU_DEP_2)
	v_cmpx_ne_u32_e32 0xff, v5
; %bb.1130:
	v_and_b32_e32 v3, 0x400000, v2
	v_and_or_b32 v5, 0x3fffff, v2, v5
	s_delay_alu instid0(VALU_DEP_2) | instskip(NEXT) | instid1(VALU_DEP_2)
	v_cmp_ne_u32_e32 vcc_lo, 0, v3
	v_cmp_ne_u32_e64 s2, 0, v5
	v_lshrrev_b32_e32 v3, 23, v2
	s_delay_alu instid0(VALU_DEP_2) | instskip(NEXT) | instid1(SALU_CYCLE_1)
	s_and_b32 s2, vcc_lo, s2
	v_cndmask_b32_e64 v5, 0, 1, s2
	s_delay_alu instid0(VALU_DEP_1)
	v_add_nc_u32_e32 v3, v3, v5
; %bb.1131:
	s_or_b32 exec_lo, exec_lo, s48
	s_mov_b32 s48, -1
	s_mov_b32 s2, 0
	global_store_b8 v[0:1], v3, off
.LBB159_1132:
	s_mov_b32 s49, 0
.LBB159_1133:
	s_delay_alu instid0(SALU_CYCLE_1)
	s_and_b32 vcc_lo, exec_lo, s49
	s_cbranch_vccz .LBB159_1136
; %bb.1134:
	v_cmp_eq_u16_e32 vcc_lo, 29, v4
	s_mov_b32 s2, -1
	s_cbranch_vccz .LBB159_1136
; %bb.1135:
	v_trunc_f32_e32 v3, v2
	s_mov_b32 s48, -1
	s_mov_b32 s2, 0
	s_mov_b32 s49, 0
	s_delay_alu instid0(VALU_DEP_1) | instskip(NEXT) | instid1(VALU_DEP_1)
	v_mul_f32_e32 v5, 0x2f800000, v3
	v_floor_f32_e32 v5, v5
	s_delay_alu instid0(VALU_DEP_1) | instskip(SKIP_1) | instid1(VALU_DEP_2)
	v_fmamk_f32 v3, v5, 0xcf800000, v3
	v_cvt_u32_f32_e32 v6, v5
	v_cvt_u32_f32_e32 v5, v3
	global_store_b64 v[0:1], v[5:6], off
	s_branch .LBB159_1137
.LBB159_1136:
	s_mov_b32 s49, 0
.LBB159_1137:
	s_delay_alu instid0(SALU_CYCLE_1)
	s_and_b32 vcc_lo, exec_lo, s49
	s_cbranch_vccz .LBB159_1153
; %bb.1138:
	v_cmp_gt_i16_e32 vcc_lo, 27, v4
	s_mov_b32 s48, -1
	s_cbranch_vccnz .LBB159_1144
; %bb.1139:
	v_cmp_lt_i16_e32 vcc_lo, 27, v4
	v_cvt_u32_f32_e32 v3, v2
	s_cbranch_vccz .LBB159_1141
; %bb.1140:
	s_mov_b32 s48, 0
	global_store_b32 v[0:1], v3, off
.LBB159_1141:
	s_and_not1_b32 vcc_lo, exec_lo, s48
	s_cbranch_vccnz .LBB159_1143
; %bb.1142:
	global_store_b16 v[0:1], v3, off
.LBB159_1143:
	s_mov_b32 s48, 0
.LBB159_1144:
	s_delay_alu instid0(SALU_CYCLE_1)
	s_and_not1_b32 vcc_lo, exec_lo, s48
	s_cbranch_vccnz .LBB159_1152
; %bb.1145:
	v_and_b32_e32 v3, 0x7fffffff, v2
	v_mov_b32_e32 v5, 0x80
	s_mov_b32 s48, exec_lo
	s_delay_alu instid0(VALU_DEP_2)
	v_cmpx_gt_u32_e32 0x43800000, v3
	s_cbranch_execz .LBB159_1151
; %bb.1146:
	v_cmp_lt_u32_e32 vcc_lo, 0x3bffffff, v3
	s_mov_b32 s49, 0
                                        ; implicit-def: $vgpr3
	s_and_saveexec_b32 s50, vcc_lo
	s_delay_alu instid0(SALU_CYCLE_1)
	s_xor_b32 s50, exec_lo, s50
	s_cbranch_execz .LBB159_1203
; %bb.1147:
	v_bfe_u32 v3, v2, 20, 1
	s_mov_b32 s49, exec_lo
	s_delay_alu instid0(VALU_DEP_1) | instskip(NEXT) | instid1(VALU_DEP_1)
	v_add3_u32 v3, v2, v3, 0x487ffff
	v_lshrrev_b32_e32 v3, 20, v3
	s_or_saveexec_b32 s50, s50
                                        ; implicit-def: $sgpr51
	s_delay_alu instid0(SALU_CYCLE_1)
	s_xor_b32 exec_lo, exec_lo, s50
	s_cbranch_execnz .LBB159_1204
.LBB159_1148:
	s_or_b32 exec_lo, exec_lo, s50
	v_mov_b32_e32 v5, s51
	s_and_saveexec_b32 s50, s49
.LBB159_1149:
	v_lshrrev_b32_e32 v5, 24, v2
	s_delay_alu instid0(VALU_DEP_1)
	v_and_or_b32 v5, 0x80, v5, v3
.LBB159_1150:
	s_or_b32 exec_lo, exec_lo, s50
.LBB159_1151:
	s_delay_alu instid0(SALU_CYCLE_1)
	s_or_b32 exec_lo, exec_lo, s48
	global_store_b8 v[0:1], v5, off
.LBB159_1152:
	s_mov_b32 s48, -1
.LBB159_1153:
	s_mov_b32 s49, 0
.LBB159_1154:
	s_delay_alu instid0(SALU_CYCLE_1)
	s_and_b32 vcc_lo, exec_lo, s49
	s_cbranch_vccz .LBB159_1195
; %bb.1155:
	v_cmp_lt_i16_e32 vcc_lo, 22, v4
	s_mov_b32 s49, -1
	s_cbranch_vccz .LBB159_1187
; %bb.1156:
	v_cmp_gt_i16_e32 vcc_lo, 24, v4
	s_mov_b32 s48, -1
	s_cbranch_vccnz .LBB159_1176
; %bb.1157:
	v_cmp_lt_i16_e32 vcc_lo, 24, v4
	s_cbranch_vccz .LBB159_1165
; %bb.1158:
	v_and_b32_e32 v3, 0x7fffffff, v2
	v_mov_b32_e32 v5, 0x80
	s_mov_b32 s48, exec_lo
	s_delay_alu instid0(VALU_DEP_2)
	v_cmpx_gt_u32_e32 0x47800000, v3
	s_cbranch_execz .LBB159_1164
; %bb.1159:
	v_cmp_lt_u32_e32 vcc_lo, 0x37ffffff, v3
	s_mov_b32 s49, 0
                                        ; implicit-def: $vgpr3
	s_and_saveexec_b32 s50, vcc_lo
	s_delay_alu instid0(SALU_CYCLE_1)
	s_xor_b32 s50, exec_lo, s50
	s_cbranch_execz .LBB159_2280
; %bb.1160:
	v_bfe_u32 v3, v2, 21, 1
	s_mov_b32 s49, exec_lo
	s_delay_alu instid0(VALU_DEP_1) | instskip(NEXT) | instid1(VALU_DEP_1)
	v_add3_u32 v3, v2, v3, 0x88fffff
	v_lshrrev_b32_e32 v3, 21, v3
	s_or_saveexec_b32 s50, s50
                                        ; implicit-def: $sgpr51
	s_delay_alu instid0(SALU_CYCLE_1)
	s_xor_b32 exec_lo, exec_lo, s50
	s_cbranch_execnz .LBB159_2281
.LBB159_1161:
	s_or_b32 exec_lo, exec_lo, s50
	v_mov_b32_e32 v5, s51
	s_and_saveexec_b32 s50, s49
.LBB159_1162:
	v_lshrrev_b32_e32 v5, 24, v2
	s_delay_alu instid0(VALU_DEP_1)
	v_and_or_b32 v5, 0x80, v5, v3
.LBB159_1163:
	s_or_b32 exec_lo, exec_lo, s50
.LBB159_1164:
	s_delay_alu instid0(SALU_CYCLE_1)
	s_or_b32 exec_lo, exec_lo, s48
	s_mov_b32 s48, 0
	global_store_b8 v[0:1], v5, off
.LBB159_1165:
	s_and_b32 vcc_lo, exec_lo, s48
	s_cbranch_vccz .LBB159_1175
; %bb.1166:
	v_and_b32_e32 v5, 0x7fffffff, v2
	s_mov_b32 s48, exec_lo
                                        ; implicit-def: $vgpr3
	s_delay_alu instid0(VALU_DEP_1)
	v_cmpx_gt_u32_e32 0x43f00000, v5
	s_xor_b32 s48, exec_lo, s48
	s_cbranch_execz .LBB159_1172
; %bb.1167:
	s_mov_b32 s49, exec_lo
                                        ; implicit-def: $vgpr3
	v_cmpx_lt_u32_e32 0x3c7fffff, v5
	s_xor_b32 s49, exec_lo, s49
; %bb.1168:
	v_bfe_u32 v3, v2, 20, 1
	s_delay_alu instid0(VALU_DEP_1) | instskip(NEXT) | instid1(VALU_DEP_1)
	v_add3_u32 v3, v2, v3, 0x407ffff
	v_and_b32_e32 v5, 0xff00000, v3
	v_lshrrev_b32_e32 v3, 20, v3
	s_delay_alu instid0(VALU_DEP_2) | instskip(NEXT) | instid1(VALU_DEP_2)
	v_cmp_ne_u32_e32 vcc_lo, 0x7f00000, v5
	v_cndmask_b32_e32 v3, 0x7e, v3, vcc_lo
; %bb.1169:
	s_and_not1_saveexec_b32 s49, s49
; %bb.1170:
	v_add_f32_e64 v3, 0x46800000, |v2|
; %bb.1171:
	s_or_b32 exec_lo, exec_lo, s49
                                        ; implicit-def: $vgpr5
.LBB159_1172:
	s_and_not1_saveexec_b32 s48, s48
; %bb.1173:
	v_mov_b32_e32 v3, 0x7f
	v_cmp_lt_u32_e32 vcc_lo, 0x7f800000, v5
	s_delay_alu instid0(VALU_DEP_2)
	v_cndmask_b32_e32 v3, 0x7e, v3, vcc_lo
; %bb.1174:
	s_or_b32 exec_lo, exec_lo, s48
	v_lshrrev_b32_e32 v5, 24, v2
	s_delay_alu instid0(VALU_DEP_1)
	v_and_or_b32 v3, 0x80, v5, v3
	global_store_b8 v[0:1], v3, off
.LBB159_1175:
	s_mov_b32 s48, 0
.LBB159_1176:
	s_delay_alu instid0(SALU_CYCLE_1)
	s_and_not1_b32 vcc_lo, exec_lo, s48
	s_cbranch_vccnz .LBB159_1186
; %bb.1177:
	v_and_b32_e32 v5, 0x7fffffff, v2
	s_mov_b32 s48, exec_lo
                                        ; implicit-def: $vgpr3
	s_delay_alu instid0(VALU_DEP_1)
	v_cmpx_gt_u32_e32 0x47800000, v5
	s_xor_b32 s48, exec_lo, s48
	s_cbranch_execz .LBB159_1183
; %bb.1178:
	s_mov_b32 s49, exec_lo
                                        ; implicit-def: $vgpr3
	v_cmpx_lt_u32_e32 0x387fffff, v5
	s_xor_b32 s49, exec_lo, s49
; %bb.1179:
	v_bfe_u32 v3, v2, 21, 1
	s_delay_alu instid0(VALU_DEP_1) | instskip(NEXT) | instid1(VALU_DEP_1)
	v_add3_u32 v3, v2, v3, 0x80fffff
	v_lshrrev_b32_e32 v3, 21, v3
; %bb.1180:
	s_and_not1_saveexec_b32 s49, s49
; %bb.1181:
	v_add_f32_e64 v3, 0x43000000, |v2|
; %bb.1182:
	s_or_b32 exec_lo, exec_lo, s49
                                        ; implicit-def: $vgpr5
.LBB159_1183:
	s_and_not1_saveexec_b32 s48, s48
; %bb.1184:
	v_mov_b32_e32 v3, 0x7f
	v_cmp_lt_u32_e32 vcc_lo, 0x7f800000, v5
	s_delay_alu instid0(VALU_DEP_2)
	v_cndmask_b32_e32 v3, 0x7c, v3, vcc_lo
; %bb.1185:
	s_or_b32 exec_lo, exec_lo, s48
	v_lshrrev_b32_e32 v5, 24, v2
	s_delay_alu instid0(VALU_DEP_1)
	v_and_or_b32 v3, 0x80, v5, v3
	global_store_b8 v[0:1], v3, off
.LBB159_1186:
	s_mov_b32 s49, 0
	s_mov_b32 s48, -1
.LBB159_1187:
	s_and_not1_b32 vcc_lo, exec_lo, s49
	s_cbranch_vccnz .LBB159_1195
; %bb.1188:
	v_cmp_lt_i16_e32 vcc_lo, 14, v4
	s_mov_b32 s49, -1
	s_cbranch_vccz .LBB159_1192
; %bb.1189:
	v_cmp_eq_u16_e32 vcc_lo, 15, v4
	s_mov_b32 s2, -1
	s_cbranch_vccz .LBB159_1191
; %bb.1190:
	v_bfe_u32 v3, v2, 16, 1
	v_cmp_o_f32_e32 vcc_lo, v2, v2
	s_mov_b32 s48, -1
	s_mov_b32 s2, 0
	s_delay_alu instid0(VALU_DEP_2) | instskip(NEXT) | instid1(VALU_DEP_1)
	v_add3_u32 v3, v2, v3, 0x7fff
	v_lshrrev_b32_e32 v3, 16, v3
	s_delay_alu instid0(VALU_DEP_1)
	v_cndmask_b32_e32 v3, 0x7fc0, v3, vcc_lo
	global_store_b16 v[0:1], v3, off
.LBB159_1191:
	s_mov_b32 s49, 0
.LBB159_1192:
	s_delay_alu instid0(SALU_CYCLE_1)
	s_and_b32 vcc_lo, exec_lo, s49
	s_cbranch_vccz .LBB159_1195
; %bb.1193:
	v_cmp_eq_u16_e32 vcc_lo, 11, v4
	s_mov_b32 s2, -1
	s_cbranch_vccz .LBB159_1195
; %bb.1194:
	v_cmp_neq_f32_e32 vcc_lo, 0, v2
	s_mov_b32 s2, 0
	s_mov_b32 s48, -1
	v_cndmask_b32_e64 v3, 0, 1, vcc_lo
	global_store_b8 v[0:1], v3, off
.LBB159_1195:
.LBB159_1196:
	s_and_not1_b32 vcc_lo, exec_lo, s48
	s_cbranch_vccnz .LBB159_1096
.LBB159_1197:
	v_add_nc_u32_e32 v7, 0x80, v7
	s_mov_b32 s50, -1
	s_branch .LBB159_1098
.LBB159_1198:
	s_mov_b32 s2, -1
.LBB159_1199:
                                        ; implicit-def: $vgpr6
.LBB159_1200:
	s_and_b32 vcc_lo, exec_lo, s7
	s_cbranch_vccz .LBB159_1206
; %bb.1201:
	v_cmp_eq_u16_e32 vcc_lo, 44, v4
	s_cbranch_vccz .LBB159_1205
; %bb.1202:
	global_load_u8 v5, v[2:3], off
	s_mov_b32 s2, 0
	s_mov_b32 s6, -1
	s_waitcnt vmcnt(0)
	v_lshlrev_b32_e32 v6, 23, v5
	v_cmp_ne_u32_e32 vcc_lo, 0xff, v5
	s_delay_alu instid0(VALU_DEP_2) | instskip(SKIP_1) | instid1(VALU_DEP_2)
	v_cndmask_b32_e32 v6, 0x7f800001, v6, vcc_lo
	v_cmp_ne_u32_e32 vcc_lo, 0, v5
	v_cndmask_b32_e32 v6, 0x400000, v6, vcc_lo
	s_branch .LBB159_1206
.LBB159_1203:
	s_or_saveexec_b32 s50, s50
                                        ; implicit-def: $sgpr51
	s_delay_alu instid0(SALU_CYCLE_1)
	s_xor_b32 exec_lo, exec_lo, s50
	s_cbranch_execz .LBB159_1148
.LBB159_1204:
	v_add_f32_e64 v3, 0x46000000, |v2|
	s_and_not1_b32 s49, s49, exec_lo
	s_mov_b32 s51, 0
	s_delay_alu instid0(VALU_DEP_1) | instskip(NEXT) | instid1(VALU_DEP_1)
	v_and_b32_e32 v3, 0xff, v3
	v_cmp_ne_u32_e32 vcc_lo, 0, v3
	s_and_b32 s52, vcc_lo, exec_lo
	s_delay_alu instid0(SALU_CYCLE_1)
	s_or_b32 s49, s49, s52
	s_or_b32 exec_lo, exec_lo, s50
	v_mov_b32_e32 v5, s51
	s_and_saveexec_b32 s50, s49
	s_cbranch_execnz .LBB159_1149
	s_branch .LBB159_1150
.LBB159_1205:
	s_mov_b32 s2, -1
                                        ; implicit-def: $vgpr6
.LBB159_1206:
	s_mov_b32 s7, 0
.LBB159_1207:
	s_delay_alu instid0(SALU_CYCLE_1)
	s_and_b32 vcc_lo, exec_lo, s7
	s_cbranch_vccz .LBB159_1211
; %bb.1208:
	v_cmp_eq_u16_e32 vcc_lo, 29, v4
	s_cbranch_vccz .LBB159_1210
; %bb.1209:
	global_load_b64 v[5:6], v[2:3], off
	s_mov_b32 s2, 0
	s_mov_b32 s6, -1
	s_mov_b32 s7, 0
	s_waitcnt vmcnt(0)
	v_clz_i32_u32_e32 v7, v6
	s_delay_alu instid0(VALU_DEP_1) | instskip(NEXT) | instid1(VALU_DEP_1)
	v_min_u32_e32 v7, 32, v7
	v_lshlrev_b64 v[5:6], v7, v[5:6]
	s_delay_alu instid0(VALU_DEP_1) | instskip(NEXT) | instid1(VALU_DEP_1)
	v_min_u32_e32 v5, 1, v5
	v_or_b32_e32 v5, v6, v5
	v_sub_nc_u32_e32 v6, 32, v7
	s_delay_alu instid0(VALU_DEP_2) | instskip(NEXT) | instid1(VALU_DEP_1)
	v_cvt_f32_u32_e32 v5, v5
	v_ldexp_f32 v6, v5, v6
	s_branch .LBB159_1212
.LBB159_1210:
	s_mov_b32 s2, -1
                                        ; implicit-def: $vgpr6
.LBB159_1211:
	s_mov_b32 s7, 0
.LBB159_1212:
	s_delay_alu instid0(SALU_CYCLE_1)
	s_and_b32 vcc_lo, exec_lo, s7
	s_cbranch_vccz .LBB159_1230
; %bb.1213:
	v_cmp_gt_i16_e32 vcc_lo, 27, v4
	s_cbranch_vccnz .LBB159_1216
; %bb.1214:
	v_cmp_lt_i16_e32 vcc_lo, 27, v4
	s_cbranch_vccz .LBB159_1217
; %bb.1215:
	global_load_b32 v5, v[2:3], off
	s_mov_b32 s6, 0
	s_waitcnt vmcnt(0)
	v_cvt_f32_u32_e32 v6, v5
	s_branch .LBB159_1218
.LBB159_1216:
	s_mov_b32 s6, -1
                                        ; implicit-def: $vgpr6
	s_branch .LBB159_1221
.LBB159_1217:
	s_mov_b32 s6, -1
                                        ; implicit-def: $vgpr6
.LBB159_1218:
	s_delay_alu instid0(SALU_CYCLE_1)
	s_and_not1_b32 vcc_lo, exec_lo, s6
	s_cbranch_vccnz .LBB159_1220
; %bb.1219:
	global_load_u16 v5, v[2:3], off
	s_waitcnt vmcnt(0)
	v_cvt_f32_u32_e32 v6, v5
.LBB159_1220:
	s_mov_b32 s6, 0
.LBB159_1221:
	s_delay_alu instid0(SALU_CYCLE_1)
	s_and_not1_b32 vcc_lo, exec_lo, s6
	s_cbranch_vccnz .LBB159_1229
; %bb.1222:
	global_load_u8 v5, v[2:3], off
	s_mov_b32 s6, 0
	s_mov_b32 s12, exec_lo
                                        ; implicit-def: $sgpr7
	s_waitcnt vmcnt(0)
	v_cmpx_lt_i16_e32 0x7f, v5
	s_xor_b32 s12, exec_lo, s12
	s_cbranch_execz .LBB159_1243
; %bb.1223:
	s_mov_b32 s6, -1
	s_mov_b32 s13, exec_lo
                                        ; implicit-def: $sgpr7
	v_cmpx_eq_u16_e32 0x80, v5
; %bb.1224:
	s_mov_b32 s7, 0x7f800001
	s_xor_b32 s6, exec_lo, -1
; %bb.1225:
	s_or_b32 exec_lo, exec_lo, s13
	s_delay_alu instid0(SALU_CYCLE_1)
	s_and_b32 s6, s6, exec_lo
	s_or_saveexec_b32 s12, s12
	v_mov_b32_e32 v6, s7
	s_xor_b32 exec_lo, exec_lo, s12
	s_cbranch_execnz .LBB159_1244
.LBB159_1226:
	s_or_b32 exec_lo, exec_lo, s12
	s_and_saveexec_b32 s7, s6
	s_cbranch_execz .LBB159_1228
.LBB159_1227:
	v_and_b32_e32 v6, 0xffff, v5
	v_lshlrev_b32_e32 v5, 24, v5
	s_delay_alu instid0(VALU_DEP_2) | instskip(NEXT) | instid1(VALU_DEP_2)
	v_and_b32_e32 v7, 7, v6
	v_and_b32_e32 v5, 0x80000000, v5
	s_delay_alu instid0(VALU_DEP_2) | instskip(NEXT) | instid1(VALU_DEP_1)
	v_clz_i32_u32_e32 v8, v7
	v_min_u32_e32 v8, 32, v8
	s_delay_alu instid0(VALU_DEP_1) | instskip(SKIP_1) | instid1(VALU_DEP_2)
	v_subrev_nc_u32_e32 v9, 28, v8
	v_sub_nc_u32_e32 v8, 29, v8
	v_lshlrev_b32_e32 v9, v9, v6
	v_bfe_u32 v6, v6, 3, 4
	s_delay_alu instid0(VALU_DEP_2) | instskip(NEXT) | instid1(VALU_DEP_2)
	v_and_b32_e32 v9, 7, v9
	v_cmp_eq_u32_e32 vcc_lo, 0, v6
	s_delay_alu instid0(VALU_DEP_2) | instskip(NEXT) | instid1(VALU_DEP_1)
	v_dual_cndmask_b32 v6, v6, v8 :: v_dual_cndmask_b32 v7, v7, v9
	v_lshl_add_u32 v6, v6, 23, 0x3b800000
	s_delay_alu instid0(VALU_DEP_2) | instskip(NEXT) | instid1(VALU_DEP_1)
	v_lshlrev_b32_e32 v7, 20, v7
	v_or3_b32 v6, v5, v6, v7
.LBB159_1228:
	s_or_b32 exec_lo, exec_lo, s7
.LBB159_1229:
	s_mov_b32 s6, -1
.LBB159_1230:
	s_mov_b32 s7, 0
.LBB159_1231:
	s_delay_alu instid0(SALU_CYCLE_1)
	s_and_b32 vcc_lo, exec_lo, s7
	s_cbranch_vccz .LBB159_1264
; %bb.1232:
	v_cmp_lt_i16_e32 vcc_lo, 22, v4
	s_cbranch_vccz .LBB159_1242
; %bb.1233:
	v_cmp_gt_i16_e32 vcc_lo, 24, v4
	s_cbranch_vccnz .LBB159_1245
; %bb.1234:
	v_cmp_lt_i16_e32 vcc_lo, 24, v4
	s_cbranch_vccz .LBB159_1246
; %bb.1235:
	global_load_u8 v5, v[2:3], off
	s_mov_b32 s7, exec_lo
                                        ; implicit-def: $sgpr6
	s_waitcnt vmcnt(0)
	v_cmpx_lt_i16_e32 0x7f, v5
	s_xor_b32 s7, exec_lo, s7
	s_cbranch_execz .LBB159_1258
; %bb.1236:
	s_mov_b32 s3, -1
	s_mov_b32 s12, exec_lo
                                        ; implicit-def: $sgpr6
	v_cmpx_eq_u16_e32 0x80, v5
; %bb.1237:
	s_mov_b32 s6, 0x7f800001
	s_xor_b32 s3, exec_lo, -1
; %bb.1238:
	s_or_b32 exec_lo, exec_lo, s12
	s_delay_alu instid0(SALU_CYCLE_1)
	s_and_b32 s3, s3, exec_lo
	s_or_saveexec_b32 s7, s7
	v_mov_b32_e32 v6, s6
	s_xor_b32 exec_lo, exec_lo, s7
	s_cbranch_execnz .LBB159_1259
.LBB159_1239:
	s_or_b32 exec_lo, exec_lo, s7
	s_and_saveexec_b32 s6, s3
	s_cbranch_execz .LBB159_1241
.LBB159_1240:
	v_and_b32_e32 v6, 0xffff, v5
	v_lshlrev_b32_e32 v5, 24, v5
	s_delay_alu instid0(VALU_DEP_2) | instskip(NEXT) | instid1(VALU_DEP_2)
	v_and_b32_e32 v7, 3, v6
	v_and_b32_e32 v5, 0x80000000, v5
	s_delay_alu instid0(VALU_DEP_2) | instskip(NEXT) | instid1(VALU_DEP_1)
	v_clz_i32_u32_e32 v8, v7
	v_min_u32_e32 v8, 32, v8
	s_delay_alu instid0(VALU_DEP_1) | instskip(SKIP_1) | instid1(VALU_DEP_2)
	v_subrev_nc_u32_e32 v9, 29, v8
	v_sub_nc_u32_e32 v8, 30, v8
	v_lshlrev_b32_e32 v9, v9, v6
	v_bfe_u32 v6, v6, 2, 5
	s_delay_alu instid0(VALU_DEP_2) | instskip(NEXT) | instid1(VALU_DEP_2)
	v_and_b32_e32 v9, 3, v9
	v_cmp_eq_u32_e32 vcc_lo, 0, v6
	s_delay_alu instid0(VALU_DEP_2) | instskip(NEXT) | instid1(VALU_DEP_1)
	v_dual_cndmask_b32 v6, v6, v8 :: v_dual_cndmask_b32 v7, v7, v9
	v_lshl_add_u32 v6, v6, 23, 0x37800000
	s_delay_alu instid0(VALU_DEP_2) | instskip(NEXT) | instid1(VALU_DEP_1)
	v_lshlrev_b32_e32 v7, 21, v7
	v_or3_b32 v6, v5, v6, v7
.LBB159_1241:
	s_or_b32 exec_lo, exec_lo, s6
	s_mov_b32 s3, 0
	s_branch .LBB159_1247
.LBB159_1242:
	s_mov_b32 s3, -1
                                        ; implicit-def: $vgpr6
	s_branch .LBB159_1253
.LBB159_1243:
	s_or_saveexec_b32 s12, s12
	v_mov_b32_e32 v6, s7
	s_xor_b32 exec_lo, exec_lo, s12
	s_cbranch_execz .LBB159_1226
.LBB159_1244:
	v_cmp_ne_u16_e32 vcc_lo, 0, v5
	v_mov_b32_e32 v6, 0
	s_and_not1_b32 s6, s6, exec_lo
	s_and_b32 s7, vcc_lo, exec_lo
	s_delay_alu instid0(SALU_CYCLE_1)
	s_or_b32 s6, s6, s7
	s_or_b32 exec_lo, exec_lo, s12
	s_and_saveexec_b32 s7, s6
	s_cbranch_execnz .LBB159_1227
	s_branch .LBB159_1228
.LBB159_1245:
	s_mov_b32 s3, -1
                                        ; implicit-def: $vgpr6
	s_branch .LBB159_1250
.LBB159_1246:
	s_mov_b32 s3, -1
                                        ; implicit-def: $vgpr6
.LBB159_1247:
	s_delay_alu instid0(SALU_CYCLE_1)
	s_and_b32 vcc_lo, exec_lo, s3
	s_cbranch_vccz .LBB159_1249
; %bb.1248:
	global_load_u8 v5, v[2:3], off
	s_waitcnt vmcnt(0)
	v_lshlrev_b32_e32 v5, 24, v5
	s_delay_alu instid0(VALU_DEP_1) | instskip(NEXT) | instid1(VALU_DEP_1)
	v_and_b32_e32 v6, 0x7f000000, v5
	v_clz_i32_u32_e32 v7, v6
	v_add_nc_u32_e32 v9, 0x1000000, v6
	v_cmp_ne_u32_e32 vcc_lo, 0, v6
	s_delay_alu instid0(VALU_DEP_3) | instskip(NEXT) | instid1(VALU_DEP_1)
	v_min_u32_e32 v7, 32, v7
	v_sub_nc_u32_e64 v7, v7, 4 clamp
	s_delay_alu instid0(VALU_DEP_1) | instskip(SKIP_1) | instid1(VALU_DEP_2)
	v_lshlrev_b32_e32 v8, v7, v6
	v_lshlrev_b32_e32 v7, 23, v7
	v_lshrrev_b32_e32 v8, 4, v8
	s_delay_alu instid0(VALU_DEP_1) | instskip(SKIP_1) | instid1(VALU_DEP_2)
	v_sub_nc_u32_e32 v7, v8, v7
	v_ashrrev_i32_e32 v8, 8, v9
	v_add_nc_u32_e32 v7, 0x3c000000, v7
	s_delay_alu instid0(VALU_DEP_1) | instskip(NEXT) | instid1(VALU_DEP_1)
	v_and_or_b32 v7, 0x7f800000, v8, v7
	v_cndmask_b32_e32 v6, 0, v7, vcc_lo
	s_delay_alu instid0(VALU_DEP_1)
	v_and_or_b32 v6, 0x80000000, v5, v6
.LBB159_1249:
	s_mov_b32 s3, 0
.LBB159_1250:
	s_delay_alu instid0(SALU_CYCLE_1)
	s_and_not1_b32 vcc_lo, exec_lo, s3
	s_cbranch_vccnz .LBB159_1252
; %bb.1251:
	global_load_u8 v5, v[2:3], off
	s_waitcnt vmcnt(0)
	v_lshlrev_b32_e32 v6, 25, v5
	v_lshlrev_b16 v5, 8, v5
	s_delay_alu instid0(VALU_DEP_2) | instskip(NEXT) | instid1(VALU_DEP_2)
	v_lshrrev_b32_e32 v7, 4, v6
	v_and_or_b32 v8, 0x7f00, v5, 0.5
	v_bfe_i32 v5, v5, 0, 16
	s_delay_alu instid0(VALU_DEP_3) | instskip(NEXT) | instid1(VALU_DEP_1)
	v_or_b32_e32 v7, 0x70000000, v7
	v_dual_add_f32 v8, -0.5, v8 :: v_dual_mul_f32 v7, 0x7800000, v7
	v_cmp_gt_u32_e32 vcc_lo, 0x8000000, v6
	s_delay_alu instid0(VALU_DEP_2) | instskip(NEXT) | instid1(VALU_DEP_1)
	v_cndmask_b32_e32 v6, v7, v8, vcc_lo
	v_and_or_b32 v6, 0x80000000, v5, v6
.LBB159_1252:
	s_mov_b32 s3, 0
	s_mov_b32 s6, -1
.LBB159_1253:
	s_and_not1_b32 vcc_lo, exec_lo, s3
	s_mov_b32 s3, 0
	s_cbranch_vccnz .LBB159_1264
; %bb.1254:
	v_cmp_lt_i16_e32 vcc_lo, 14, v4
	s_cbranch_vccz .LBB159_1257
; %bb.1255:
	v_cmp_eq_u16_e32 vcc_lo, 15, v4
	s_cbranch_vccz .LBB159_1260
; %bb.1256:
	global_load_u16 v5, v[2:3], off
	s_mov_b32 s2, 0
	s_mov_b32 s6, -1
	s_waitcnt vmcnt(0)
	v_lshlrev_b32_e32 v6, 16, v5
	s_branch .LBB159_1262
.LBB159_1257:
	s_mov_b32 s3, -1
	s_branch .LBB159_1261
.LBB159_1258:
	s_or_saveexec_b32 s7, s7
	v_mov_b32_e32 v6, s6
	s_xor_b32 exec_lo, exec_lo, s7
	s_cbranch_execz .LBB159_1239
.LBB159_1259:
	v_cmp_ne_u16_e32 vcc_lo, 0, v5
	v_mov_b32_e32 v6, 0
	s_and_not1_b32 s3, s3, exec_lo
	s_and_b32 s6, vcc_lo, exec_lo
	s_delay_alu instid0(SALU_CYCLE_1)
	s_or_b32 s3, s3, s6
	s_or_b32 exec_lo, exec_lo, s7
	s_and_saveexec_b32 s6, s3
	s_cbranch_execnz .LBB159_1240
	s_branch .LBB159_1241
.LBB159_1260:
	s_mov_b32 s2, -1
.LBB159_1261:
                                        ; implicit-def: $vgpr6
.LBB159_1262:
	s_and_b32 vcc_lo, exec_lo, s3
	s_mov_b32 s3, 0
	s_cbranch_vccz .LBB159_1264
; %bb.1263:
	v_cmp_ne_u16_e32 vcc_lo, 11, v4
	s_and_not1_b32 s2, s2, exec_lo
	s_mov_b32 s3, -1
                                        ; implicit-def: $vgpr6
	s_and_b32 s7, vcc_lo, exec_lo
	s_delay_alu instid0(SALU_CYCLE_1)
	s_or_b32 s2, s2, s7
.LBB159_1264:
	s_mov_b32 s7, 0
.LBB159_1265:
	s_and_b32 s50, s6, exec_lo
	s_and_b32 s51, s7, exec_lo
	s_and_not1_b32 s6, s47, exec_lo
	s_and_b32 s7, s2, exec_lo
	s_and_b32 s2, s3, exec_lo
	s_or_b32 s52, s6, s7
.LBB159_1266:
	s_or_b32 exec_lo, exec_lo, s36
	s_delay_alu instid0(SALU_CYCLE_1)
	s_and_not1_b32 s6, s47, exec_lo
	s_and_b32 s7, s52, exec_lo
	s_and_b32 s50, s50, exec_lo
	;; [unrolled: 1-line block ×4, first 2 shown]
	s_or_b32 s47, s6, s7
.LBB159_1267:
	s_or_b32 exec_lo, exec_lo, s46
	s_delay_alu instid0(SALU_CYCLE_1)
	s_and_not1_b32 s6, s43, exec_lo
	s_and_b32 s7, s48, exec_lo
	s_and_not1_b32 s12, s44, exec_lo
	s_and_b32 s13, s49, exec_lo
	s_or_b32 s43, s6, s7
	s_and_not1_b32 s6, s42, exec_lo
	s_and_b32 s7, s47, exec_lo
	s_or_b32 s44, s12, s13
	s_and_b32 s46, s50, exec_lo
	s_and_b32 s3, s3, exec_lo
	;; [unrolled: 1-line block ×3, first 2 shown]
	s_or_b32 s42, s6, s7
.LBB159_1268:
	s_or_b32 exec_lo, exec_lo, s45
	s_delay_alu instid0(SALU_CYCLE_1)
	s_and_not1_b32 s6, s38, exec_lo
	s_and_b32 s7, s43, exec_lo
	s_and_not1_b32 s12, s39, exec_lo
	s_and_b32 s13, s44, exec_lo
	s_or_b32 s38, s6, s7
	s_and_b32 s44, s3, exec_lo
	s_and_not1_b32 s3, s40, exec_lo
	s_and_b32 s6, s42, exec_lo
	s_or_b32 s39, s12, s13
	s_and_b32 s43, s46, exec_lo
	s_and_b32 s42, s2, exec_lo
	s_or_b32 s40, s3, s6
.LBB159_1269:
	s_or_b32 exec_lo, exec_lo, s41
	s_mov_b32 s3, 0
	s_and_saveexec_b32 s2, s40
	s_cbranch_execnz .LBB159_1281
; %bb.1270:
	s_or_b32 exec_lo, exec_lo, s2
	s_and_saveexec_b32 s2, s42
	s_delay_alu instid0(SALU_CYCLE_1)
	s_xor_b32 s2, exec_lo, s2
	s_cbranch_execz .LBB159_1272
.LBB159_1271:
	s_waitcnt vmcnt(0)
	global_load_u8 v5, v[2:3], off
	s_or_b32 s43, s43, exec_lo
	s_waitcnt vmcnt(0)
	v_cmp_ne_u16_e32 vcc_lo, 0, v5
	v_cndmask_b32_e64 v6, 0, 1.0, vcc_lo
.LBB159_1272:
	s_or_b32 exec_lo, exec_lo, s2
	s_and_saveexec_b32 s2, s44
	s_cbranch_execz .LBB159_1320
; %bb.1273:
	s_waitcnt vmcnt(0)
	v_cmp_gt_i16_e32 vcc_lo, 5, v4
	s_cbranch_vccnz .LBB159_1278
; %bb.1274:
	v_cmp_gt_i16_e32 vcc_lo, 8, v4
	s_cbranch_vccnz .LBB159_1279
; %bb.1275:
	;; [unrolled: 3-line block ×3, first 2 shown]
	v_cmp_lt_i16_e32 vcc_lo, 9, v4
	s_cbranch_vccz .LBB159_1283
; %bb.1277:
	global_load_b64 v[5:6], v[2:3], off
	s_mov_b32 s6, 0
	s_waitcnt vmcnt(0)
	v_cvt_f32_f64_e32 v6, v[5:6]
	s_branch .LBB159_1284
.LBB159_1278:
                                        ; implicit-def: $vgpr6
	s_branch .LBB159_1301
.LBB159_1279:
                                        ; implicit-def: $vgpr6
	s_branch .LBB159_1290
.LBB159_1280:
	s_mov_b32 s6, -1
                                        ; implicit-def: $vgpr6
	s_branch .LBB159_1287
.LBB159_1281:
	s_cbranch_execnz .LBB159_1332
; %bb.1282:
	s_mov_b32 s3, exec_lo
	s_and_not1_b32 s42, s42, exec_lo
                                        ; implicit-def: $vgpr6
	s_or_b32 exec_lo, exec_lo, s2
	s_and_saveexec_b32 s2, s42
	s_delay_alu instid0(SALU_CYCLE_1)
	s_xor_b32 s2, exec_lo, s2
	s_cbranch_execnz .LBB159_1271
	s_branch .LBB159_1272
.LBB159_1283:
	s_mov_b32 s6, -1
                                        ; implicit-def: $vgpr6
.LBB159_1284:
	s_delay_alu instid0(SALU_CYCLE_1)
	s_and_not1_b32 vcc_lo, exec_lo, s6
	s_cbranch_vccnz .LBB159_1286
; %bb.1285:
	global_load_b32 v6, v[2:3], off
.LBB159_1286:
	s_mov_b32 s6, 0
.LBB159_1287:
	s_delay_alu instid0(SALU_CYCLE_1)
	s_and_not1_b32 vcc_lo, exec_lo, s6
	s_cbranch_vccnz .LBB159_1289
; %bb.1288:
	global_load_b32 v5, v[2:3], off
	s_waitcnt vmcnt(0)
	v_cvt_f32_f16_e32 v6, v5
.LBB159_1289:
	s_cbranch_execnz .LBB159_1300
.LBB159_1290:
	v_cmp_gt_i16_e32 vcc_lo, 6, v4
	s_cbranch_vccnz .LBB159_1293
; %bb.1291:
	v_cmp_lt_i16_e32 vcc_lo, 6, v4
	s_cbranch_vccz .LBB159_1294
; %bb.1292:
	global_load_b64 v[5:6], v[2:3], off
	s_mov_b32 s6, 0
	s_waitcnt vmcnt(0)
	v_cvt_f32_f64_e32 v6, v[5:6]
	s_branch .LBB159_1295
.LBB159_1293:
	s_mov_b32 s6, -1
                                        ; implicit-def: $vgpr6
	s_branch .LBB159_1298
.LBB159_1294:
	s_mov_b32 s6, -1
                                        ; implicit-def: $vgpr6
.LBB159_1295:
	s_delay_alu instid0(SALU_CYCLE_1)
	s_and_not1_b32 vcc_lo, exec_lo, s6
	s_cbranch_vccnz .LBB159_1297
; %bb.1296:
	global_load_b32 v6, v[2:3], off
.LBB159_1297:
	s_mov_b32 s6, 0
.LBB159_1298:
	s_delay_alu instid0(SALU_CYCLE_1)
	s_and_not1_b32 vcc_lo, exec_lo, s6
	s_cbranch_vccnz .LBB159_1300
; %bb.1299:
	global_load_u16 v5, v[2:3], off
	s_waitcnt vmcnt(0)
	v_cvt_f32_f16_e32 v6, v5
.LBB159_1300:
	s_cbranch_execnz .LBB159_1319
.LBB159_1301:
	v_cmp_gt_i16_e32 vcc_lo, 2, v4
	s_cbranch_vccnz .LBB159_1305
; %bb.1302:
	v_cmp_gt_i16_e32 vcc_lo, 3, v4
	s_cbranch_vccnz .LBB159_1306
; %bb.1303:
	v_cmp_lt_i16_e32 vcc_lo, 3, v4
	s_cbranch_vccz .LBB159_1307
; %bb.1304:
	global_load_b64 v[5:6], v[2:3], off
	s_mov_b32 s6, 0
	s_waitcnt vmcnt(0)
	v_xor_b32_e32 v7, v5, v6
	v_cls_i32_e32 v8, v6
	s_delay_alu instid0(VALU_DEP_2) | instskip(NEXT) | instid1(VALU_DEP_2)
	v_ashrrev_i32_e32 v7, 31, v7
	v_add_nc_u32_e32 v8, -1, v8
	s_delay_alu instid0(VALU_DEP_2) | instskip(NEXT) | instid1(VALU_DEP_1)
	v_add_nc_u32_e32 v7, 32, v7
	v_min_u32_e32 v7, v8, v7
	s_delay_alu instid0(VALU_DEP_1) | instskip(NEXT) | instid1(VALU_DEP_1)
	v_lshlrev_b64 v[5:6], v7, v[5:6]
	v_min_u32_e32 v5, 1, v5
	s_delay_alu instid0(VALU_DEP_1) | instskip(SKIP_1) | instid1(VALU_DEP_2)
	v_or_b32_e32 v5, v6, v5
	v_sub_nc_u32_e32 v6, 32, v7
	v_cvt_f32_i32_e32 v5, v5
	s_delay_alu instid0(VALU_DEP_1)
	v_ldexp_f32 v6, v5, v6
	s_branch .LBB159_1308
.LBB159_1305:
                                        ; implicit-def: $vgpr6
	s_branch .LBB159_1314
.LBB159_1306:
	s_mov_b32 s6, -1
                                        ; implicit-def: $vgpr6
	s_branch .LBB159_1311
.LBB159_1307:
	s_mov_b32 s6, -1
                                        ; implicit-def: $vgpr6
.LBB159_1308:
	s_delay_alu instid0(SALU_CYCLE_1)
	s_and_not1_b32 vcc_lo, exec_lo, s6
	s_cbranch_vccnz .LBB159_1310
; %bb.1309:
	global_load_b32 v5, v[2:3], off
	s_waitcnt vmcnt(0)
	v_cvt_f32_i32_e32 v6, v5
.LBB159_1310:
	s_mov_b32 s6, 0
.LBB159_1311:
	s_delay_alu instid0(SALU_CYCLE_1)
	s_and_not1_b32 vcc_lo, exec_lo, s6
	s_cbranch_vccnz .LBB159_1313
; %bb.1312:
	global_load_i16 v5, v[2:3], off
	s_waitcnt vmcnt(0)
	v_cvt_f32_i32_e32 v6, v5
.LBB159_1313:
	s_cbranch_execnz .LBB159_1319
.LBB159_1314:
	v_cmp_lt_i16_e32 vcc_lo, 0, v4
	s_mov_b32 s6, 0
	s_cbranch_vccz .LBB159_1316
; %bb.1315:
	global_load_i8 v4, v[2:3], off
	s_waitcnt vmcnt(0)
	v_cvt_f32_i32_e32 v6, v4
	s_branch .LBB159_1317
.LBB159_1316:
	s_mov_b32 s6, -1
                                        ; implicit-def: $vgpr6
.LBB159_1317:
	s_delay_alu instid0(SALU_CYCLE_1)
	s_and_not1_b32 vcc_lo, exec_lo, s6
	s_cbranch_vccnz .LBB159_1319
; %bb.1318:
	global_load_u8 v2, v[2:3], off
	s_waitcnt vmcnt(0)
	v_cvt_f32_ubyte0_e32 v6, v2
.LBB159_1319:
	s_or_b32 s43, s43, exec_lo
.LBB159_1320:
	s_or_b32 exec_lo, exec_lo, s2
	s_mov_b32 s6, 0
	s_mov_b32 s12, 0
	s_mov_b32 s7, 0
                                        ; implicit-def: $vgpr7
                                        ; implicit-def: $vgpr2_vgpr3
                                        ; implicit-def: $vgpr4
	s_and_saveexec_b32 s2, s43
	s_cbranch_execz .LBB159_1396
; %bb.1321:
	v_and_b32_e64 v7, 0xff, s31
	v_add_co_u32 v2, s6, s8, v1
	s_waitcnt vmcnt(0)
	v_add_co_ci_u32_e64 v3, null, s9, 0, s6
	s_delay_alu instid0(VALU_DEP_3)
	v_cmp_gt_i16_e32 vcc_lo, 11, v7
	s_cbranch_vccnz .LBB159_1328
; %bb.1322:
	v_cmp_lt_i16_e32 vcc_lo, 25, v7
	s_mov_b32 s8, 0
	s_cbranch_vccz .LBB159_1329
; %bb.1323:
	v_cmp_lt_i16_e32 vcc_lo, 28, v7
	s_cbranch_vccz .LBB159_1330
; %bb.1324:
	v_cmp_lt_i16_e32 vcc_lo, 43, v7
	;; [unrolled: 3-line block ×3, first 2 shown]
	s_cbranch_vccz .LBB159_1334
; %bb.1326:
	v_cmp_eq_u16_e32 vcc_lo, 46, v7
	s_mov_b32 s9, 0
	s_cbranch_vccz .LBB159_1335
; %bb.1327:
	global_load_b32 v1, v[2:3], off
	s_mov_b32 s6, 0
	s_mov_b32 s7, -1
	s_waitcnt vmcnt(0)
	v_lshlrev_b32_e32 v1, 16, v1
	s_delay_alu instid0(VALU_DEP_1) | instskip(NEXT) | instid1(VALU_DEP_1)
	v_trunc_f32_e32 v1, v1
	v_mul_f32_e64 v4, 0x2f800000, |v1|
	s_delay_alu instid0(VALU_DEP_1) | instskip(NEXT) | instid1(VALU_DEP_1)
	v_floor_f32_e32 v4, v4
	v_fma_f32 v4, 0xcf800000, v4, |v1|
	v_ashrrev_i32_e32 v1, 31, v1
	s_delay_alu instid0(VALU_DEP_2) | instskip(NEXT) | instid1(VALU_DEP_1)
	v_cvt_u32_f32_e32 v4, v4
	v_xor_b32_e32 v4, v4, v1
	s_delay_alu instid0(VALU_DEP_1)
	v_sub_nc_u32_e32 v4, v4, v1
	s_branch .LBB159_1337
.LBB159_1328:
	s_mov_b32 s9, -1
	s_mov_b32 s8, 0
	s_mov_b32 s6, s39
                                        ; implicit-def: $vgpr4
	s_branch .LBB159_1395
.LBB159_1329:
	s_mov_b32 s6, s39
                                        ; implicit-def: $vgpr4
	s_cbranch_execnz .LBB159_1364
	s_branch .LBB159_1394
.LBB159_1330:
	s_mov_b32 s9, -1
	s_mov_b32 s6, s39
                                        ; implicit-def: $vgpr4
	s_branch .LBB159_1347
.LBB159_1331:
	s_mov_b32 s9, -1
	s_mov_b32 s6, s39
                                        ; implicit-def: $vgpr4
	s_branch .LBB159_1342
.LBB159_1332:
	s_trap 2
	s_sendmsg_rtn_b32 s0, sendmsg(MSG_RTN_GET_DOORBELL)
	s_mov_b32 ttmp2, m0
	s_waitcnt lgkmcnt(0)
	s_and_b32 s0, s0, 0x3ff
	s_delay_alu instid0(SALU_CYCLE_1) | instskip(NEXT) | instid1(SALU_CYCLE_1)
	s_bitset1_b32 s0, 10
	s_mov_b32 m0, s0
	s_sendmsg sendmsg(MSG_INTERRUPT)
	s_mov_b32 m0, ttmp2
.LBB159_1333:                           ; =>This Inner Loop Header: Depth=1
	s_sethalt 5
	s_branch .LBB159_1333
.LBB159_1334:
	s_mov_b32 s9, -1
	s_mov_b32 s6, s39
	s_branch .LBB159_1336
.LBB159_1335:
	s_mov_b32 s6, -1
.LBB159_1336:
                                        ; implicit-def: $vgpr4
.LBB159_1337:
	s_and_b32 vcc_lo, exec_lo, s9
	s_cbranch_vccz .LBB159_1341
; %bb.1338:
	v_cmp_eq_u16_e32 vcc_lo, 44, v7
	s_cbranch_vccz .LBB159_1340
; %bb.1339:
	global_load_u8 v1, v[2:3], off
	s_mov_b32 s6, 0
	s_mov_b32 s7, -1
	s_waitcnt vmcnt(0)
	v_lshlrev_b32_e32 v4, 23, v1
	v_cmp_ne_u32_e32 vcc_lo, 0, v1
	s_delay_alu instid0(VALU_DEP_2) | instskip(NEXT) | instid1(VALU_DEP_1)
	v_trunc_f32_e32 v4, v4
	v_mul_f32_e64 v5, 0x2f800000, |v4|
	s_delay_alu instid0(VALU_DEP_1) | instskip(NEXT) | instid1(VALU_DEP_1)
	v_floor_f32_e32 v5, v5
	v_fma_f32 v5, 0xcf800000, v5, |v4|
	v_ashrrev_i32_e32 v4, 31, v4
	s_delay_alu instid0(VALU_DEP_2) | instskip(NEXT) | instid1(VALU_DEP_1)
	v_cvt_u32_f32_e32 v5, v5
	v_xor_b32_e32 v5, v5, v4
	s_delay_alu instid0(VALU_DEP_1) | instskip(NEXT) | instid1(VALU_DEP_1)
	v_sub_nc_u32_e32 v4, v5, v4
	v_cndmask_b32_e32 v4, 0, v4, vcc_lo
	s_branch .LBB159_1341
.LBB159_1340:
	s_mov_b32 s6, -1
                                        ; implicit-def: $vgpr4
.LBB159_1341:
	s_mov_b32 s9, 0
.LBB159_1342:
	s_delay_alu instid0(SALU_CYCLE_1)
	s_and_b32 vcc_lo, exec_lo, s9
	s_cbranch_vccz .LBB159_1346
; %bb.1343:
	v_cmp_eq_u16_e32 vcc_lo, 29, v7
	s_cbranch_vccz .LBB159_1345
; %bb.1344:
	global_load_b64 v[4:5], v[2:3], off
	s_mov_b32 s6, 0
	s_mov_b32 s7, -1
	s_branch .LBB159_1346
.LBB159_1345:
	s_mov_b32 s6, -1
                                        ; implicit-def: $vgpr4
.LBB159_1346:
	s_mov_b32 s9, 0
.LBB159_1347:
	s_delay_alu instid0(SALU_CYCLE_1)
	s_and_b32 vcc_lo, exec_lo, s9
	s_cbranch_vccz .LBB159_1363
; %bb.1348:
	v_cmp_gt_i16_e32 vcc_lo, 27, v7
	s_cbranch_vccnz .LBB159_1351
; %bb.1349:
	v_cmp_lt_i16_e32 vcc_lo, 27, v7
	s_cbranch_vccz .LBB159_1352
; %bb.1350:
	global_load_b32 v4, v[2:3], off
	s_mov_b32 s7, 0
	s_branch .LBB159_1353
.LBB159_1351:
	s_mov_b32 s7, -1
                                        ; implicit-def: $vgpr4
	s_branch .LBB159_1356
.LBB159_1352:
	s_mov_b32 s7, -1
                                        ; implicit-def: $vgpr4
.LBB159_1353:
	s_delay_alu instid0(SALU_CYCLE_1)
	s_and_not1_b32 vcc_lo, exec_lo, s7
	s_cbranch_vccnz .LBB159_1355
; %bb.1354:
	global_load_u16 v4, v[2:3], off
.LBB159_1355:
	s_mov_b32 s7, 0
.LBB159_1356:
	s_delay_alu instid0(SALU_CYCLE_1)
	s_and_not1_b32 vcc_lo, exec_lo, s7
	s_cbranch_vccnz .LBB159_1362
; %bb.1357:
	global_load_u8 v1, v[2:3], off
	s_mov_b32 s9, 0
	s_mov_b32 s7, exec_lo
                                        ; implicit-def: $sgpr12
	s_waitcnt vmcnt(0)
	v_cmpx_lt_i16_e32 0x7f, v1
	s_xor_b32 s7, exec_lo, s7
	s_cbranch_execz .LBB159_1373
; %bb.1358:
	v_cmp_ne_u16_e32 vcc_lo, 0x80, v1
	s_mov_b32 s12, 0
	s_and_b32 s9, vcc_lo, exec_lo
	s_or_saveexec_b32 s7, s7
	v_mov_b32_e32 v4, s12
	s_xor_b32 exec_lo, exec_lo, s7
	s_cbranch_execnz .LBB159_1374
.LBB159_1359:
	s_or_b32 exec_lo, exec_lo, s7
	s_and_saveexec_b32 s7, s9
	s_cbranch_execz .LBB159_1361
.LBB159_1360:
	v_and_b32_e32 v4, 0xffff, v1
	v_lshlrev_b32_e32 v1, 24, v1
	s_delay_alu instid0(VALU_DEP_2) | instskip(NEXT) | instid1(VALU_DEP_2)
	v_and_b32_e32 v5, 7, v4
	v_and_b32_e32 v1, 0x80000000, v1
	s_delay_alu instid0(VALU_DEP_2) | instskip(NEXT) | instid1(VALU_DEP_1)
	v_clz_i32_u32_e32 v8, v5
	v_min_u32_e32 v8, 32, v8
	s_delay_alu instid0(VALU_DEP_1) | instskip(SKIP_1) | instid1(VALU_DEP_2)
	v_subrev_nc_u32_e32 v9, 28, v8
	v_sub_nc_u32_e32 v8, 29, v8
	v_lshlrev_b32_e32 v9, v9, v4
	v_bfe_u32 v4, v4, 3, 4
	s_delay_alu instid0(VALU_DEP_1) | instskip(NEXT) | instid1(VALU_DEP_3)
	v_cmp_eq_u32_e32 vcc_lo, 0, v4
	v_dual_cndmask_b32 v4, v4, v8 :: v_dual_and_b32 v9, 7, v9
	s_delay_alu instid0(VALU_DEP_1) | instskip(NEXT) | instid1(VALU_DEP_2)
	v_cndmask_b32_e32 v5, v5, v9, vcc_lo
	v_lshl_add_u32 v4, v4, 23, 0x3b800000
	s_delay_alu instid0(VALU_DEP_2) | instskip(NEXT) | instid1(VALU_DEP_1)
	v_lshlrev_b32_e32 v5, 20, v5
	v_or3_b32 v1, v1, v4, v5
	s_delay_alu instid0(VALU_DEP_1) | instskip(NEXT) | instid1(VALU_DEP_1)
	v_trunc_f32_e32 v1, v1
	v_mul_f32_e64 v4, 0x2f800000, |v1|
	s_delay_alu instid0(VALU_DEP_1) | instskip(NEXT) | instid1(VALU_DEP_1)
	v_floor_f32_e32 v4, v4
	v_fma_f32 v4, 0xcf800000, v4, |v1|
	v_ashrrev_i32_e32 v1, 31, v1
	s_delay_alu instid0(VALU_DEP_2) | instskip(NEXT) | instid1(VALU_DEP_1)
	v_cvt_u32_f32_e32 v4, v4
	v_xor_b32_e32 v4, v4, v1
	s_delay_alu instid0(VALU_DEP_1)
	v_sub_nc_u32_e32 v4, v4, v1
.LBB159_1361:
	s_or_b32 exec_lo, exec_lo, s7
.LBB159_1362:
	s_mov_b32 s7, -1
.LBB159_1363:
	s_branch .LBB159_1394
.LBB159_1364:
	v_cmp_lt_i16_e32 vcc_lo, 22, v7
	s_cbranch_vccz .LBB159_1372
; %bb.1365:
	v_cmp_gt_i16_e32 vcc_lo, 24, v7
	s_cbranch_vccnz .LBB159_1375
; %bb.1366:
	v_cmp_lt_i16_e32 vcc_lo, 24, v7
	s_cbranch_vccz .LBB159_1376
; %bb.1367:
	global_load_u8 v1, v[2:3], off
	s_mov_b32 s7, exec_lo
                                        ; implicit-def: $sgpr9
	s_waitcnt vmcnt(0)
	v_cmpx_lt_i16_e32 0x7f, v1
	s_xor_b32 s7, exec_lo, s7
	s_cbranch_execz .LBB159_1388
; %bb.1368:
	v_cmp_ne_u16_e32 vcc_lo, 0x80, v1
	s_mov_b32 s9, 0
	s_and_b32 s8, vcc_lo, exec_lo
	s_or_saveexec_b32 s7, s7
	v_mov_b32_e32 v4, s9
	s_xor_b32 exec_lo, exec_lo, s7
	s_cbranch_execnz .LBB159_1389
.LBB159_1369:
	s_or_b32 exec_lo, exec_lo, s7
	s_and_saveexec_b32 s7, s8
	s_cbranch_execz .LBB159_1371
.LBB159_1370:
	v_and_b32_e32 v4, 0xffff, v1
	v_lshlrev_b32_e32 v1, 24, v1
	s_delay_alu instid0(VALU_DEP_2) | instskip(NEXT) | instid1(VALU_DEP_2)
	v_and_b32_e32 v5, 3, v4
	v_and_b32_e32 v1, 0x80000000, v1
	s_delay_alu instid0(VALU_DEP_2) | instskip(NEXT) | instid1(VALU_DEP_1)
	v_clz_i32_u32_e32 v8, v5
	v_min_u32_e32 v8, 32, v8
	s_delay_alu instid0(VALU_DEP_1) | instskip(SKIP_1) | instid1(VALU_DEP_2)
	v_subrev_nc_u32_e32 v9, 29, v8
	v_sub_nc_u32_e32 v8, 30, v8
	v_lshlrev_b32_e32 v9, v9, v4
	v_bfe_u32 v4, v4, 2, 5
	s_delay_alu instid0(VALU_DEP_1) | instskip(NEXT) | instid1(VALU_DEP_3)
	v_cmp_eq_u32_e32 vcc_lo, 0, v4
	v_dual_cndmask_b32 v4, v4, v8 :: v_dual_and_b32 v9, 3, v9
	s_delay_alu instid0(VALU_DEP_1) | instskip(NEXT) | instid1(VALU_DEP_2)
	v_cndmask_b32_e32 v5, v5, v9, vcc_lo
	v_lshl_add_u32 v4, v4, 23, 0x37800000
	s_delay_alu instid0(VALU_DEP_2) | instskip(NEXT) | instid1(VALU_DEP_1)
	v_lshlrev_b32_e32 v5, 21, v5
	v_or3_b32 v1, v1, v4, v5
	s_delay_alu instid0(VALU_DEP_1) | instskip(NEXT) | instid1(VALU_DEP_1)
	v_trunc_f32_e32 v1, v1
	v_mul_f32_e64 v4, 0x2f800000, |v1|
	s_delay_alu instid0(VALU_DEP_1) | instskip(NEXT) | instid1(VALU_DEP_1)
	v_floor_f32_e32 v4, v4
	v_fma_f32 v4, 0xcf800000, v4, |v1|
	v_ashrrev_i32_e32 v1, 31, v1
	s_delay_alu instid0(VALU_DEP_2) | instskip(NEXT) | instid1(VALU_DEP_1)
	v_cvt_u32_f32_e32 v4, v4
	v_xor_b32_e32 v4, v4, v1
	s_delay_alu instid0(VALU_DEP_1)
	v_sub_nc_u32_e32 v4, v4, v1
.LBB159_1371:
	s_or_b32 exec_lo, exec_lo, s7
	s_mov_b32 s7, 0
	s_branch .LBB159_1377
.LBB159_1372:
	s_mov_b32 s8, -1
                                        ; implicit-def: $vgpr4
	s_branch .LBB159_1383
.LBB159_1373:
	s_or_saveexec_b32 s7, s7
	v_mov_b32_e32 v4, s12
	s_xor_b32 exec_lo, exec_lo, s7
	s_cbranch_execz .LBB159_1359
.LBB159_1374:
	v_cmp_ne_u16_e32 vcc_lo, 0, v1
	v_mov_b32_e32 v4, 0
	s_and_not1_b32 s9, s9, exec_lo
	s_and_b32 s12, vcc_lo, exec_lo
	s_delay_alu instid0(SALU_CYCLE_1)
	s_or_b32 s9, s9, s12
	s_or_b32 exec_lo, exec_lo, s7
	s_and_saveexec_b32 s7, s9
	s_cbranch_execnz .LBB159_1360
	s_branch .LBB159_1361
.LBB159_1375:
	s_mov_b32 s7, -1
                                        ; implicit-def: $vgpr4
	s_branch .LBB159_1380
.LBB159_1376:
	s_mov_b32 s7, -1
                                        ; implicit-def: $vgpr4
.LBB159_1377:
	s_delay_alu instid0(SALU_CYCLE_1)
	s_and_b32 vcc_lo, exec_lo, s7
	s_cbranch_vccz .LBB159_1379
; %bb.1378:
	global_load_u8 v1, v[2:3], off
	s_waitcnt vmcnt(0)
	v_lshlrev_b32_e32 v1, 24, v1
	s_delay_alu instid0(VALU_DEP_1) | instskip(NEXT) | instid1(VALU_DEP_1)
	v_and_b32_e32 v4, 0x7f000000, v1
	v_clz_i32_u32_e32 v5, v4
	v_cmp_ne_u32_e32 vcc_lo, 0, v4
	v_add_nc_u32_e32 v9, 0x1000000, v4
	s_delay_alu instid0(VALU_DEP_3) | instskip(NEXT) | instid1(VALU_DEP_1)
	v_min_u32_e32 v5, 32, v5
	v_sub_nc_u32_e64 v5, v5, 4 clamp
	s_delay_alu instid0(VALU_DEP_1) | instskip(SKIP_1) | instid1(VALU_DEP_2)
	v_lshlrev_b32_e32 v8, v5, v4
	v_lshlrev_b32_e32 v5, 23, v5
	v_lshrrev_b32_e32 v8, 4, v8
	s_delay_alu instid0(VALU_DEP_1) | instskip(SKIP_1) | instid1(VALU_DEP_2)
	v_sub_nc_u32_e32 v5, v8, v5
	v_ashrrev_i32_e32 v8, 8, v9
	v_add_nc_u32_e32 v5, 0x3c000000, v5
	s_delay_alu instid0(VALU_DEP_1) | instskip(NEXT) | instid1(VALU_DEP_1)
	v_and_or_b32 v5, 0x7f800000, v8, v5
	v_cndmask_b32_e32 v4, 0, v5, vcc_lo
	s_delay_alu instid0(VALU_DEP_1) | instskip(NEXT) | instid1(VALU_DEP_1)
	v_and_or_b32 v1, 0x80000000, v1, v4
	v_trunc_f32_e32 v1, v1
	s_delay_alu instid0(VALU_DEP_1) | instskip(NEXT) | instid1(VALU_DEP_1)
	v_mul_f32_e64 v4, 0x2f800000, |v1|
	v_floor_f32_e32 v4, v4
	s_delay_alu instid0(VALU_DEP_1) | instskip(SKIP_1) | instid1(VALU_DEP_2)
	v_fma_f32 v4, 0xcf800000, v4, |v1|
	v_ashrrev_i32_e32 v1, 31, v1
	v_cvt_u32_f32_e32 v4, v4
	s_delay_alu instid0(VALU_DEP_1) | instskip(NEXT) | instid1(VALU_DEP_1)
	v_xor_b32_e32 v4, v4, v1
	v_sub_nc_u32_e32 v4, v4, v1
.LBB159_1379:
	s_mov_b32 s7, 0
.LBB159_1380:
	s_delay_alu instid0(SALU_CYCLE_1)
	s_and_not1_b32 vcc_lo, exec_lo, s7
	s_cbranch_vccnz .LBB159_1382
; %bb.1381:
	global_load_u8 v1, v[2:3], off
	s_waitcnt vmcnt(0)
	v_lshlrev_b32_e32 v4, 25, v1
	v_lshlrev_b16 v1, 8, v1
	s_delay_alu instid0(VALU_DEP_2) | instskip(NEXT) | instid1(VALU_DEP_2)
	v_lshrrev_b32_e32 v5, 4, v4
	v_and_or_b32 v8, 0x7f00, v1, 0.5
	v_cmp_gt_u32_e32 vcc_lo, 0x8000000, v4
	v_bfe_i32 v1, v1, 0, 16
	s_delay_alu instid0(VALU_DEP_4) | instskip(NEXT) | instid1(VALU_DEP_1)
	v_or_b32_e32 v5, 0x70000000, v5
	v_dual_add_f32 v8, -0.5, v8 :: v_dual_mul_f32 v5, 0x7800000, v5
	s_delay_alu instid0(VALU_DEP_1) | instskip(NEXT) | instid1(VALU_DEP_1)
	v_cndmask_b32_e32 v4, v5, v8, vcc_lo
	v_and_or_b32 v1, 0x80000000, v1, v4
	s_delay_alu instid0(VALU_DEP_1) | instskip(NEXT) | instid1(VALU_DEP_1)
	v_trunc_f32_e32 v1, v1
	v_mul_f32_e64 v4, 0x2f800000, |v1|
	s_delay_alu instid0(VALU_DEP_1) | instskip(NEXT) | instid1(VALU_DEP_1)
	v_floor_f32_e32 v4, v4
	v_fma_f32 v4, 0xcf800000, v4, |v1|
	v_ashrrev_i32_e32 v1, 31, v1
	s_delay_alu instid0(VALU_DEP_2) | instskip(NEXT) | instid1(VALU_DEP_1)
	v_cvt_u32_f32_e32 v4, v4
	v_xor_b32_e32 v4, v4, v1
	s_delay_alu instid0(VALU_DEP_1)
	v_sub_nc_u32_e32 v4, v4, v1
.LBB159_1382:
	s_mov_b32 s8, 0
	s_mov_b32 s7, -1
.LBB159_1383:
	s_and_not1_b32 vcc_lo, exec_lo, s8
	s_mov_b32 s8, 0
	s_cbranch_vccnz .LBB159_1394
; %bb.1384:
	v_cmp_lt_i16_e32 vcc_lo, 14, v7
	s_cbranch_vccz .LBB159_1387
; %bb.1385:
	v_cmp_eq_u16_e32 vcc_lo, 15, v7
	s_cbranch_vccz .LBB159_1390
; %bb.1386:
	global_load_u16 v1, v[2:3], off
	s_mov_b32 s6, 0
	s_mov_b32 s7, -1
	s_waitcnt vmcnt(0)
	v_lshlrev_b32_e32 v1, 16, v1
	s_delay_alu instid0(VALU_DEP_1) | instskip(NEXT) | instid1(VALU_DEP_1)
	v_trunc_f32_e32 v1, v1
	v_mul_f32_e64 v4, 0x2f800000, |v1|
	s_delay_alu instid0(VALU_DEP_1) | instskip(NEXT) | instid1(VALU_DEP_1)
	v_floor_f32_e32 v4, v4
	v_fma_f32 v4, 0xcf800000, v4, |v1|
	v_ashrrev_i32_e32 v1, 31, v1
	s_delay_alu instid0(VALU_DEP_2) | instskip(NEXT) | instid1(VALU_DEP_1)
	v_cvt_u32_f32_e32 v4, v4
	v_xor_b32_e32 v4, v4, v1
	s_delay_alu instid0(VALU_DEP_1)
	v_sub_nc_u32_e32 v4, v4, v1
	s_branch .LBB159_1392
.LBB159_1387:
	s_mov_b32 s8, -1
	s_branch .LBB159_1391
.LBB159_1388:
	s_or_saveexec_b32 s7, s7
	v_mov_b32_e32 v4, s9
	s_xor_b32 exec_lo, exec_lo, s7
	s_cbranch_execz .LBB159_1369
.LBB159_1389:
	v_cmp_ne_u16_e32 vcc_lo, 0, v1
	v_mov_b32_e32 v4, 0
	s_and_not1_b32 s8, s8, exec_lo
	s_and_b32 s9, vcc_lo, exec_lo
	s_delay_alu instid0(SALU_CYCLE_1)
	s_or_b32 s8, s8, s9
	s_or_b32 exec_lo, exec_lo, s7
	s_and_saveexec_b32 s7, s8
	s_cbranch_execnz .LBB159_1370
	s_branch .LBB159_1371
.LBB159_1390:
	s_mov_b32 s6, -1
.LBB159_1391:
                                        ; implicit-def: $vgpr4
.LBB159_1392:
	s_and_b32 vcc_lo, exec_lo, s8
	s_mov_b32 s8, 0
	s_cbranch_vccz .LBB159_1394
; %bb.1393:
	v_cmp_ne_u16_e32 vcc_lo, 11, v7
	s_and_not1_b32 s6, s6, exec_lo
	s_mov_b32 s8, -1
                                        ; implicit-def: $vgpr4
	s_and_b32 s9, vcc_lo, exec_lo
	s_delay_alu instid0(SALU_CYCLE_1)
	s_or_b32 s6, s6, s9
.LBB159_1394:
	s_mov_b32 s9, 0
.LBB159_1395:
	s_delay_alu instid0(SALU_CYCLE_1)
	s_and_b32 s12, s9, exec_lo
	s_and_not1_b32 s9, s39, exec_lo
	s_and_b32 s13, s6, exec_lo
	s_and_b32 s7, s7, exec_lo
	s_and_b32 s6, s8, exec_lo
	s_or_b32 s39, s9, s13
.LBB159_1396:
	s_or_b32 exec_lo, exec_lo, s2
	s_and_saveexec_b32 s2, s39
	s_cbranch_execnz .LBB159_1408
; %bb.1397:
	s_or_b32 exec_lo, exec_lo, s2
	s_and_saveexec_b32 s2, s6
	s_delay_alu instid0(SALU_CYCLE_1)
	s_xor_b32 s2, exec_lo, s2
	s_cbranch_execz .LBB159_1399
.LBB159_1398:
	s_waitcnt vmcnt(0)
	global_load_u8 v1, v[2:3], off
	s_or_b32 s7, s7, exec_lo
	s_waitcnt vmcnt(0)
	v_cmp_ne_u16_e32 vcc_lo, 0, v1
	v_cndmask_b32_e64 v4, 0, 1, vcc_lo
.LBB159_1399:
	s_or_b32 exec_lo, exec_lo, s2
	s_and_saveexec_b32 s2, s12
	s_cbranch_execz .LBB159_1447
; %bb.1400:
	v_cmp_gt_i16_e32 vcc_lo, 5, v7
	s_cbranch_vccnz .LBB159_1405
; %bb.1401:
	v_cmp_gt_i16_e32 vcc_lo, 8, v7
	s_cbranch_vccnz .LBB159_1406
	;; [unrolled: 3-line block ×3, first 2 shown]
; %bb.1403:
	v_cmp_lt_i16_e32 vcc_lo, 9, v7
	s_cbranch_vccz .LBB159_1410
; %bb.1404:
	s_waitcnt vmcnt(0)
	global_load_b64 v[4:5], v[2:3], off
	s_mov_b32 s6, 0
	s_waitcnt vmcnt(0)
	v_trunc_f64_e32 v[4:5], v[4:5]
	s_delay_alu instid0(VALU_DEP_1) | instskip(NEXT) | instid1(VALU_DEP_1)
	v_ldexp_f64 v[8:9], v[4:5], 0xffffffe0
	v_floor_f64_e32 v[8:9], v[8:9]
	s_delay_alu instid0(VALU_DEP_1) | instskip(NEXT) | instid1(VALU_DEP_1)
	v_fma_f64 v[4:5], 0xc1f00000, v[8:9], v[4:5]
	v_cvt_u32_f64_e32 v4, v[4:5]
	s_branch .LBB159_1411
.LBB159_1405:
                                        ; implicit-def: $vgpr4
	s_branch .LBB159_1428
.LBB159_1406:
                                        ; implicit-def: $vgpr4
	s_branch .LBB159_1417
.LBB159_1407:
	s_mov_b32 s6, -1
                                        ; implicit-def: $vgpr4
	s_branch .LBB159_1414
.LBB159_1408:
	s_cbranch_execnz .LBB159_1666
; %bb.1409:
	s_or_b32 s3, s3, exec_lo
	s_and_not1_b32 s6, s6, exec_lo
                                        ; implicit-def: $vgpr4
	s_or_b32 exec_lo, exec_lo, s2
	s_and_saveexec_b32 s2, s6
	s_delay_alu instid0(SALU_CYCLE_1)
	s_xor_b32 s2, exec_lo, s2
	s_cbranch_execnz .LBB159_1398
	s_branch .LBB159_1399
.LBB159_1410:
	s_mov_b32 s6, -1
                                        ; implicit-def: $vgpr4
.LBB159_1411:
	s_delay_alu instid0(SALU_CYCLE_1)
	s_and_not1_b32 vcc_lo, exec_lo, s6
	s_cbranch_vccnz .LBB159_1413
; %bb.1412:
	s_waitcnt vmcnt(0)
	global_load_b32 v1, v[2:3], off
	s_waitcnt vmcnt(0)
	v_trunc_f32_e32 v1, v1
	s_delay_alu instid0(VALU_DEP_1) | instskip(NEXT) | instid1(VALU_DEP_1)
	v_mul_f32_e64 v4, 0x2f800000, |v1|
	v_floor_f32_e32 v4, v4
	s_delay_alu instid0(VALU_DEP_1) | instskip(SKIP_1) | instid1(VALU_DEP_2)
	v_fma_f32 v4, 0xcf800000, v4, |v1|
	v_ashrrev_i32_e32 v1, 31, v1
	v_cvt_u32_f32_e32 v4, v4
	s_delay_alu instid0(VALU_DEP_1) | instskip(NEXT) | instid1(VALU_DEP_1)
	v_xor_b32_e32 v4, v4, v1
	v_sub_nc_u32_e32 v4, v4, v1
.LBB159_1413:
	s_mov_b32 s6, 0
.LBB159_1414:
	s_delay_alu instid0(SALU_CYCLE_1)
	s_and_not1_b32 vcc_lo, exec_lo, s6
	s_cbranch_vccnz .LBB159_1416
; %bb.1415:
	s_waitcnt vmcnt(0)
	global_load_b32 v1, v[2:3], off
	s_waitcnt vmcnt(0)
	v_cvt_f32_f16_e32 v1, v1
	s_delay_alu instid0(VALU_DEP_1)
	v_cvt_i32_f32_e32 v4, v1
.LBB159_1416:
	s_cbranch_execnz .LBB159_1427
.LBB159_1417:
	v_cmp_gt_i16_e32 vcc_lo, 6, v7
	s_cbranch_vccnz .LBB159_1420
; %bb.1418:
	v_cmp_lt_i16_e32 vcc_lo, 6, v7
	s_cbranch_vccz .LBB159_1421
; %bb.1419:
	s_waitcnt vmcnt(0)
	global_load_b64 v[4:5], v[2:3], off
	s_mov_b32 s6, 0
	s_waitcnt vmcnt(0)
	v_trunc_f64_e32 v[4:5], v[4:5]
	s_delay_alu instid0(VALU_DEP_1) | instskip(NEXT) | instid1(VALU_DEP_1)
	v_ldexp_f64 v[8:9], v[4:5], 0xffffffe0
	v_floor_f64_e32 v[8:9], v[8:9]
	s_delay_alu instid0(VALU_DEP_1) | instskip(NEXT) | instid1(VALU_DEP_1)
	v_fma_f64 v[4:5], 0xc1f00000, v[8:9], v[4:5]
	v_cvt_u32_f64_e32 v4, v[4:5]
	s_branch .LBB159_1422
.LBB159_1420:
	s_mov_b32 s6, -1
                                        ; implicit-def: $vgpr4
	s_branch .LBB159_1425
.LBB159_1421:
	s_mov_b32 s6, -1
                                        ; implicit-def: $vgpr4
.LBB159_1422:
	s_delay_alu instid0(SALU_CYCLE_1)
	s_and_not1_b32 vcc_lo, exec_lo, s6
	s_cbranch_vccnz .LBB159_1424
; %bb.1423:
	s_waitcnt vmcnt(0)
	global_load_b32 v1, v[2:3], off
	s_waitcnt vmcnt(0)
	v_trunc_f32_e32 v1, v1
	s_delay_alu instid0(VALU_DEP_1) | instskip(NEXT) | instid1(VALU_DEP_1)
	v_mul_f32_e64 v4, 0x2f800000, |v1|
	v_floor_f32_e32 v4, v4
	s_delay_alu instid0(VALU_DEP_1) | instskip(SKIP_1) | instid1(VALU_DEP_2)
	v_fma_f32 v4, 0xcf800000, v4, |v1|
	v_ashrrev_i32_e32 v1, 31, v1
	v_cvt_u32_f32_e32 v4, v4
	s_delay_alu instid0(VALU_DEP_1) | instskip(NEXT) | instid1(VALU_DEP_1)
	v_xor_b32_e32 v4, v4, v1
	v_sub_nc_u32_e32 v4, v4, v1
.LBB159_1424:
	s_mov_b32 s6, 0
.LBB159_1425:
	s_delay_alu instid0(SALU_CYCLE_1)
	s_and_not1_b32 vcc_lo, exec_lo, s6
	s_cbranch_vccnz .LBB159_1427
; %bb.1426:
	s_waitcnt vmcnt(0)
	global_load_u16 v1, v[2:3], off
	s_waitcnt vmcnt(0)
	v_cvt_f32_f16_e32 v1, v1
	s_delay_alu instid0(VALU_DEP_1)
	v_cvt_i32_f32_e32 v4, v1
.LBB159_1427:
	s_cbranch_execnz .LBB159_1446
.LBB159_1428:
	v_cmp_gt_i16_e32 vcc_lo, 2, v7
	s_cbranch_vccnz .LBB159_1432
; %bb.1429:
	v_cmp_gt_i16_e32 vcc_lo, 3, v7
	s_cbranch_vccnz .LBB159_1433
; %bb.1430:
	v_cmp_lt_i16_e32 vcc_lo, 3, v7
	s_cbranch_vccz .LBB159_1434
; %bb.1431:
	s_waitcnt vmcnt(0)
	global_load_b64 v[4:5], v[2:3], off
	s_mov_b32 s6, 0
	s_branch .LBB159_1435
.LBB159_1432:
                                        ; implicit-def: $vgpr4
	s_branch .LBB159_1441
.LBB159_1433:
	s_mov_b32 s6, -1
                                        ; implicit-def: $vgpr4
	s_branch .LBB159_1438
.LBB159_1434:
	s_mov_b32 s6, -1
                                        ; implicit-def: $vgpr4
.LBB159_1435:
	s_delay_alu instid0(SALU_CYCLE_1)
	s_and_not1_b32 vcc_lo, exec_lo, s6
	s_cbranch_vccnz .LBB159_1437
; %bb.1436:
	s_waitcnt vmcnt(0)
	global_load_b32 v4, v[2:3], off
.LBB159_1437:
	s_mov_b32 s6, 0
.LBB159_1438:
	s_delay_alu instid0(SALU_CYCLE_1)
	s_and_not1_b32 vcc_lo, exec_lo, s6
	s_cbranch_vccnz .LBB159_1440
; %bb.1439:
	s_waitcnt vmcnt(0)
	global_load_u16 v4, v[2:3], off
.LBB159_1440:
	s_cbranch_execnz .LBB159_1446
.LBB159_1441:
	v_cmp_lt_i16_e32 vcc_lo, 0, v7
	s_mov_b32 s6, 0
	s_cbranch_vccz .LBB159_1443
; %bb.1442:
	s_waitcnt vmcnt(0)
	global_load_u8 v4, v[2:3], off
	s_branch .LBB159_1444
.LBB159_1443:
	s_mov_b32 s6, -1
                                        ; implicit-def: $vgpr4
.LBB159_1444:
	s_delay_alu instid0(SALU_CYCLE_1)
	s_and_not1_b32 vcc_lo, exec_lo, s6
	s_cbranch_vccnz .LBB159_1446
; %bb.1445:
	s_waitcnt vmcnt(0)
	global_load_u8 v4, v[2:3], off
.LBB159_1446:
	s_or_b32 s7, s7, exec_lo
.LBB159_1447:
	s_or_b32 exec_lo, exec_lo, s2
	s_mov_b32 s2, 0
	s_mov_b32 s8, 0
                                        ; implicit-def: $vgpr5
                                        ; implicit-def: $vgpr1_vgpr2
                                        ; implicit-def: $vgpr3
	s_and_saveexec_b32 s6, s7
	s_cbranch_execz .LBB159_1524
; %bb.1448:
	s_waitcnt vmcnt(0)
	s_delay_alu instid0(VALU_DEP_1) | instskip(SKIP_2) | instid1(VALU_DEP_2)
	v_cvt_f32_ubyte0_e32 v1, v4
	v_and_b32_e64 v5, 0xff, s11
	s_mov_b32 s7, 0
	v_mul_f32_e32 v3, v6, v1
	s_delay_alu instid0(VALU_DEP_2) | instskip(SKIP_1) | instid1(VALU_DEP_1)
	v_cmp_gt_i16_e32 vcc_lo, 11, v5
	v_add_co_u32 v1, s2, s4, v0
	v_add_co_ci_u32_e64 v2, null, s5, 0, s2
	s_delay_alu instid0(VALU_DEP_4)
	v_mul_f32_e32 v3, s10, v3
	s_mov_b32 s4, -1
	s_mov_b32 s2, s38
	s_cbranch_vccnz .LBB159_1523
; %bb.1449:
	v_cmp_lt_i16_e32 vcc_lo, 25, v5
	s_mov_b32 s2, s38
	s_cbranch_vccz .LBB159_1482
; %bb.1450:
	v_cmp_lt_i16_e32 vcc_lo, 28, v5
	s_mov_b32 s2, s38
	s_cbranch_vccz .LBB159_1466
	;; [unrolled: 4-line block ×4, first 2 shown]
; %bb.1453:
	v_cmp_eq_u16_e32 vcc_lo, 46, v5
	s_mov_b32 s2, -1
	s_cbranch_vccz .LBB159_1455
; %bb.1454:
	v_bfe_u32 v0, v3, 16, 1
	v_cmp_o_f32_e32 vcc_lo, v3, v3
	s_mov_b32 s2, 0
	s_delay_alu instid0(VALU_DEP_2) | instskip(NEXT) | instid1(VALU_DEP_1)
	v_add3_u32 v0, v3, v0, 0x7fff
	v_lshrrev_b32_e32 v0, 16, v0
	s_delay_alu instid0(VALU_DEP_1)
	v_cndmask_b32_e32 v0, 0x7fc0, v0, vcc_lo
	global_store_b32 v[1:2], v0, off
.LBB159_1455:
	s_mov_b32 s4, 0
.LBB159_1456:
	s_delay_alu instid0(SALU_CYCLE_1)
	s_and_b32 vcc_lo, exec_lo, s4
	s_cbranch_vccz .LBB159_1461
; %bb.1457:
	v_cmp_eq_u16_e32 vcc_lo, 44, v5
	s_mov_b32 s2, -1
	s_cbranch_vccz .LBB159_1461
; %bb.1458:
	v_bfe_u32 v4, v3, 23, 8
	v_mov_b32_e32 v0, 0xff
	s_mov_b32 s4, exec_lo
	s_delay_alu instid0(VALU_DEP_2)
	v_cmpx_ne_u32_e32 0xff, v4
; %bb.1459:
	v_and_b32_e32 v0, 0x400000, v3
	v_and_or_b32 v4, 0x3fffff, v3, v4
	s_delay_alu instid0(VALU_DEP_2) | instskip(NEXT) | instid1(VALU_DEP_2)
	v_cmp_ne_u32_e32 vcc_lo, 0, v0
	v_cmp_ne_u32_e64 s2, 0, v4
	v_lshrrev_b32_e32 v0, 23, v3
	s_delay_alu instid0(VALU_DEP_2) | instskip(NEXT) | instid1(SALU_CYCLE_1)
	s_and_b32 s2, vcc_lo, s2
	v_cndmask_b32_e64 v4, 0, 1, s2
	s_delay_alu instid0(VALU_DEP_1)
	v_add_nc_u32_e32 v0, v0, v4
; %bb.1460:
	s_or_b32 exec_lo, exec_lo, s4
	s_mov_b32 s2, 0
	global_store_b8 v[1:2], v0, off
.LBB159_1461:
	s_mov_b32 s4, 0
.LBB159_1462:
	s_delay_alu instid0(SALU_CYCLE_1)
	s_and_b32 vcc_lo, exec_lo, s4
	s_cbranch_vccz .LBB159_1465
; %bb.1463:
	v_cmp_eq_u16_e32 vcc_lo, 29, v5
	s_mov_b32 s2, -1
	s_cbranch_vccz .LBB159_1465
; %bb.1464:
	v_trunc_f32_e32 v0, v3
	s_mov_b32 s2, 0
	s_delay_alu instid0(VALU_DEP_1) | instskip(NEXT) | instid1(VALU_DEP_1)
	v_mul_f32_e32 v4, 0x2f800000, v0
	v_floor_f32_e32 v4, v4
	s_delay_alu instid0(VALU_DEP_1) | instskip(SKIP_1) | instid1(VALU_DEP_2)
	v_fmamk_f32 v0, v4, 0xcf800000, v0
	v_cvt_u32_f32_e32 v7, v4
	v_cvt_u32_f32_e32 v6, v0
	global_store_b64 v[1:2], v[6:7], off
.LBB159_1465:
	s_mov_b32 s4, 0
.LBB159_1466:
	s_delay_alu instid0(SALU_CYCLE_1)
	s_and_b32 vcc_lo, exec_lo, s4
	s_cbranch_vccz .LBB159_1481
; %bb.1467:
	v_cmp_gt_i16_e32 vcc_lo, 27, v5
	s_mov_b32 s4, -1
	s_cbranch_vccnz .LBB159_1473
; %bb.1468:
	v_cmp_lt_i16_e32 vcc_lo, 27, v5
	v_cvt_u32_f32_e32 v0, v3
	s_cbranch_vccz .LBB159_1470
; %bb.1469:
	s_mov_b32 s4, 0
	global_store_b32 v[1:2], v0, off
.LBB159_1470:
	s_and_not1_b32 vcc_lo, exec_lo, s4
	s_cbranch_vccnz .LBB159_1472
; %bb.1471:
	global_store_b16 v[1:2], v0, off
.LBB159_1472:
	s_mov_b32 s4, 0
.LBB159_1473:
	s_delay_alu instid0(SALU_CYCLE_1)
	s_and_not1_b32 vcc_lo, exec_lo, s4
	s_cbranch_vccnz .LBB159_1481
; %bb.1474:
	v_and_b32_e32 v0, 0x7fffffff, v3
	v_mov_b32_e32 v4, 0x80
	s_mov_b32 s4, exec_lo
	s_delay_alu instid0(VALU_DEP_2)
	v_cmpx_gt_u32_e32 0x43800000, v0
	s_cbranch_execz .LBB159_1480
; %bb.1475:
	v_cmp_lt_u32_e32 vcc_lo, 0x3bffffff, v0
	s_mov_b32 s5, 0
                                        ; implicit-def: $vgpr0
	s_and_saveexec_b32 s7, vcc_lo
	s_delay_alu instid0(SALU_CYCLE_1)
	s_xor_b32 s7, exec_lo, s7
	s_cbranch_execz .LBB159_1758
; %bb.1476:
	v_bfe_u32 v0, v3, 20, 1
	s_mov_b32 s5, exec_lo
	s_delay_alu instid0(VALU_DEP_1) | instskip(NEXT) | instid1(VALU_DEP_1)
	v_add3_u32 v0, v3, v0, 0x487ffff
	v_lshrrev_b32_e32 v0, 20, v0
	s_or_saveexec_b32 s7, s7
                                        ; implicit-def: $sgpr8
	s_delay_alu instid0(SALU_CYCLE_1)
	s_xor_b32 exec_lo, exec_lo, s7
	s_cbranch_execnz .LBB159_1759
.LBB159_1477:
	s_or_b32 exec_lo, exec_lo, s7
	v_mov_b32_e32 v4, s8
	s_and_saveexec_b32 s7, s5
.LBB159_1478:
	v_lshrrev_b32_e32 v4, 24, v3
	s_delay_alu instid0(VALU_DEP_1)
	v_and_or_b32 v4, 0x80, v4, v0
.LBB159_1479:
	s_or_b32 exec_lo, exec_lo, s7
.LBB159_1480:
	s_delay_alu instid0(SALU_CYCLE_1)
	s_or_b32 exec_lo, exec_lo, s4
	global_store_b8 v[1:2], v4, off
.LBB159_1481:
	s_mov_b32 s4, 0
.LBB159_1482:
	s_delay_alu instid0(SALU_CYCLE_1)
	s_and_b32 vcc_lo, exec_lo, s4
	s_mov_b32 s4, 0
	s_cbranch_vccz .LBB159_1522
; %bb.1483:
	v_cmp_lt_i16_e32 vcc_lo, 22, v5
	s_mov_b32 s5, -1
	s_cbranch_vccz .LBB159_1515
; %bb.1484:
	v_cmp_gt_i16_e32 vcc_lo, 24, v5
	s_cbranch_vccnz .LBB159_1504
; %bb.1485:
	v_cmp_lt_i16_e32 vcc_lo, 24, v5
	s_cbranch_vccz .LBB159_1493
; %bb.1486:
	v_and_b32_e32 v0, 0x7fffffff, v3
	v_mov_b32_e32 v4, 0x80
	s_mov_b32 s5, exec_lo
	s_delay_alu instid0(VALU_DEP_2)
	v_cmpx_gt_u32_e32 0x47800000, v0
	s_cbranch_execz .LBB159_1492
; %bb.1487:
	v_cmp_lt_u32_e32 vcc_lo, 0x37ffffff, v0
	s_mov_b32 s7, 0
                                        ; implicit-def: $vgpr0
	s_and_saveexec_b32 s8, vcc_lo
	s_delay_alu instid0(SALU_CYCLE_1)
	s_xor_b32 s8, exec_lo, s8
	s_cbranch_execz .LBB159_1886
; %bb.1488:
	v_bfe_u32 v0, v3, 21, 1
	s_mov_b32 s7, exec_lo
	s_delay_alu instid0(VALU_DEP_1) | instskip(NEXT) | instid1(VALU_DEP_1)
	v_add3_u32 v0, v3, v0, 0x88fffff
	v_lshrrev_b32_e32 v0, 21, v0
	s_or_saveexec_b32 s8, s8
                                        ; implicit-def: $sgpr9
	s_delay_alu instid0(SALU_CYCLE_1)
	s_xor_b32 exec_lo, exec_lo, s8
	s_cbranch_execnz .LBB159_1887
.LBB159_1489:
	s_or_b32 exec_lo, exec_lo, s8
	v_mov_b32_e32 v4, s9
	s_and_saveexec_b32 s8, s7
.LBB159_1490:
	v_lshrrev_b32_e32 v4, 24, v3
	s_delay_alu instid0(VALU_DEP_1)
	v_and_or_b32 v4, 0x80, v4, v0
.LBB159_1491:
	s_or_b32 exec_lo, exec_lo, s8
.LBB159_1492:
	s_delay_alu instid0(SALU_CYCLE_1)
	s_or_b32 exec_lo, exec_lo, s5
	s_mov_b32 s5, 0
	global_store_b8 v[1:2], v4, off
.LBB159_1493:
	s_and_b32 vcc_lo, exec_lo, s5
	s_cbranch_vccz .LBB159_1503
; %bb.1494:
	v_and_b32_e32 v4, 0x7fffffff, v3
	s_mov_b32 s5, exec_lo
                                        ; implicit-def: $vgpr0
	s_delay_alu instid0(VALU_DEP_1)
	v_cmpx_gt_u32_e32 0x43f00000, v4
	s_xor_b32 s5, exec_lo, s5
	s_cbranch_execz .LBB159_1500
; %bb.1495:
	s_mov_b32 s7, exec_lo
                                        ; implicit-def: $vgpr0
	v_cmpx_lt_u32_e32 0x3c7fffff, v4
	s_xor_b32 s7, exec_lo, s7
; %bb.1496:
	v_bfe_u32 v0, v3, 20, 1
	s_delay_alu instid0(VALU_DEP_1) | instskip(NEXT) | instid1(VALU_DEP_1)
	v_add3_u32 v0, v3, v0, 0x407ffff
	v_and_b32_e32 v4, 0xff00000, v0
	v_lshrrev_b32_e32 v0, 20, v0
	s_delay_alu instid0(VALU_DEP_2) | instskip(NEXT) | instid1(VALU_DEP_2)
	v_cmp_ne_u32_e32 vcc_lo, 0x7f00000, v4
	v_cndmask_b32_e32 v0, 0x7e, v0, vcc_lo
; %bb.1497:
	s_and_not1_saveexec_b32 s7, s7
; %bb.1498:
	v_add_f32_e64 v0, 0x46800000, |v3|
; %bb.1499:
	s_or_b32 exec_lo, exec_lo, s7
                                        ; implicit-def: $vgpr4
.LBB159_1500:
	s_and_not1_saveexec_b32 s5, s5
; %bb.1501:
	v_mov_b32_e32 v0, 0x7f
	v_cmp_lt_u32_e32 vcc_lo, 0x7f800000, v4
	s_delay_alu instid0(VALU_DEP_2)
	v_cndmask_b32_e32 v0, 0x7e, v0, vcc_lo
; %bb.1502:
	s_or_b32 exec_lo, exec_lo, s5
	v_lshrrev_b32_e32 v4, 24, v3
	s_delay_alu instid0(VALU_DEP_1)
	v_and_or_b32 v0, 0x80, v4, v0
	global_store_b8 v[1:2], v0, off
.LBB159_1503:
	s_mov_b32 s5, 0
.LBB159_1504:
	s_delay_alu instid0(SALU_CYCLE_1)
	s_and_not1_b32 vcc_lo, exec_lo, s5
	s_cbranch_vccnz .LBB159_1514
; %bb.1505:
	v_and_b32_e32 v4, 0x7fffffff, v3
	s_mov_b32 s5, exec_lo
                                        ; implicit-def: $vgpr0
	s_delay_alu instid0(VALU_DEP_1)
	v_cmpx_gt_u32_e32 0x47800000, v4
	s_xor_b32 s5, exec_lo, s5
	s_cbranch_execz .LBB159_1511
; %bb.1506:
	s_mov_b32 s7, exec_lo
                                        ; implicit-def: $vgpr0
	v_cmpx_lt_u32_e32 0x387fffff, v4
	s_xor_b32 s7, exec_lo, s7
; %bb.1507:
	v_bfe_u32 v0, v3, 21, 1
	s_delay_alu instid0(VALU_DEP_1) | instskip(NEXT) | instid1(VALU_DEP_1)
	v_add3_u32 v0, v3, v0, 0x80fffff
	v_lshrrev_b32_e32 v0, 21, v0
; %bb.1508:
	s_and_not1_saveexec_b32 s7, s7
; %bb.1509:
	v_add_f32_e64 v0, 0x43000000, |v3|
; %bb.1510:
	s_or_b32 exec_lo, exec_lo, s7
                                        ; implicit-def: $vgpr4
.LBB159_1511:
	s_and_not1_saveexec_b32 s5, s5
; %bb.1512:
	v_mov_b32_e32 v0, 0x7f
	v_cmp_lt_u32_e32 vcc_lo, 0x7f800000, v4
	s_delay_alu instid0(VALU_DEP_2)
	v_cndmask_b32_e32 v0, 0x7c, v0, vcc_lo
; %bb.1513:
	s_or_b32 exec_lo, exec_lo, s5
	v_lshrrev_b32_e32 v4, 24, v3
	s_delay_alu instid0(VALU_DEP_1)
	v_and_or_b32 v0, 0x80, v4, v0
	global_store_b8 v[1:2], v0, off
.LBB159_1514:
	s_mov_b32 s5, 0
.LBB159_1515:
	s_delay_alu instid0(SALU_CYCLE_1)
	s_and_not1_b32 vcc_lo, exec_lo, s5
	s_mov_b32 s7, 0
	s_cbranch_vccnz .LBB159_1523
; %bb.1516:
	v_cmp_lt_i16_e32 vcc_lo, 14, v5
	s_mov_b32 s5, -1
	s_cbranch_vccz .LBB159_1520
; %bb.1517:
	v_cmp_eq_u16_e32 vcc_lo, 15, v5
	s_mov_b32 s2, -1
	s_cbranch_vccz .LBB159_1519
; %bb.1518:
	v_bfe_u32 v0, v3, 16, 1
	v_cmp_o_f32_e32 vcc_lo, v3, v3
	s_mov_b32 s2, 0
	s_delay_alu instid0(VALU_DEP_2) | instskip(NEXT) | instid1(VALU_DEP_1)
	v_add3_u32 v0, v3, v0, 0x7fff
	v_lshrrev_b32_e32 v0, 16, v0
	s_delay_alu instid0(VALU_DEP_1)
	v_cndmask_b32_e32 v0, 0x7fc0, v0, vcc_lo
	global_store_b16 v[1:2], v0, off
.LBB159_1519:
	s_mov_b32 s5, 0
.LBB159_1520:
	s_delay_alu instid0(SALU_CYCLE_1)
	s_and_b32 vcc_lo, exec_lo, s5
	s_cbranch_vccz .LBB159_1523
; %bb.1521:
	v_cmp_ne_u16_e32 vcc_lo, 11, v5
	s_and_not1_b32 s2, s2, exec_lo
	s_mov_b32 s7, -1
	s_and_b32 s5, vcc_lo, exec_lo
	s_delay_alu instid0(SALU_CYCLE_1)
	s_or_b32 s2, s2, s5
	s_branch .LBB159_1523
.LBB159_1522:
	s_mov_b32 s7, 0
.LBB159_1523:
	s_and_b32 s8, s4, exec_lo
	s_and_not1_b32 s4, s38, exec_lo
	s_and_b32 s5, s2, exec_lo
	s_and_b32 s2, s7, exec_lo
	s_or_b32 s38, s4, s5
.LBB159_1524:
	s_or_b32 exec_lo, exec_lo, s6
	s_and_saveexec_b32 s4, s38
	s_cbranch_execnz .LBB159_1626
; %bb.1525:
	s_or_b32 exec_lo, exec_lo, s4
	s_and_saveexec_b32 s4, s2
	s_delay_alu instid0(SALU_CYCLE_1)
	s_xor_b32 s2, exec_lo, s4
	s_cbranch_execz .LBB159_1527
.LBB159_1526:
	s_waitcnt vmcnt(0)
	v_cmp_neq_f32_e32 vcc_lo, 0, v3
	v_cndmask_b32_e64 v0, 0, 1, vcc_lo
	global_store_b8 v[1:2], v0, off
.LBB159_1527:
	s_or_b32 exec_lo, exec_lo, s2
	s_and_saveexec_b32 s2, s8
	s_delay_alu instid0(SALU_CYCLE_1)
	s_xor_b32 s2, exec_lo, s2
	s_cbranch_execz .LBB159_1565
; %bb.1528:
	s_waitcnt vmcnt(0)
	v_cmp_gt_i16_e32 vcc_lo, 5, v5
	s_mov_b32 s4, -1
	s_cbranch_vccnz .LBB159_1549
; %bb.1529:
	v_cmp_gt_i16_e32 vcc_lo, 8, v5
	s_cbranch_vccnz .LBB159_1539
; %bb.1530:
	v_cmp_gt_i16_e32 vcc_lo, 9, v5
	s_cbranch_vccnz .LBB159_1536
; %bb.1531:
	v_cmp_lt_i16_e32 vcc_lo, 9, v5
	s_cbranch_vccz .LBB159_1533
; %bb.1532:
	v_cvt_f64_f32_e32 v[6:7], v3
	v_mov_b32_e32 v8, 0
	s_mov_b32 s4, 0
	s_delay_alu instid0(VALU_DEP_1)
	v_mov_b32_e32 v9, v8
	global_store_b128 v[1:2], v[6:9], off
.LBB159_1533:
	s_and_not1_b32 vcc_lo, exec_lo, s4
	s_cbranch_vccnz .LBB159_1535
; %bb.1534:
	v_mov_b32_e32 v4, 0
	global_store_b64 v[1:2], v[3:4], off
.LBB159_1535:
	s_mov_b32 s4, 0
.LBB159_1536:
	s_delay_alu instid0(SALU_CYCLE_1)
	s_and_not1_b32 vcc_lo, exec_lo, s4
	s_cbranch_vccnz .LBB159_1538
; %bb.1537:
	v_cvt_f16_f32_e32 v0, v3
	s_delay_alu instid0(VALU_DEP_1)
	v_and_b32_e32 v0, 0xffff, v0
	global_store_b32 v[1:2], v0, off
.LBB159_1538:
	s_mov_b32 s4, 0
.LBB159_1539:
	s_delay_alu instid0(SALU_CYCLE_1)
	s_and_not1_b32 vcc_lo, exec_lo, s4
	s_cbranch_vccnz .LBB159_1548
; %bb.1540:
	v_cmp_gt_i16_e32 vcc_lo, 6, v5
	s_mov_b32 s4, -1
	s_cbranch_vccnz .LBB159_1546
; %bb.1541:
	v_cmp_lt_i16_e32 vcc_lo, 6, v5
	s_cbranch_vccz .LBB159_1543
; %bb.1542:
	v_cvt_f64_f32_e32 v[6:7], v3
	s_mov_b32 s4, 0
	global_store_b64 v[1:2], v[6:7], off
.LBB159_1543:
	s_and_not1_b32 vcc_lo, exec_lo, s4
	s_cbranch_vccnz .LBB159_1545
; %bb.1544:
	global_store_b32 v[1:2], v3, off
.LBB159_1545:
	s_mov_b32 s4, 0
.LBB159_1546:
	s_delay_alu instid0(SALU_CYCLE_1)
	s_and_not1_b32 vcc_lo, exec_lo, s4
	s_cbranch_vccnz .LBB159_1548
; %bb.1547:
	v_cvt_f16_f32_e32 v0, v3
	global_store_b16 v[1:2], v0, off
.LBB159_1548:
	s_mov_b32 s4, 0
.LBB159_1549:
	s_delay_alu instid0(SALU_CYCLE_1)
	s_and_not1_b32 vcc_lo, exec_lo, s4
	s_cbranch_vccnz .LBB159_1565
; %bb.1550:
	v_cmp_gt_i16_e32 vcc_lo, 2, v5
	s_mov_b32 s4, -1
	s_cbranch_vccnz .LBB159_1560
; %bb.1551:
	v_cmp_gt_i16_e32 vcc_lo, 3, v5
	s_cbranch_vccnz .LBB159_1557
; %bb.1552:
	v_cmp_lt_i16_e32 vcc_lo, 3, v5
	s_cbranch_vccz .LBB159_1554
; %bb.1553:
	v_trunc_f32_e32 v0, v3
	s_mov_b32 s4, 0
	s_delay_alu instid0(VALU_DEP_1) | instskip(NEXT) | instid1(VALU_DEP_1)
	v_mul_f32_e64 v4, 0x2f800000, |v0|
	v_floor_f32_e32 v4, v4
	s_delay_alu instid0(VALU_DEP_1) | instskip(SKIP_2) | instid1(VALU_DEP_3)
	v_fma_f32 v6, 0xcf800000, v4, |v0|
	v_ashrrev_i32_e32 v0, 31, v0
	v_cvt_u32_f32_e32 v4, v4
	v_cvt_u32_f32_e32 v6, v6
	s_delay_alu instid0(VALU_DEP_2) | instskip(NEXT) | instid1(VALU_DEP_2)
	v_xor_b32_e32 v4, v4, v0
	v_xor_b32_e32 v6, v6, v0
	s_delay_alu instid0(VALU_DEP_1) | instskip(NEXT) | instid1(VALU_DEP_3)
	v_sub_co_u32 v6, vcc_lo, v6, v0
	v_sub_co_ci_u32_e32 v7, vcc_lo, v4, v0, vcc_lo
	global_store_b64 v[1:2], v[6:7], off
.LBB159_1554:
	s_and_not1_b32 vcc_lo, exec_lo, s4
	s_cbranch_vccnz .LBB159_1556
; %bb.1555:
	v_cvt_i32_f32_e32 v0, v3
	global_store_b32 v[1:2], v0, off
.LBB159_1556:
	s_mov_b32 s4, 0
.LBB159_1557:
	s_delay_alu instid0(SALU_CYCLE_1)
	s_and_not1_b32 vcc_lo, exec_lo, s4
	s_cbranch_vccnz .LBB159_1559
; %bb.1558:
	v_cvt_i32_f32_e32 v0, v3
	global_store_b16 v[1:2], v0, off
.LBB159_1559:
	s_mov_b32 s4, 0
.LBB159_1560:
	s_delay_alu instid0(SALU_CYCLE_1)
	s_and_not1_b32 vcc_lo, exec_lo, s4
	s_cbranch_vccnz .LBB159_1565
; %bb.1561:
	v_cmp_lt_i16_e32 vcc_lo, 0, v5
	s_mov_b32 s4, -1
	s_cbranch_vccz .LBB159_1563
; %bb.1562:
	v_cvt_i32_f32_e32 v0, v3
	s_mov_b32 s4, 0
	global_store_b8 v[1:2], v0, off
.LBB159_1563:
	s_and_not1_b32 vcc_lo, exec_lo, s4
	s_cbranch_vccnz .LBB159_1565
; %bb.1564:
	v_trunc_f32_e32 v0, v3
	s_delay_alu instid0(VALU_DEP_1) | instskip(NEXT) | instid1(VALU_DEP_1)
	v_mul_f32_e64 v3, 0x2f800000, |v0|
	v_floor_f32_e32 v3, v3
	s_delay_alu instid0(VALU_DEP_1) | instskip(SKIP_1) | instid1(VALU_DEP_2)
	v_fma_f32 v3, 0xcf800000, v3, |v0|
	v_ashrrev_i32_e32 v0, 31, v0
	v_cvt_u32_f32_e32 v3, v3
	s_delay_alu instid0(VALU_DEP_1) | instskip(NEXT) | instid1(VALU_DEP_1)
	v_xor_b32_e32 v3, v3, v0
	v_sub_nc_u32_e32 v0, v3, v0
	global_store_b8 v[1:2], v0, off
.LBB159_1565:
	s_or_b32 exec_lo, exec_lo, s2
	s_delay_alu instid0(SALU_CYCLE_1)
	s_and_b32 s8, s3, exec_lo
                                        ; implicit-def: $vgpr12
                                        ; implicit-def: $vgpr7
.LBB159_1566:
	s_or_saveexec_b32 s9, s30
	s_mov_b32 s2, 0
                                        ; implicit-def: $vgpr0_vgpr1
                                        ; implicit-def: $sgpr3
                                        ; implicit-def: $vgpr2
	s_xor_b32 exec_lo, exec_lo, s9
	s_cbranch_execz .LBB159_3051
; %bb.1567:
	v_cndmask_b32_e64 v0, 0, 1, s29
	s_and_not1_b32 vcc_lo, exec_lo, s29
	s_cbranch_vccnz .LBB159_1573
; %bb.1568:
	s_waitcnt vmcnt(0)
	v_dual_mov_b32 v3, 0 :: v_dual_mov_b32 v6, 0
	v_mov_b32_e32 v5, 0
	s_cmp_lg_u32 s26, 0
	s_mov_b32 s4, 0
	s_cbranch_scc0 .LBB159_1574
; %bb.1569:
	s_min_u32 s5, s27, 15
	v_dual_mov_b32 v5, 0 :: v_dual_mov_b32 v6, 0
	s_add_i32 s2, s5, 1
	v_mov_b32_e32 v3, 0
	v_mov_b32_e32 v1, v7
	s_and_b32 s6, s2, 30
	s_add_u32 s2, s20, 0xffffffec
	s_addc_u32 s3, s21, -1
	s_set_inst_prefetch_distance 0x1
	.p2align	6
.LBB159_1570:                           ; =>This Inner Loop Header: Depth=1
	s_clause 0x2
	s_load_b128 s[12:15], s[2:3], 0x18
	s_load_b64 s[10:11], s[2:3], 0x28
	s_load_b128 s[16:19], s[2:3], 0xd8
	s_waitcnt lgkmcnt(0)
	v_mul_hi_u32 v2, s13, v1
	s_delay_alu instid0(VALU_DEP_1) | instskip(NEXT) | instid1(VALU_DEP_1)
	v_add_nc_u32_e32 v2, v1, v2
	v_lshrrev_b32_e32 v2, s14, v2
	s_delay_alu instid0(VALU_DEP_1)
	v_mul_hi_u32 v4, s10, v2
	v_mul_lo_u32 v8, v2, s12
	s_load_b64 s[12:13], s[2:3], 0xe8
	s_add_u32 s2, s2, 24
	s_addc_u32 s3, s3, 0
	s_add_i32 s6, s6, -2
	s_delay_alu instid0(SALU_CYCLE_1) | instskip(NEXT) | instid1(VALU_DEP_2)
	s_cmp_lg_u32 s6, 0
	v_add_nc_u32_e32 v4, v2, v4
	s_delay_alu instid0(VALU_DEP_2) | instskip(NEXT) | instid1(VALU_DEP_2)
	v_sub_nc_u32_e32 v8, v1, v8
	v_lshrrev_b32_e32 v1, s11, v4
	s_delay_alu instid0(VALU_DEP_2) | instskip(NEXT) | instid1(VALU_DEP_2)
	v_mul_lo_u32 v9, v8, s16
	v_mul_lo_u32 v4, v1, s15
	s_delay_alu instid0(VALU_DEP_1) | instskip(SKIP_2) | instid1(VALU_DEP_3)
	v_sub_nc_u32_e32 v2, v2, v4
	v_mul_lo_u32 v4, v8, s17
	v_mul_lo_u32 v8, v8, s18
	;; [unrolled: 1-line block ×3, first 2 shown]
	s_waitcnt lgkmcnt(0)
	v_mul_lo_u32 v11, v2, s12
	v_mul_lo_u32 v2, v2, s13
	s_delay_alu instid0(VALU_DEP_3) | instskip(NEXT) | instid1(VALU_DEP_3)
	v_add3_u32 v3, v9, v3, v10
	v_add3_u32 v6, v4, v6, v11
	s_delay_alu instid0(VALU_DEP_3)
	v_add3_u32 v5, v8, v5, v2
	s_cbranch_scc1 .LBB159_1570
; %bb.1571:
	s_set_inst_prefetch_distance 0x2
	s_bitcmp1_b32 s5, 0
	s_cselect_b32 s5, -1, 0
	s_delay_alu instid0(SALU_CYCLE_1)
	s_and_b32 vcc_lo, exec_lo, s5
	s_cbranch_vccnz .LBB159_1574
; %bb.1572:
	s_clause 0x3
	s_load_b64 s[6:7], s[2:3], 0x18
	s_load_b32 s5, s[2:3], 0x20
	s_load_b64 s[10:11], s[2:3], 0xd8
	s_load_b32 s2, s[2:3], 0xe0
	s_waitcnt lgkmcnt(0)
	v_mul_hi_u32 v2, s7, v1
	s_delay_alu instid0(VALU_DEP_1) | instskip(NEXT) | instid1(VALU_DEP_1)
	v_add_nc_u32_e32 v2, v1, v2
	v_lshrrev_b32_e32 v2, s5, v2
	s_delay_alu instid0(VALU_DEP_1) | instskip(NEXT) | instid1(VALU_DEP_1)
	v_mul_lo_u32 v2, v2, s6
	v_sub_nc_u32_e32 v4, v1, v2
	s_delay_alu instid0(VALU_DEP_1) | instskip(SKIP_2) | instid1(VALU_DEP_2)
	v_mad_u64_u32 v[1:2], null, v4, s10, v[3:4]
	v_mad_u64_u32 v[2:3], null, v4, s11, v[6:7]
	;; [unrolled: 1-line block ×3, first 2 shown]
	v_dual_mov_b32 v3, v1 :: v_dual_mov_b32 v6, v2
	s_delay_alu instid0(VALU_DEP_2)
	v_mov_b32_e32 v5, v8
	s_branch .LBB159_1574
.LBB159_1573:
	s_mov_b32 s4, -1
                                        ; implicit-def: $vgpr3
                                        ; implicit-def: $vgpr6
                                        ; implicit-def: $vgpr5
.LBB159_1574:
	s_delay_alu instid0(SALU_CYCLE_1)
	s_and_not1_b32 vcc_lo, exec_lo, s4
	s_cbranch_vccnz .LBB159_1577
; %bb.1575:
	s_clause 0x1
	s_load_b128 s[4:7], s[20:21], 0x4
	s_load_b128 s[12:15], s[20:21], 0xc4
	s_cmp_lt_u32 s26, 2
	s_waitcnt lgkmcnt(0)
	v_mul_hi_u32 v1, s5, v7
	s_delay_alu instid0(VALU_DEP_1) | instskip(NEXT) | instid1(VALU_DEP_1)
	v_add_nc_u32_e32 v1, v7, v1
	v_lshrrev_b32_e32 v1, s6, v1
	s_delay_alu instid0(VALU_DEP_1) | instskip(NEXT) | instid1(VALU_DEP_1)
	v_mul_lo_u32 v2, v1, s4
	v_sub_nc_u32_e32 v2, v7, v2
	s_waitcnt vmcnt(0)
	s_delay_alu instid0(VALU_DEP_1)
	v_mul_lo_u32 v3, v2, s12
	v_mul_lo_u32 v6, v2, s13
	v_mul_lo_u32 v5, v2, s14
	s_cbranch_scc1 .LBB159_1577
; %bb.1576:
	s_clause 0x1
	s_load_b128 s[4:7], s[20:21], 0x10
	s_load_b128 s[12:15], s[20:21], 0xd0
	s_waitcnt lgkmcnt(0)
	v_mul_hi_u32 v2, s5, v1
	s_delay_alu instid0(VALU_DEP_1) | instskip(NEXT) | instid1(VALU_DEP_1)
	v_add_nc_u32_e32 v2, v1, v2
	v_lshrrev_b32_e32 v2, s6, v2
	s_delay_alu instid0(VALU_DEP_1) | instskip(NEXT) | instid1(VALU_DEP_1)
	v_mul_lo_u32 v2, v2, s4
	v_sub_nc_u32_e32 v4, v1, v2
	s_delay_alu instid0(VALU_DEP_1) | instskip(SKIP_2) | instid1(VALU_DEP_2)
	v_mad_u64_u32 v[1:2], null, v4, s12, v[3:4]
	v_mad_u64_u32 v[2:3], null, v4, s13, v[6:7]
	;; [unrolled: 1-line block ×3, first 2 shown]
	v_dual_mov_b32 v3, v1 :: v_dual_mov_b32 v6, v2
	s_delay_alu instid0(VALU_DEP_2)
	v_mov_b32_e32 v5, v8
.LBB159_1577:
	v_cmp_ne_u32_e32 vcc_lo, 1, v0
	v_add_nc_u32_e32 v1, 0x80, v7
	s_cbranch_vccnz .LBB159_1583
; %bb.1578:
	v_dual_mov_b32 v2, 0 :: v_dual_mov_b32 v9, 0
	v_mov_b32_e32 v8, 0
	s_cmp_lg_u32 s26, 0
	s_mov_b32 s4, 0
	s_cbranch_scc0 .LBB159_1584
; %bb.1579:
	s_min_u32 s5, s27, 15
	v_dual_mov_b32 v8, 0 :: v_dual_mov_b32 v9, 0
	s_add_i32 s2, s5, 1
	v_mov_b32_e32 v2, 0
	s_waitcnt vmcnt(0)
	v_mov_b32_e32 v4, v1
	s_and_b32 s6, s2, 30
	s_add_u32 s2, s20, 0xffffffec
	s_addc_u32 s3, s21, -1
	s_set_inst_prefetch_distance 0x1
	.p2align	6
.LBB159_1580:                           ; =>This Inner Loop Header: Depth=1
	s_clause 0x2
	s_load_b128 s[12:15], s[2:3], 0x18
	s_load_b64 s[10:11], s[2:3], 0x28
	s_load_b128 s[16:19], s[2:3], 0xd8
	s_waitcnt lgkmcnt(0)
	v_mul_hi_u32 v10, s13, v4
	s_delay_alu instid0(VALU_DEP_1) | instskip(NEXT) | instid1(VALU_DEP_1)
	v_add_nc_u32_e32 v10, v4, v10
	v_lshrrev_b32_e32 v10, s14, v10
	s_delay_alu instid0(VALU_DEP_1)
	v_mul_hi_u32 v11, s10, v10
	v_mul_lo_u32 v13, v10, s12
	s_load_b64 s[12:13], s[2:3], 0xe8
	s_add_u32 s2, s2, 24
	s_addc_u32 s3, s3, 0
	s_add_i32 s6, s6, -2
	s_delay_alu instid0(SALU_CYCLE_1) | instskip(NEXT) | instid1(VALU_DEP_2)
	s_cmp_lg_u32 s6, 0
	v_add_nc_u32_e32 v11, v10, v11
	s_delay_alu instid0(VALU_DEP_2) | instskip(NEXT) | instid1(VALU_DEP_2)
	v_sub_nc_u32_e32 v13, v4, v13
	v_lshrrev_b32_e32 v4, s11, v11
	s_delay_alu instid0(VALU_DEP_2) | instskip(NEXT) | instid1(VALU_DEP_2)
	v_mul_lo_u32 v14, v13, s16
	v_mul_lo_u32 v11, v4, s15
	s_delay_alu instid0(VALU_DEP_1) | instskip(SKIP_2) | instid1(VALU_DEP_3)
	v_sub_nc_u32_e32 v10, v10, v11
	v_mul_lo_u32 v11, v13, s17
	v_mul_lo_u32 v13, v13, s18
	;; [unrolled: 1-line block ×3, first 2 shown]
	s_waitcnt lgkmcnt(0)
	v_mul_lo_u32 v16, v10, s12
	v_mul_lo_u32 v10, v10, s13
	s_delay_alu instid0(VALU_DEP_3) | instskip(NEXT) | instid1(VALU_DEP_3)
	v_add3_u32 v2, v14, v2, v15
	v_add3_u32 v9, v11, v9, v16
	s_delay_alu instid0(VALU_DEP_3)
	v_add3_u32 v8, v13, v8, v10
	s_cbranch_scc1 .LBB159_1580
; %bb.1581:
	s_set_inst_prefetch_distance 0x2
	s_bitcmp1_b32 s5, 0
	s_cselect_b32 s5, -1, 0
	s_delay_alu instid0(SALU_CYCLE_1)
	s_and_b32 vcc_lo, exec_lo, s5
	s_cbranch_vccnz .LBB159_1584
; %bb.1582:
	s_clause 0x3
	s_load_b64 s[6:7], s[2:3], 0x18
	s_load_b32 s5, s[2:3], 0x20
	s_load_b64 s[10:11], s[2:3], 0xd8
	s_load_b32 s2, s[2:3], 0xe0
	s_waitcnt lgkmcnt(0)
	v_mul_hi_u32 v10, s7, v4
	s_delay_alu instid0(VALU_DEP_1) | instskip(NEXT) | instid1(VALU_DEP_1)
	v_add_nc_u32_e32 v10, v4, v10
	v_lshrrev_b32_e32 v10, s5, v10
	s_delay_alu instid0(VALU_DEP_1) | instskip(NEXT) | instid1(VALU_DEP_1)
	v_mul_lo_u32 v10, v10, s6
	v_sub_nc_u32_e32 v4, v4, v10
	s_delay_alu instid0(VALU_DEP_1) | instskip(NEXT) | instid1(VALU_DEP_1)
	v_mad_u64_u32 v[10:11], null, v4, s10, v[2:3]
	v_mad_u64_u32 v[13:14], null, v4, s11, v[9:10]
	;; [unrolled: 1-line block ×3, first 2 shown]
	s_delay_alu instid0(VALU_DEP_2) | instskip(NEXT) | instid1(VALU_DEP_2)
	v_dual_mov_b32 v2, v10 :: v_dual_mov_b32 v9, v13
	v_mov_b32_e32 v8, v14
	s_branch .LBB159_1584
.LBB159_1583:
	s_mov_b32 s4, -1
                                        ; implicit-def: $vgpr2
                                        ; implicit-def: $vgpr9
                                        ; implicit-def: $vgpr8
.LBB159_1584:
	s_delay_alu instid0(SALU_CYCLE_1)
	s_and_not1_b32 vcc_lo, exec_lo, s4
	s_cbranch_vccnz .LBB159_1587
; %bb.1585:
	s_clause 0x1
	s_load_b128 s[4:7], s[20:21], 0x4
	s_load_b128 s[12:15], s[20:21], 0xc4
	s_cmp_lt_u32 s26, 2
	s_waitcnt lgkmcnt(0)
	v_mul_hi_u32 v2, s5, v1
	s_delay_alu instid0(VALU_DEP_1) | instskip(SKIP_1) | instid1(VALU_DEP_1)
	v_add_nc_u32_e32 v2, v1, v2
	s_waitcnt vmcnt(0)
	v_lshrrev_b32_e32 v4, s6, v2
	s_delay_alu instid0(VALU_DEP_1) | instskip(NEXT) | instid1(VALU_DEP_1)
	v_mul_lo_u32 v2, v4, s4
	v_sub_nc_u32_e32 v1, v1, v2
	s_delay_alu instid0(VALU_DEP_1)
	v_mul_lo_u32 v2, v1, s12
	v_mul_lo_u32 v9, v1, s13
	;; [unrolled: 1-line block ×3, first 2 shown]
	s_cbranch_scc1 .LBB159_1587
; %bb.1586:
	s_clause 0x1
	s_load_b128 s[4:7], s[20:21], 0x10
	s_load_b128 s[12:15], s[20:21], 0xd0
	s_waitcnt lgkmcnt(0)
	v_mul_hi_u32 v1, s5, v4
	s_delay_alu instid0(VALU_DEP_1) | instskip(NEXT) | instid1(VALU_DEP_1)
	v_add_nc_u32_e32 v1, v4, v1
	v_lshrrev_b32_e32 v1, s6, v1
	s_delay_alu instid0(VALU_DEP_1) | instskip(NEXT) | instid1(VALU_DEP_1)
	v_mul_lo_u32 v1, v1, s4
	v_sub_nc_u32_e32 v4, v4, v1
	s_delay_alu instid0(VALU_DEP_1) | instskip(SKIP_1) | instid1(VALU_DEP_2)
	v_mad_u64_u32 v[10:11], null, v4, s12, v[2:3]
	v_mad_u64_u32 v[13:14], null, v4, s14, v[8:9]
	;; [unrolled: 1-line block ×3, first 2 shown]
	v_mov_b32_e32 v2, v10
	s_delay_alu instid0(VALU_DEP_3) | instskip(NEXT) | instid1(VALU_DEP_3)
	v_mov_b32_e32 v8, v13
	v_mov_b32_e32 v9, v1
.LBB159_1587:
	v_cmp_ne_u32_e32 vcc_lo, 1, v0
	s_waitcnt vmcnt(0)
	v_add_nc_u32_e32 v4, 0x100, v7
	s_cbranch_vccnz .LBB159_1593
; %bb.1588:
	v_dual_mov_b32 v1, 0 :: v_dual_mov_b32 v10, 0
	v_mov_b32_e32 v11, 0
	s_cmp_lg_u32 s26, 0
	s_mov_b32 s4, 0
	s_cbranch_scc0 .LBB159_1594
; %bb.1589:
	s_min_u32 s5, s27, 15
	v_dual_mov_b32 v10, 0 :: v_dual_mov_b32 v11, 0
	s_add_i32 s2, s5, 1
	v_mov_b32_e32 v1, 0
	v_mov_b32_e32 v7, v4
	s_and_b32 s6, s2, 30
	s_add_u32 s2, s20, 0xffffffec
	s_addc_u32 s3, s21, -1
	s_set_inst_prefetch_distance 0x1
	.p2align	6
.LBB159_1590:                           ; =>This Inner Loop Header: Depth=1
	s_clause 0x2
	s_load_b128 s[12:15], s[2:3], 0x18
	s_load_b64 s[10:11], s[2:3], 0x28
	s_load_b128 s[16:19], s[2:3], 0xd8
	s_waitcnt lgkmcnt(0)
	v_mul_hi_u32 v13, s13, v7
	s_delay_alu instid0(VALU_DEP_1) | instskip(NEXT) | instid1(VALU_DEP_1)
	v_add_nc_u32_e32 v13, v7, v13
	v_lshrrev_b32_e32 v13, s14, v13
	s_delay_alu instid0(VALU_DEP_1)
	v_mul_hi_u32 v14, s10, v13
	v_mul_lo_u32 v15, v13, s12
	s_load_b64 s[12:13], s[2:3], 0xe8
	s_add_u32 s2, s2, 24
	s_addc_u32 s3, s3, 0
	s_add_i32 s6, s6, -2
	s_delay_alu instid0(SALU_CYCLE_1) | instskip(NEXT) | instid1(VALU_DEP_2)
	s_cmp_lg_u32 s6, 0
	v_add_nc_u32_e32 v14, v13, v14
	s_delay_alu instid0(VALU_DEP_2) | instskip(NEXT) | instid1(VALU_DEP_2)
	v_sub_nc_u32_e32 v15, v7, v15
	v_lshrrev_b32_e32 v7, s11, v14
	s_delay_alu instid0(VALU_DEP_2) | instskip(NEXT) | instid1(VALU_DEP_2)
	v_mul_lo_u32 v16, v15, s16
	v_mul_lo_u32 v14, v7, s15
	s_delay_alu instid0(VALU_DEP_1) | instskip(SKIP_2) | instid1(VALU_DEP_3)
	v_sub_nc_u32_e32 v13, v13, v14
	v_mul_lo_u32 v14, v15, s17
	v_mul_lo_u32 v15, v15, s18
	;; [unrolled: 1-line block ×3, first 2 shown]
	s_waitcnt lgkmcnt(0)
	v_mul_lo_u32 v18, v13, s12
	v_mul_lo_u32 v13, v13, s13
	s_delay_alu instid0(VALU_DEP_3) | instskip(NEXT) | instid1(VALU_DEP_3)
	v_add3_u32 v1, v16, v1, v17
	v_add3_u32 v11, v14, v11, v18
	s_delay_alu instid0(VALU_DEP_3)
	v_add3_u32 v10, v15, v10, v13
	s_cbranch_scc1 .LBB159_1590
; %bb.1591:
	s_set_inst_prefetch_distance 0x2
	s_bitcmp1_b32 s5, 0
	s_cselect_b32 s5, -1, 0
	s_delay_alu instid0(SALU_CYCLE_1)
	s_and_b32 vcc_lo, exec_lo, s5
	s_cbranch_vccnz .LBB159_1594
; %bb.1592:
	s_clause 0x3
	s_load_b64 s[6:7], s[2:3], 0x18
	s_load_b32 s5, s[2:3], 0x20
	s_load_b64 s[10:11], s[2:3], 0xd8
	s_load_b32 s2, s[2:3], 0xe0
	s_waitcnt lgkmcnt(0)
	v_mul_hi_u32 v13, s7, v7
	s_delay_alu instid0(VALU_DEP_1) | instskip(NEXT) | instid1(VALU_DEP_1)
	v_add_nc_u32_e32 v13, v7, v13
	v_lshrrev_b32_e32 v13, s5, v13
	s_delay_alu instid0(VALU_DEP_1) | instskip(NEXT) | instid1(VALU_DEP_1)
	v_mul_lo_u32 v13, v13, s6
	v_sub_nc_u32_e32 v7, v7, v13
	s_delay_alu instid0(VALU_DEP_1) | instskip(SKIP_2) | instid1(VALU_DEP_3)
	v_mad_u64_u32 v[13:14], null, v7, s10, v[1:2]
	v_mad_u64_u32 v[14:15], null, v7, s11, v[11:12]
	;; [unrolled: 1-line block ×3, first 2 shown]
	v_mov_b32_e32 v1, v13
	s_delay_alu instid0(VALU_DEP_2)
	v_dual_mov_b32 v11, v14 :: v_dual_mov_b32 v10, v15
	s_branch .LBB159_1594
.LBB159_1593:
	s_mov_b32 s4, -1
                                        ; implicit-def: $vgpr1
                                        ; implicit-def: $vgpr11
                                        ; implicit-def: $vgpr10
.LBB159_1594:
	s_delay_alu instid0(SALU_CYCLE_1)
	s_and_not1_b32 vcc_lo, exec_lo, s4
	s_cbranch_vccnz .LBB159_1597
; %bb.1595:
	s_clause 0x1
	s_load_b128 s[4:7], s[20:21], 0x4
	s_load_b128 s[12:15], s[20:21], 0xc4
	s_cmp_lt_u32 s26, 2
	s_waitcnt lgkmcnt(0)
	v_mul_hi_u32 v1, s5, v4
	s_delay_alu instid0(VALU_DEP_1) | instskip(NEXT) | instid1(VALU_DEP_1)
	v_add_nc_u32_e32 v1, v4, v1
	v_lshrrev_b32_e32 v7, s6, v1
	s_delay_alu instid0(VALU_DEP_1) | instskip(NEXT) | instid1(VALU_DEP_1)
	v_mul_lo_u32 v1, v7, s4
	v_sub_nc_u32_e32 v4, v4, v1
	s_delay_alu instid0(VALU_DEP_1)
	v_mul_lo_u32 v1, v4, s12
	v_mul_lo_u32 v11, v4, s13
	;; [unrolled: 1-line block ×3, first 2 shown]
	s_cbranch_scc1 .LBB159_1597
; %bb.1596:
	s_clause 0x1
	s_load_b128 s[4:7], s[20:21], 0x10
	s_load_b128 s[12:15], s[20:21], 0xd0
	s_waitcnt lgkmcnt(0)
	v_mul_hi_u32 v4, s5, v7
	s_delay_alu instid0(VALU_DEP_1) | instskip(NEXT) | instid1(VALU_DEP_1)
	v_add_nc_u32_e32 v4, v7, v4
	v_lshrrev_b32_e32 v4, s6, v4
	s_delay_alu instid0(VALU_DEP_1) | instskip(NEXT) | instid1(VALU_DEP_1)
	v_mul_lo_u32 v4, v4, s4
	v_sub_nc_u32_e32 v4, v7, v4
	s_delay_alu instid0(VALU_DEP_1) | instskip(SKIP_2) | instid1(VALU_DEP_3)
	v_mad_u64_u32 v[13:14], null, v4, s12, v[1:2]
	v_mad_u64_u32 v[14:15], null, v4, s13, v[11:12]
	;; [unrolled: 1-line block ×3, first 2 shown]
	v_mov_b32_e32 v1, v13
	s_delay_alu instid0(VALU_DEP_2)
	v_dual_mov_b32 v11, v14 :: v_dual_mov_b32 v10, v15
.LBB159_1597:
	v_cmp_ne_u32_e32 vcc_lo, 1, v0
	s_cbranch_vccnz .LBB159_1603
; %bb.1598:
	v_dual_mov_b32 v0, 0 :: v_dual_mov_b32 v7, 0
	v_mov_b32_e32 v4, 0
	s_cmp_lg_u32 s26, 0
	s_mov_b32 s4, 0
	s_cbranch_scc0 .LBB159_1604
; %bb.1599:
	s_min_u32 s5, s27, 15
	v_dual_mov_b32 v4, 0 :: v_dual_mov_b32 v7, 0
	s_add_i32 s2, s5, 1
	v_dual_mov_b32 v0, 0 :: v_dual_mov_b32 v13, v12
	s_and_b32 s6, s2, 30
	s_add_u32 s2, s20, 0xffffffec
	s_addc_u32 s3, s21, -1
	s_set_inst_prefetch_distance 0x1
	.p2align	6
.LBB159_1600:                           ; =>This Inner Loop Header: Depth=1
	s_clause 0x2
	s_load_b128 s[12:15], s[2:3], 0x18
	s_load_b64 s[10:11], s[2:3], 0x28
	s_load_b128 s[16:19], s[2:3], 0xd8
	s_waitcnt lgkmcnt(0)
	v_mul_hi_u32 v14, s13, v13
	s_delay_alu instid0(VALU_DEP_1) | instskip(NEXT) | instid1(VALU_DEP_1)
	v_add_nc_u32_e32 v14, v13, v14
	v_lshrrev_b32_e32 v14, s14, v14
	s_delay_alu instid0(VALU_DEP_1)
	v_mul_hi_u32 v15, s10, v14
	v_mul_lo_u32 v16, v14, s12
	s_load_b64 s[12:13], s[2:3], 0xe8
	s_add_u32 s2, s2, 24
	s_addc_u32 s3, s3, 0
	s_add_i32 s6, s6, -2
	s_delay_alu instid0(SALU_CYCLE_1) | instskip(NEXT) | instid1(VALU_DEP_2)
	s_cmp_lg_u32 s6, 0
	v_add_nc_u32_e32 v15, v14, v15
	s_delay_alu instid0(VALU_DEP_2) | instskip(NEXT) | instid1(VALU_DEP_2)
	v_sub_nc_u32_e32 v16, v13, v16
	v_lshrrev_b32_e32 v13, s11, v15
	s_delay_alu instid0(VALU_DEP_2) | instskip(NEXT) | instid1(VALU_DEP_2)
	v_mul_lo_u32 v17, v16, s16
	v_mul_lo_u32 v15, v13, s15
	s_delay_alu instid0(VALU_DEP_1) | instskip(SKIP_2) | instid1(VALU_DEP_3)
	v_sub_nc_u32_e32 v14, v14, v15
	v_mul_lo_u32 v15, v16, s17
	v_mul_lo_u32 v16, v16, s18
	;; [unrolled: 1-line block ×3, first 2 shown]
	s_waitcnt lgkmcnt(0)
	v_mul_lo_u32 v19, v14, s12
	v_mul_lo_u32 v14, v14, s13
	s_delay_alu instid0(VALU_DEP_3) | instskip(NEXT) | instid1(VALU_DEP_3)
	v_add3_u32 v0, v17, v0, v18
	v_add3_u32 v7, v15, v7, v19
	s_delay_alu instid0(VALU_DEP_3)
	v_add3_u32 v4, v16, v4, v14
	s_cbranch_scc1 .LBB159_1600
; %bb.1601:
	s_set_inst_prefetch_distance 0x2
	s_bitcmp1_b32 s5, 0
	s_cselect_b32 s5, -1, 0
	s_delay_alu instid0(SALU_CYCLE_1)
	s_and_b32 vcc_lo, exec_lo, s5
	s_cbranch_vccnz .LBB159_1604
; %bb.1602:
	s_clause 0x3
	s_load_b64 s[6:7], s[2:3], 0x18
	s_load_b32 s5, s[2:3], 0x20
	s_load_b64 s[10:11], s[2:3], 0xd8
	s_load_b32 s2, s[2:3], 0xe0
	s_waitcnt lgkmcnt(0)
	v_mul_hi_u32 v14, s7, v13
	s_delay_alu instid0(VALU_DEP_1) | instskip(NEXT) | instid1(VALU_DEP_1)
	v_add_nc_u32_e32 v14, v13, v14
	v_lshrrev_b32_e32 v14, s5, v14
	s_delay_alu instid0(VALU_DEP_1) | instskip(NEXT) | instid1(VALU_DEP_1)
	v_mul_lo_u32 v14, v14, s6
	v_sub_nc_u32_e32 v17, v13, v14
	s_delay_alu instid0(VALU_DEP_1) | instskip(SKIP_2) | instid1(VALU_DEP_2)
	v_mad_u64_u32 v[13:14], null, v17, s10, v[0:1]
	v_mad_u64_u32 v[14:15], null, v17, s11, v[7:8]
	;; [unrolled: 1-line block ×3, first 2 shown]
	v_dual_mov_b32 v0, v13 :: v_dual_mov_b32 v7, v14
	s_delay_alu instid0(VALU_DEP_2)
	v_mov_b32_e32 v4, v15
	s_branch .LBB159_1604
.LBB159_1603:
	s_mov_b32 s4, -1
                                        ; implicit-def: $vgpr0
                                        ; implicit-def: $vgpr7
                                        ; implicit-def: $vgpr4
.LBB159_1604:
	s_delay_alu instid0(SALU_CYCLE_1)
	s_and_not1_b32 vcc_lo, exec_lo, s4
	s_cbranch_vccnz .LBB159_1607
; %bb.1605:
	s_clause 0x1
	s_load_b128 s[4:7], s[20:21], 0x4
	s_load_b128 s[12:15], s[20:21], 0xc4
	s_cmp_lt_u32 s26, 2
	s_waitcnt lgkmcnt(0)
	v_mul_hi_u32 v0, s5, v12
	s_delay_alu instid0(VALU_DEP_1) | instskip(NEXT) | instid1(VALU_DEP_1)
	v_add_nc_u32_e32 v0, v12, v0
	v_lshrrev_b32_e32 v13, s6, v0
	s_delay_alu instid0(VALU_DEP_1) | instskip(NEXT) | instid1(VALU_DEP_1)
	v_mul_lo_u32 v0, v13, s4
	v_sub_nc_u32_e32 v4, v12, v0
	s_delay_alu instid0(VALU_DEP_1)
	v_mul_lo_u32 v0, v4, s12
	v_mul_lo_u32 v7, v4, s13
	;; [unrolled: 1-line block ×3, first 2 shown]
	s_cbranch_scc1 .LBB159_1607
; %bb.1606:
	s_clause 0x1
	s_load_b128 s[4:7], s[20:21], 0x10
	s_load_b128 s[12:15], s[20:21], 0xd0
	s_waitcnt lgkmcnt(0)
	v_mul_hi_u32 v12, s5, v13
	s_delay_alu instid0(VALU_DEP_1) | instskip(NEXT) | instid1(VALU_DEP_1)
	v_add_nc_u32_e32 v12, v13, v12
	v_lshrrev_b32_e32 v12, s6, v12
	s_delay_alu instid0(VALU_DEP_1) | instskip(NEXT) | instid1(VALU_DEP_1)
	v_mul_lo_u32 v12, v12, s4
	v_sub_nc_u32_e32 v16, v13, v12
	s_delay_alu instid0(VALU_DEP_1) | instskip(SKIP_2) | instid1(VALU_DEP_2)
	v_mad_u64_u32 v[12:13], null, v16, s12, v[0:1]
	v_mad_u64_u32 v[13:14], null, v16, s13, v[7:8]
	;; [unrolled: 1-line block ×3, first 2 shown]
	v_dual_mov_b32 v0, v12 :: v_dual_mov_b32 v7, v13
	s_delay_alu instid0(VALU_DEP_2)
	v_mov_b32_e32 v4, v14
.LBB159_1607:
	s_clause 0x1
	s_load_b32 s2, s[0:1], 0x1ac
	s_load_b128 s[4:7], s[20:21], 0x188
	s_mov_b32 s3, 0
	s_waitcnt lgkmcnt(0)
	s_lshr_b32 s0, s2, 8
	s_delay_alu instid0(SALU_CYCLE_1) | instskip(SKIP_1) | instid1(VALU_DEP_1)
	v_and_b32_e64 v16, 0xff, s0
	v_add_co_u32 v12, s0, s6, v6
	v_add_co_ci_u32_e64 v13, null, s7, 0, s0
	s_delay_alu instid0(VALU_DEP_3)
	v_cmp_gt_i16_e32 vcc_lo, 11, v16
	s_cbranch_vccnz .LBB159_1614
; %bb.1608:
	v_cmp_lt_i16_e32 vcc_lo, 25, v16
	s_mov_b32 s1, 0
	s_cbranch_vccz .LBB159_1620
; %bb.1609:
	v_cmp_lt_i16_e32 vcc_lo, 28, v16
	s_cbranch_vccz .LBB159_1622
; %bb.1610:
	v_cmp_lt_i16_e32 vcc_lo, 43, v16
	s_cbranch_vccz .LBB159_1624
; %bb.1611:
	v_cmp_lt_i16_e32 vcc_lo, 45, v16
	s_cbranch_vccz .LBB159_1628
; %bb.1612:
	v_cmp_eq_u16_e32 vcc_lo, 46, v16
	s_mov_b32 s10, 0
	s_cbranch_vccz .LBB159_1670
; %bb.1613:
	global_load_b32 v6, v[12:13], off
	s_mov_b32 s0, 0
	s_mov_b32 s3, -1
	s_waitcnt vmcnt(0)
	v_lshlrev_b32_e32 v14, 16, v6
	s_branch .LBB159_1672
.LBB159_1614:
	s_mov_b32 s10, s8
                                        ; implicit-def: $vgpr14
	s_cbranch_execz .LBB159_1735
; %bb.1615:
	v_cmp_gt_i16_e32 vcc_lo, 5, v16
	s_cbranch_vccnz .LBB159_1621
; %bb.1616:
	v_cmp_gt_i16_e32 vcc_lo, 8, v16
	s_cbranch_vccnz .LBB159_1623
	;; [unrolled: 3-line block ×3, first 2 shown]
; %bb.1618:
	v_cmp_lt_i16_e32 vcc_lo, 9, v16
	s_cbranch_vccz .LBB159_1629
; %bb.1619:
	global_load_b64 v[14:15], v[12:13], off
	s_mov_b32 s0, 0
	s_waitcnt vmcnt(0)
	v_cvt_f32_f64_e32 v14, v[14:15]
	s_branch .LBB159_1630
.LBB159_1620:
	s_mov_b32 s0, 0
                                        ; implicit-def: $vgpr14
	s_cbranch_execnz .LBB159_1700
	s_branch .LBB159_1731
.LBB159_1621:
                                        ; implicit-def: $vgpr14
	s_branch .LBB159_1647
.LBB159_1622:
	s_mov_b32 s10, -1
	s_mov_b32 s0, 0
                                        ; implicit-def: $vgpr14
	s_branch .LBB159_1681
.LBB159_1623:
                                        ; implicit-def: $vgpr14
	s_branch .LBB159_1636
.LBB159_1624:
	s_mov_b32 s0, 0
                                        ; implicit-def: $vgpr14
	s_cbranch_execnz .LBB159_1677
	s_branch .LBB159_1680
.LBB159_1625:
	s_mov_b32 s0, -1
                                        ; implicit-def: $vgpr14
	s_branch .LBB159_1633
.LBB159_1626:
	s_cbranch_execnz .LBB159_1668
; %bb.1627:
	s_or_b32 s3, s3, exec_lo
	s_and_not1_b32 s2, s2, exec_lo
	s_or_b32 exec_lo, exec_lo, s4
	s_and_saveexec_b32 s4, s2
	s_delay_alu instid0(SALU_CYCLE_1)
	s_xor_b32 s2, exec_lo, s4
	s_cbranch_execnz .LBB159_1526
	s_branch .LBB159_1527
.LBB159_1628:
	s_mov_b32 s10, -1
	s_mov_b32 s0, 0
	s_branch .LBB159_1671
.LBB159_1629:
	s_mov_b32 s0, -1
                                        ; implicit-def: $vgpr14
.LBB159_1630:
	s_delay_alu instid0(SALU_CYCLE_1)
	s_and_not1_b32 vcc_lo, exec_lo, s0
	s_cbranch_vccnz .LBB159_1632
; %bb.1631:
	global_load_b32 v14, v[12:13], off
.LBB159_1632:
	s_mov_b32 s0, 0
.LBB159_1633:
	s_delay_alu instid0(SALU_CYCLE_1)
	s_and_not1_b32 vcc_lo, exec_lo, s0
	s_cbranch_vccnz .LBB159_1635
; %bb.1634:
	global_load_b32 v6, v[12:13], off
	s_waitcnt vmcnt(0)
	v_cvt_f32_f16_e32 v14, v6
.LBB159_1635:
	s_cbranch_execnz .LBB159_1646
.LBB159_1636:
	v_cmp_gt_i16_e32 vcc_lo, 6, v16
	s_cbranch_vccnz .LBB159_1639
; %bb.1637:
	v_cmp_lt_i16_e32 vcc_lo, 6, v16
	s_cbranch_vccz .LBB159_1640
; %bb.1638:
	global_load_b64 v[14:15], v[12:13], off
	s_mov_b32 s0, 0
	s_waitcnt vmcnt(0)
	v_cvt_f32_f64_e32 v14, v[14:15]
	s_branch .LBB159_1641
.LBB159_1639:
	s_mov_b32 s0, -1
                                        ; implicit-def: $vgpr14
	s_branch .LBB159_1644
.LBB159_1640:
	s_mov_b32 s0, -1
                                        ; implicit-def: $vgpr14
.LBB159_1641:
	s_delay_alu instid0(SALU_CYCLE_1)
	s_and_not1_b32 vcc_lo, exec_lo, s0
	s_cbranch_vccnz .LBB159_1643
; %bb.1642:
	global_load_b32 v14, v[12:13], off
.LBB159_1643:
	s_mov_b32 s0, 0
.LBB159_1644:
	s_delay_alu instid0(SALU_CYCLE_1)
	s_and_not1_b32 vcc_lo, exec_lo, s0
	s_cbranch_vccnz .LBB159_1646
; %bb.1645:
	global_load_u16 v6, v[12:13], off
	s_waitcnt vmcnt(0)
	v_cvt_f32_f16_e32 v14, v6
.LBB159_1646:
	s_cbranch_execnz .LBB159_1665
.LBB159_1647:
	v_cmp_gt_i16_e32 vcc_lo, 2, v16
	s_cbranch_vccnz .LBB159_1651
; %bb.1648:
	v_cmp_gt_i16_e32 vcc_lo, 3, v16
	s_cbranch_vccnz .LBB159_1652
; %bb.1649:
	v_cmp_lt_i16_e32 vcc_lo, 3, v16
	s_cbranch_vccz .LBB159_1653
; %bb.1650:
	global_load_b64 v[14:15], v[12:13], off
	s_mov_b32 s0, 0
	s_waitcnt vmcnt(0)
	v_xor_b32_e32 v6, v14, v15
	v_cls_i32_e32 v17, v15
	s_delay_alu instid0(VALU_DEP_2) | instskip(NEXT) | instid1(VALU_DEP_2)
	v_ashrrev_i32_e32 v6, 31, v6
	v_add_nc_u32_e32 v17, -1, v17
	s_delay_alu instid0(VALU_DEP_2) | instskip(NEXT) | instid1(VALU_DEP_1)
	v_add_nc_u32_e32 v6, 32, v6
	v_min_u32_e32 v6, v17, v6
	s_delay_alu instid0(VALU_DEP_1) | instskip(SKIP_1) | instid1(VALU_DEP_2)
	v_lshlrev_b64 v[14:15], v6, v[14:15]
	v_sub_nc_u32_e32 v6, 32, v6
	v_min_u32_e32 v14, 1, v14
	s_delay_alu instid0(VALU_DEP_1) | instskip(NEXT) | instid1(VALU_DEP_1)
	v_or_b32_e32 v14, v15, v14
	v_cvt_f32_i32_e32 v14, v14
	s_delay_alu instid0(VALU_DEP_1)
	v_ldexp_f32 v14, v14, v6
	s_branch .LBB159_1654
.LBB159_1651:
                                        ; implicit-def: $vgpr14
	s_branch .LBB159_1660
.LBB159_1652:
	s_mov_b32 s0, -1
                                        ; implicit-def: $vgpr14
	s_branch .LBB159_1657
.LBB159_1653:
	s_mov_b32 s0, -1
                                        ; implicit-def: $vgpr14
.LBB159_1654:
	s_delay_alu instid0(SALU_CYCLE_1)
	s_and_not1_b32 vcc_lo, exec_lo, s0
	s_cbranch_vccnz .LBB159_1656
; %bb.1655:
	global_load_b32 v6, v[12:13], off
	s_waitcnt vmcnt(0)
	v_cvt_f32_i32_e32 v14, v6
.LBB159_1656:
	s_mov_b32 s0, 0
.LBB159_1657:
	s_delay_alu instid0(SALU_CYCLE_1)
	s_and_not1_b32 vcc_lo, exec_lo, s0
	s_cbranch_vccnz .LBB159_1659
; %bb.1658:
	global_load_i16 v6, v[12:13], off
	s_waitcnt vmcnt(0)
	v_cvt_f32_i32_e32 v14, v6
.LBB159_1659:
	s_cbranch_execnz .LBB159_1665
.LBB159_1660:
	v_cmp_lt_i16_e32 vcc_lo, 0, v16
	s_mov_b32 s0, 0
	s_cbranch_vccz .LBB159_1662
; %bb.1661:
	global_load_i8 v6, v[12:13], off
	s_waitcnt vmcnt(0)
	v_cvt_f32_i32_e32 v14, v6
	s_branch .LBB159_1663
.LBB159_1662:
	s_mov_b32 s0, -1
                                        ; implicit-def: $vgpr14
.LBB159_1663:
	s_delay_alu instid0(SALU_CYCLE_1)
	s_and_not1_b32 vcc_lo, exec_lo, s0
	s_cbranch_vccnz .LBB159_1665
; %bb.1664:
	global_load_u8 v6, v[12:13], off
	s_waitcnt vmcnt(0)
	v_cvt_f32_ubyte0_e32 v14, v6
.LBB159_1665:
	s_branch .LBB159_1736
.LBB159_1666:
	s_trap 2
	s_sendmsg_rtn_b32 s0, sendmsg(MSG_RTN_GET_DOORBELL)
	s_mov_b32 ttmp2, m0
	s_waitcnt lgkmcnt(0)
	s_and_b32 s0, s0, 0x3ff
	s_delay_alu instid0(SALU_CYCLE_1) | instskip(NEXT) | instid1(SALU_CYCLE_1)
	s_bitset1_b32 s0, 10
	s_mov_b32 m0, s0
	s_sendmsg sendmsg(MSG_INTERRUPT)
	s_mov_b32 m0, ttmp2
.LBB159_1667:                           ; =>This Inner Loop Header: Depth=1
	s_sethalt 5
	s_branch .LBB159_1667
.LBB159_1668:
	s_trap 2
	s_sendmsg_rtn_b32 s0, sendmsg(MSG_RTN_GET_DOORBELL)
	s_mov_b32 ttmp2, m0
	s_waitcnt lgkmcnt(0)
	s_and_b32 s0, s0, 0x3ff
	s_delay_alu instid0(SALU_CYCLE_1) | instskip(NEXT) | instid1(SALU_CYCLE_1)
	s_bitset1_b32 s0, 10
	s_mov_b32 m0, s0
	s_sendmsg sendmsg(MSG_INTERRUPT)
	s_mov_b32 m0, ttmp2
.LBB159_1669:                           ; =>This Inner Loop Header: Depth=1
	s_sethalt 5
	s_branch .LBB159_1669
.LBB159_1670:
	s_mov_b32 s0, -1
.LBB159_1671:
                                        ; implicit-def: $vgpr14
.LBB159_1672:
	s_and_b32 vcc_lo, exec_lo, s10
	s_cbranch_vccz .LBB159_1675
; %bb.1673:
	v_cmp_eq_u16_e32 vcc_lo, 44, v16
	s_cbranch_vccz .LBB159_1676
; %bb.1674:
	global_load_u8 v6, v[12:13], off
	s_mov_b32 s0, 0
	s_mov_b32 s3, -1
	s_waitcnt vmcnt(0)
	v_lshlrev_b32_e32 v14, 23, v6
	v_cmp_ne_u32_e32 vcc_lo, 0xff, v6
	s_delay_alu instid0(VALU_DEP_2) | instskip(SKIP_1) | instid1(VALU_DEP_2)
	v_cndmask_b32_e32 v14, 0x7f800001, v14, vcc_lo
	v_cmp_ne_u32_e32 vcc_lo, 0, v6
	v_cndmask_b32_e32 v14, 0x400000, v14, vcc_lo
.LBB159_1675:
	s_branch .LBB159_1680
.LBB159_1676:
	s_mov_b32 s0, -1
                                        ; implicit-def: $vgpr14
	s_branch .LBB159_1680
.LBB159_1677:
	v_cmp_eq_u16_e32 vcc_lo, 29, v16
	s_cbranch_vccz .LBB159_1679
; %bb.1678:
	global_load_b64 v[14:15], v[12:13], off
	s_mov_b32 s0, 0
	s_mov_b32 s3, -1
	s_mov_b32 s10, 0
	s_waitcnt vmcnt(0)
	v_clz_i32_u32_e32 v6, v15
	s_delay_alu instid0(VALU_DEP_1) | instskip(NEXT) | instid1(VALU_DEP_1)
	v_min_u32_e32 v6, 32, v6
	v_lshlrev_b64 v[14:15], v6, v[14:15]
	v_sub_nc_u32_e32 v6, 32, v6
	s_delay_alu instid0(VALU_DEP_2) | instskip(NEXT) | instid1(VALU_DEP_1)
	v_min_u32_e32 v14, 1, v14
	v_or_b32_e32 v14, v15, v14
	s_delay_alu instid0(VALU_DEP_1) | instskip(NEXT) | instid1(VALU_DEP_1)
	v_cvt_f32_u32_e32 v14, v14
	v_ldexp_f32 v14, v14, v6
	s_branch .LBB159_1681
.LBB159_1679:
	s_mov_b32 s0, -1
                                        ; implicit-def: $vgpr14
.LBB159_1680:
	s_mov_b32 s10, 0
.LBB159_1681:
	s_delay_alu instid0(SALU_CYCLE_1)
	s_and_b32 vcc_lo, exec_lo, s10
	s_cbranch_vccz .LBB159_1699
; %bb.1682:
	v_cmp_gt_i16_e32 vcc_lo, 27, v16
	s_cbranch_vccnz .LBB159_1685
; %bb.1683:
	v_cmp_lt_i16_e32 vcc_lo, 27, v16
	s_cbranch_vccz .LBB159_1686
; %bb.1684:
	global_load_b32 v6, v[12:13], off
	s_mov_b32 s3, 0
	s_waitcnt vmcnt(0)
	v_cvt_f32_u32_e32 v14, v6
	s_branch .LBB159_1687
.LBB159_1685:
	s_mov_b32 s3, -1
                                        ; implicit-def: $vgpr14
	s_branch .LBB159_1690
.LBB159_1686:
	s_mov_b32 s3, -1
                                        ; implicit-def: $vgpr14
.LBB159_1687:
	s_delay_alu instid0(SALU_CYCLE_1)
	s_and_not1_b32 vcc_lo, exec_lo, s3
	s_cbranch_vccnz .LBB159_1689
; %bb.1688:
	global_load_u16 v6, v[12:13], off
	s_waitcnt vmcnt(0)
	v_cvt_f32_u32_e32 v14, v6
.LBB159_1689:
	s_mov_b32 s3, 0
.LBB159_1690:
	s_delay_alu instid0(SALU_CYCLE_1)
	s_and_not1_b32 vcc_lo, exec_lo, s3
	s_cbranch_vccnz .LBB159_1698
; %bb.1691:
	global_load_u8 v6, v[12:13], off
	s_mov_b32 s3, 0
	s_mov_b32 s11, exec_lo
                                        ; implicit-def: $sgpr10
	s_waitcnt vmcnt(0)
	v_cmpx_lt_i16_e32 0x7f, v6
	s_xor_b32 s11, exec_lo, s11
	s_cbranch_execz .LBB159_1711
; %bb.1692:
	s_mov_b32 s3, -1
	s_mov_b32 s12, exec_lo
                                        ; implicit-def: $sgpr10
	v_cmpx_eq_u16_e32 0x80, v6
; %bb.1693:
	s_mov_b32 s10, 0x7f800001
	s_xor_b32 s3, exec_lo, -1
; %bb.1694:
	s_or_b32 exec_lo, exec_lo, s12
	s_delay_alu instid0(SALU_CYCLE_1)
	s_and_b32 s3, s3, exec_lo
	s_or_saveexec_b32 s11, s11
	v_mov_b32_e32 v14, s10
	s_xor_b32 exec_lo, exec_lo, s11
	s_cbranch_execnz .LBB159_1712
.LBB159_1695:
	s_or_b32 exec_lo, exec_lo, s11
	s_and_saveexec_b32 s10, s3
	s_cbranch_execz .LBB159_1697
.LBB159_1696:
	v_and_b32_e32 v14, 0xffff, v6
	v_lshlrev_b32_e32 v6, 24, v6
	s_delay_alu instid0(VALU_DEP_2) | instskip(NEXT) | instid1(VALU_DEP_2)
	v_and_b32_e32 v15, 7, v14
	v_and_b32_e32 v6, 0x80000000, v6
	s_delay_alu instid0(VALU_DEP_2) | instskip(NEXT) | instid1(VALU_DEP_1)
	v_clz_i32_u32_e32 v17, v15
	v_min_u32_e32 v17, 32, v17
	s_delay_alu instid0(VALU_DEP_1) | instskip(SKIP_1) | instid1(VALU_DEP_2)
	v_subrev_nc_u32_e32 v18, 28, v17
	v_sub_nc_u32_e32 v17, 29, v17
	v_lshlrev_b32_e32 v18, v18, v14
	v_bfe_u32 v14, v14, 3, 4
	s_delay_alu instid0(VALU_DEP_2) | instskip(NEXT) | instid1(VALU_DEP_2)
	v_and_b32_e32 v18, 7, v18
	v_cmp_eq_u32_e32 vcc_lo, 0, v14
	s_delay_alu instid0(VALU_DEP_2) | instskip(NEXT) | instid1(VALU_DEP_1)
	v_dual_cndmask_b32 v14, v14, v17 :: v_dual_cndmask_b32 v15, v15, v18
	v_lshl_add_u32 v14, v14, 23, 0x3b800000
	s_delay_alu instid0(VALU_DEP_2) | instskip(NEXT) | instid1(VALU_DEP_1)
	v_lshlrev_b32_e32 v15, 20, v15
	v_or3_b32 v14, v6, v14, v15
.LBB159_1697:
	s_or_b32 exec_lo, exec_lo, s10
.LBB159_1698:
	s_mov_b32 s3, -1
.LBB159_1699:
	s_branch .LBB159_1731
.LBB159_1700:
	v_cmp_lt_i16_e32 vcc_lo, 22, v16
	s_cbranch_vccz .LBB159_1710
; %bb.1701:
	v_cmp_gt_i16_e32 vcc_lo, 24, v16
	s_cbranch_vccnz .LBB159_1713
; %bb.1702:
	v_cmp_lt_i16_e32 vcc_lo, 24, v16
	s_cbranch_vccz .LBB159_1714
; %bb.1703:
	global_load_u8 v6, v[12:13], off
	s_mov_b32 s10, exec_lo
                                        ; implicit-def: $sgpr3
	s_waitcnt vmcnt(0)
	v_cmpx_lt_i16_e32 0x7f, v6
	s_xor_b32 s10, exec_lo, s10
	s_cbranch_execz .LBB159_1725
; %bb.1704:
	s_mov_b32 s1, -1
	s_mov_b32 s11, exec_lo
                                        ; implicit-def: $sgpr3
	v_cmpx_eq_u16_e32 0x80, v6
; %bb.1705:
	s_mov_b32 s3, 0x7f800001
	s_xor_b32 s1, exec_lo, -1
; %bb.1706:
	s_or_b32 exec_lo, exec_lo, s11
	s_delay_alu instid0(SALU_CYCLE_1)
	s_and_b32 s1, s1, exec_lo
	s_or_saveexec_b32 s10, s10
	v_mov_b32_e32 v14, s3
	s_xor_b32 exec_lo, exec_lo, s10
	s_cbranch_execnz .LBB159_1726
.LBB159_1707:
	s_or_b32 exec_lo, exec_lo, s10
	s_and_saveexec_b32 s3, s1
	s_cbranch_execz .LBB159_1709
.LBB159_1708:
	v_and_b32_e32 v14, 0xffff, v6
	v_lshlrev_b32_e32 v6, 24, v6
	s_delay_alu instid0(VALU_DEP_2) | instskip(NEXT) | instid1(VALU_DEP_2)
	v_and_b32_e32 v15, 3, v14
	v_and_b32_e32 v6, 0x80000000, v6
	s_delay_alu instid0(VALU_DEP_2) | instskip(NEXT) | instid1(VALU_DEP_1)
	v_clz_i32_u32_e32 v17, v15
	v_min_u32_e32 v17, 32, v17
	s_delay_alu instid0(VALU_DEP_1) | instskip(SKIP_1) | instid1(VALU_DEP_2)
	v_subrev_nc_u32_e32 v18, 29, v17
	v_sub_nc_u32_e32 v17, 30, v17
	v_lshlrev_b32_e32 v18, v18, v14
	v_bfe_u32 v14, v14, 2, 5
	s_delay_alu instid0(VALU_DEP_2) | instskip(NEXT) | instid1(VALU_DEP_2)
	v_and_b32_e32 v18, 3, v18
	v_cmp_eq_u32_e32 vcc_lo, 0, v14
	s_delay_alu instid0(VALU_DEP_2) | instskip(NEXT) | instid1(VALU_DEP_1)
	v_dual_cndmask_b32 v14, v14, v17 :: v_dual_cndmask_b32 v15, v15, v18
	v_lshl_add_u32 v14, v14, 23, 0x37800000
	s_delay_alu instid0(VALU_DEP_2) | instskip(NEXT) | instid1(VALU_DEP_1)
	v_lshlrev_b32_e32 v15, 21, v15
	v_or3_b32 v14, v6, v14, v15
.LBB159_1709:
	s_or_b32 exec_lo, exec_lo, s3
	s_mov_b32 s1, 0
	s_branch .LBB159_1715
.LBB159_1710:
                                        ; implicit-def: $vgpr14
	s_mov_b32 s1, 0
	s_branch .LBB159_1721
.LBB159_1711:
	s_or_saveexec_b32 s11, s11
	v_mov_b32_e32 v14, s10
	s_xor_b32 exec_lo, exec_lo, s11
	s_cbranch_execz .LBB159_1695
.LBB159_1712:
	v_cmp_ne_u16_e32 vcc_lo, 0, v6
	v_mov_b32_e32 v14, 0
	s_and_not1_b32 s3, s3, exec_lo
	s_and_b32 s10, vcc_lo, exec_lo
	s_delay_alu instid0(SALU_CYCLE_1)
	s_or_b32 s3, s3, s10
	s_or_b32 exec_lo, exec_lo, s11
	s_and_saveexec_b32 s10, s3
	s_cbranch_execnz .LBB159_1696
	s_branch .LBB159_1697
.LBB159_1713:
	s_mov_b32 s1, -1
                                        ; implicit-def: $vgpr14
	s_branch .LBB159_1718
.LBB159_1714:
	s_mov_b32 s1, -1
                                        ; implicit-def: $vgpr14
.LBB159_1715:
	s_delay_alu instid0(SALU_CYCLE_1)
	s_and_b32 vcc_lo, exec_lo, s1
	s_cbranch_vccz .LBB159_1717
; %bb.1716:
	global_load_u8 v6, v[12:13], off
	s_waitcnt vmcnt(0)
	v_lshlrev_b32_e32 v6, 24, v6
	s_delay_alu instid0(VALU_DEP_1) | instskip(NEXT) | instid1(VALU_DEP_1)
	v_and_b32_e32 v14, 0x7f000000, v6
	v_clz_i32_u32_e32 v15, v14
	v_cmp_ne_u32_e32 vcc_lo, 0, v14
	v_add_nc_u32_e32 v18, 0x1000000, v14
	s_delay_alu instid0(VALU_DEP_3) | instskip(NEXT) | instid1(VALU_DEP_1)
	v_min_u32_e32 v15, 32, v15
	v_sub_nc_u32_e64 v15, v15, 4 clamp
	s_delay_alu instid0(VALU_DEP_1) | instskip(SKIP_1) | instid1(VALU_DEP_2)
	v_lshlrev_b32_e32 v17, v15, v14
	v_lshlrev_b32_e32 v15, 23, v15
	v_lshrrev_b32_e32 v17, 4, v17
	s_delay_alu instid0(VALU_DEP_1) | instskip(SKIP_1) | instid1(VALU_DEP_2)
	v_sub_nc_u32_e32 v15, v17, v15
	v_ashrrev_i32_e32 v17, 8, v18
	v_add_nc_u32_e32 v15, 0x3c000000, v15
	s_delay_alu instid0(VALU_DEP_1) | instskip(NEXT) | instid1(VALU_DEP_1)
	v_and_or_b32 v15, 0x7f800000, v17, v15
	v_cndmask_b32_e32 v14, 0, v15, vcc_lo
	s_delay_alu instid0(VALU_DEP_1)
	v_and_or_b32 v14, 0x80000000, v6, v14
.LBB159_1717:
	s_mov_b32 s1, 0
.LBB159_1718:
	s_delay_alu instid0(SALU_CYCLE_1)
	s_and_not1_b32 vcc_lo, exec_lo, s1
	s_cbranch_vccnz .LBB159_1720
; %bb.1719:
	global_load_u8 v6, v[12:13], off
	s_waitcnt vmcnt(0)
	v_lshlrev_b32_e32 v14, 25, v6
	v_lshlrev_b16 v6, 8, v6
	s_delay_alu instid0(VALU_DEP_1) | instskip(SKIP_1) | instid1(VALU_DEP_2)
	v_and_or_b32 v17, 0x7f00, v6, 0.5
	v_bfe_i32 v6, v6, 0, 16
	v_add_f32_e32 v17, -0.5, v17
	v_lshrrev_b32_e32 v15, 4, v14
	v_cmp_gt_u32_e32 vcc_lo, 0x8000000, v14
	s_delay_alu instid0(VALU_DEP_2) | instskip(NEXT) | instid1(VALU_DEP_1)
	v_or_b32_e32 v15, 0x70000000, v15
	v_mul_f32_e32 v15, 0x7800000, v15
	s_delay_alu instid0(VALU_DEP_1) | instskip(NEXT) | instid1(VALU_DEP_1)
	v_cndmask_b32_e32 v14, v15, v17, vcc_lo
	v_and_or_b32 v14, 0x80000000, v6, v14
.LBB159_1720:
	s_mov_b32 s3, -1
	s_mov_b32 s1, 0
	s_cbranch_execnz .LBB159_1731
.LBB159_1721:
	v_cmp_lt_i16_e32 vcc_lo, 14, v16
	s_cbranch_vccz .LBB159_1724
; %bb.1722:
	v_cmp_eq_u16_e32 vcc_lo, 15, v16
	s_cbranch_vccz .LBB159_1727
; %bb.1723:
	global_load_u16 v6, v[12:13], off
	s_mov_b32 s0, 0
	s_mov_b32 s3, -1
	s_waitcnt vmcnt(0)
	v_lshlrev_b32_e32 v14, 16, v6
	s_branch .LBB159_1729
.LBB159_1724:
	s_mov_b32 s1, -1
	s_branch .LBB159_1728
.LBB159_1725:
	s_or_saveexec_b32 s10, s10
	v_mov_b32_e32 v14, s3
	s_xor_b32 exec_lo, exec_lo, s10
	s_cbranch_execz .LBB159_1707
.LBB159_1726:
	v_cmp_ne_u16_e32 vcc_lo, 0, v6
	v_mov_b32_e32 v14, 0
	s_and_not1_b32 s1, s1, exec_lo
	s_and_b32 s3, vcc_lo, exec_lo
	s_delay_alu instid0(SALU_CYCLE_1)
	s_or_b32 s1, s1, s3
	s_or_b32 exec_lo, exec_lo, s10
	s_and_saveexec_b32 s3, s1
	s_cbranch_execnz .LBB159_1708
	s_branch .LBB159_1709
.LBB159_1727:
	s_mov_b32 s0, -1
.LBB159_1728:
                                        ; implicit-def: $vgpr14
.LBB159_1729:
	s_and_b32 vcc_lo, exec_lo, s1
	s_mov_b32 s1, 0
	s_cbranch_vccz .LBB159_1731
; %bb.1730:
	v_cmp_ne_u16_e64 s0, 11, v16
	s_mov_b32 s1, -1
                                        ; implicit-def: $vgpr14
.LBB159_1731:
	s_delay_alu instid0(VALU_DEP_1)
	s_and_b32 vcc_lo, exec_lo, s0
	s_mov_b32 s10, s8
	s_cbranch_vccnz .LBB159_1755
; %bb.1732:
	s_and_not1_b32 vcc_lo, exec_lo, s1
	s_cbranch_vccnz .LBB159_1734
.LBB159_1733:
	global_load_u8 v6, v[12:13], off
	s_mov_b32 s3, -1
	s_waitcnt vmcnt(0)
	v_cmp_ne_u16_e32 vcc_lo, 0, v6
	v_cndmask_b32_e64 v14, 0, 1.0, vcc_lo
.LBB159_1734:
.LBB159_1735:
	s_and_not1_b32 vcc_lo, exec_lo, s3
	s_cbranch_vccnz .LBB159_3049
.LBB159_1736:
	s_load_b64 s[0:1], s[20:21], 0x198
	s_lshr_b32 s2, s2, 16
	s_mov_b32 s11, 0
	v_and_b32_e64 v15, 0xff, s2
	s_delay_alu instid0(VALU_DEP_1) | instskip(SKIP_2) | instid1(VALU_DEP_1)
	v_cmp_gt_i16_e32 vcc_lo, 11, v15
	s_waitcnt lgkmcnt(0)
	v_add_co_u32 v12, s2, s0, v5
	v_add_co_ci_u32_e64 v13, null, s1, 0, s2
	s_cbranch_vccnz .LBB159_1743
; %bb.1737:
	v_cmp_lt_i16_e32 vcc_lo, 25, v15
	s_mov_b32 s3, 0
	s_cbranch_vccz .LBB159_1749
; %bb.1738:
	v_cmp_lt_i16_e32 vcc_lo, 28, v15
	s_cbranch_vccz .LBB159_1751
; %bb.1739:
	v_cmp_lt_i16_e32 vcc_lo, 43, v15
	;; [unrolled: 3-line block ×3, first 2 shown]
	s_cbranch_vccz .LBB159_1757
; %bb.1741:
	v_cmp_eq_u16_e32 vcc_lo, 46, v15
	s_mov_b32 s12, 0
	s_cbranch_vccz .LBB159_1801
; %bb.1742:
	global_load_b32 v5, v[12:13], off
	s_mov_b32 s2, 0
	s_mov_b32 s11, -1
	s_waitcnt vmcnt(0)
	v_lshlrev_b32_e32 v5, 16, v5
	s_delay_alu instid0(VALU_DEP_1) | instskip(NEXT) | instid1(VALU_DEP_1)
	v_trunc_f32_e32 v5, v5
	v_mul_f32_e64 v6, 0x2f800000, |v5|
	s_delay_alu instid0(VALU_DEP_1) | instskip(NEXT) | instid1(VALU_DEP_1)
	v_floor_f32_e32 v6, v6
	v_fma_f32 v6, 0xcf800000, v6, |v5|
	v_ashrrev_i32_e32 v5, 31, v5
	s_delay_alu instid0(VALU_DEP_2) | instskip(NEXT) | instid1(VALU_DEP_1)
	v_cvt_u32_f32_e32 v6, v6
	v_xor_b32_e32 v6, v6, v5
	s_delay_alu instid0(VALU_DEP_1)
	v_sub_nc_u32_e32 v5, v6, v5
	s_branch .LBB159_1803
.LBB159_1743:
                                        ; implicit-def: $vgpr5
	s_cbranch_execz .LBB159_1864
; %bb.1744:
	v_cmp_gt_i16_e32 vcc_lo, 5, v15
	s_cbranch_vccnz .LBB159_1750
; %bb.1745:
	v_cmp_gt_i16_e32 vcc_lo, 8, v15
	s_cbranch_vccnz .LBB159_1752
	;; [unrolled: 3-line block ×3, first 2 shown]
; %bb.1747:
	v_cmp_lt_i16_e32 vcc_lo, 9, v15
	s_cbranch_vccz .LBB159_1760
; %bb.1748:
	global_load_b64 v[5:6], v[12:13], off
	s_mov_b32 s2, 0
	s_waitcnt vmcnt(0)
	v_trunc_f64_e32 v[5:6], v[5:6]
	s_delay_alu instid0(VALU_DEP_1) | instskip(NEXT) | instid1(VALU_DEP_1)
	v_ldexp_f64 v[17:18], v[5:6], 0xffffffe0
	v_floor_f64_e32 v[17:18], v[17:18]
	s_delay_alu instid0(VALU_DEP_1) | instskip(NEXT) | instid1(VALU_DEP_1)
	v_fma_f64 v[5:6], 0xc1f00000, v[17:18], v[5:6]
	v_cvt_u32_f64_e32 v5, v[5:6]
	s_branch .LBB159_1761
.LBB159_1749:
	s_mov_b32 s2, 0
                                        ; implicit-def: $vgpr5
	s_cbranch_execnz .LBB159_1830
	s_branch .LBB159_1860
.LBB159_1750:
                                        ; implicit-def: $vgpr5
	s_branch .LBB159_1779
.LBB159_1751:
	s_mov_b32 s12, -1
	s_mov_b32 s2, 0
                                        ; implicit-def: $vgpr5
	s_branch .LBB159_1813
.LBB159_1752:
	s_mov_b32 s2, -1
                                        ; implicit-def: $vgpr5
	s_branch .LBB159_1767
.LBB159_1753:
	s_mov_b32 s12, -1
	s_mov_b32 s2, 0
                                        ; implicit-def: $vgpr5
	s_branch .LBB159_1808
.LBB159_1754:
	s_mov_b32 s2, -1
                                        ; implicit-def: $vgpr5
	s_branch .LBB159_1764
.LBB159_1755:
	s_cbranch_execnz .LBB159_1799
; %bb.1756:
	s_or_b32 s10, s8, exec_lo
                                        ; implicit-def: $vgpr14
	s_cbranch_execz .LBB159_1733
	s_branch .LBB159_1734
.LBB159_1757:
	s_mov_b32 s12, -1
	s_mov_b32 s2, 0
	s_branch .LBB159_1802
.LBB159_1758:
	s_or_saveexec_b32 s7, s7
                                        ; implicit-def: $sgpr8
	s_delay_alu instid0(SALU_CYCLE_1)
	s_xor_b32 exec_lo, exec_lo, s7
	s_cbranch_execz .LBB159_1477
.LBB159_1759:
	v_add_f32_e64 v0, 0x46000000, |v3|
	s_and_not1_b32 s5, s5, exec_lo
	s_mov_b32 s8, 0
	s_delay_alu instid0(VALU_DEP_1) | instskip(NEXT) | instid1(VALU_DEP_1)
	v_and_b32_e32 v0, 0xff, v0
	v_cmp_ne_u32_e32 vcc_lo, 0, v0
	s_and_b32 s9, vcc_lo, exec_lo
	s_delay_alu instid0(SALU_CYCLE_1)
	s_or_b32 s5, s5, s9
	s_or_b32 exec_lo, exec_lo, s7
	v_mov_b32_e32 v4, s8
	s_and_saveexec_b32 s7, s5
	s_cbranch_execnz .LBB159_1478
	s_branch .LBB159_1479
.LBB159_1760:
	s_mov_b32 s2, -1
                                        ; implicit-def: $vgpr5
.LBB159_1761:
	s_delay_alu instid0(SALU_CYCLE_1)
	s_and_not1_b32 vcc_lo, exec_lo, s2
	s_cbranch_vccnz .LBB159_1763
; %bb.1762:
	global_load_b32 v5, v[12:13], off
	s_waitcnt vmcnt(0)
	v_trunc_f32_e32 v5, v5
	s_delay_alu instid0(VALU_DEP_1) | instskip(NEXT) | instid1(VALU_DEP_1)
	v_mul_f32_e64 v6, 0x2f800000, |v5|
	v_floor_f32_e32 v6, v6
	s_delay_alu instid0(VALU_DEP_1) | instskip(SKIP_1) | instid1(VALU_DEP_2)
	v_fma_f32 v6, 0xcf800000, v6, |v5|
	v_ashrrev_i32_e32 v5, 31, v5
	v_cvt_u32_f32_e32 v6, v6
	s_delay_alu instid0(VALU_DEP_1) | instskip(NEXT) | instid1(VALU_DEP_1)
	v_xor_b32_e32 v6, v6, v5
	v_sub_nc_u32_e32 v5, v6, v5
.LBB159_1763:
	s_mov_b32 s2, 0
.LBB159_1764:
	s_delay_alu instid0(SALU_CYCLE_1)
	s_and_not1_b32 vcc_lo, exec_lo, s2
	s_cbranch_vccnz .LBB159_1766
; %bb.1765:
	global_load_b32 v5, v[12:13], off
	s_waitcnt vmcnt(0)
	v_cvt_f32_f16_e32 v5, v5
	s_delay_alu instid0(VALU_DEP_1)
	v_cvt_i32_f32_e32 v5, v5
.LBB159_1766:
	s_mov_b32 s2, 0
.LBB159_1767:
	s_delay_alu instid0(SALU_CYCLE_1)
	s_and_not1_b32 vcc_lo, exec_lo, s2
	s_cbranch_vccnz .LBB159_1778
; %bb.1768:
	v_cmp_gt_i16_e32 vcc_lo, 6, v15
	s_cbranch_vccnz .LBB159_1771
; %bb.1769:
	v_cmp_lt_i16_e32 vcc_lo, 6, v15
	s_cbranch_vccz .LBB159_1772
; %bb.1770:
	global_load_b64 v[5:6], v[12:13], off
	s_mov_b32 s2, 0
	s_waitcnt vmcnt(0)
	v_trunc_f64_e32 v[5:6], v[5:6]
	s_delay_alu instid0(VALU_DEP_1) | instskip(NEXT) | instid1(VALU_DEP_1)
	v_ldexp_f64 v[17:18], v[5:6], 0xffffffe0
	v_floor_f64_e32 v[17:18], v[17:18]
	s_delay_alu instid0(VALU_DEP_1) | instskip(NEXT) | instid1(VALU_DEP_1)
	v_fma_f64 v[5:6], 0xc1f00000, v[17:18], v[5:6]
	v_cvt_u32_f64_e32 v5, v[5:6]
	s_branch .LBB159_1773
.LBB159_1771:
	s_mov_b32 s2, -1
                                        ; implicit-def: $vgpr5
	s_branch .LBB159_1776
.LBB159_1772:
	s_mov_b32 s2, -1
                                        ; implicit-def: $vgpr5
.LBB159_1773:
	s_delay_alu instid0(SALU_CYCLE_1)
	s_and_not1_b32 vcc_lo, exec_lo, s2
	s_cbranch_vccnz .LBB159_1775
; %bb.1774:
	global_load_b32 v5, v[12:13], off
	s_waitcnt vmcnt(0)
	v_trunc_f32_e32 v5, v5
	s_delay_alu instid0(VALU_DEP_1) | instskip(NEXT) | instid1(VALU_DEP_1)
	v_mul_f32_e64 v6, 0x2f800000, |v5|
	v_floor_f32_e32 v6, v6
	s_delay_alu instid0(VALU_DEP_1) | instskip(SKIP_1) | instid1(VALU_DEP_2)
	v_fma_f32 v6, 0xcf800000, v6, |v5|
	v_ashrrev_i32_e32 v5, 31, v5
	v_cvt_u32_f32_e32 v6, v6
	s_delay_alu instid0(VALU_DEP_1) | instskip(NEXT) | instid1(VALU_DEP_1)
	v_xor_b32_e32 v6, v6, v5
	v_sub_nc_u32_e32 v5, v6, v5
.LBB159_1775:
	s_mov_b32 s2, 0
.LBB159_1776:
	s_delay_alu instid0(SALU_CYCLE_1)
	s_and_not1_b32 vcc_lo, exec_lo, s2
	s_cbranch_vccnz .LBB159_1778
; %bb.1777:
	global_load_u16 v5, v[12:13], off
	s_waitcnt vmcnt(0)
	v_cvt_f32_f16_e32 v5, v5
	s_delay_alu instid0(VALU_DEP_1)
	v_cvt_i32_f32_e32 v5, v5
.LBB159_1778:
	s_cbranch_execnz .LBB159_1798
.LBB159_1779:
	v_cmp_gt_i16_e32 vcc_lo, 2, v15
	s_cbranch_vccnz .LBB159_1783
; %bb.1780:
	v_cmp_gt_i16_e32 vcc_lo, 3, v15
	s_cbranch_vccnz .LBB159_1784
; %bb.1781:
	v_cmp_lt_i16_e32 vcc_lo, 3, v15
	s_cbranch_vccz .LBB159_1785
; %bb.1782:
	global_load_b64 v[5:6], v[12:13], off
	s_mov_b32 s2, 0
	s_branch .LBB159_1786
.LBB159_1783:
	s_mov_b32 s2, -1
                                        ; implicit-def: $vgpr5
	s_branch .LBB159_1792
.LBB159_1784:
	s_mov_b32 s2, -1
                                        ; implicit-def: $vgpr5
	s_branch .LBB159_1789
.LBB159_1785:
	s_mov_b32 s2, -1
                                        ; implicit-def: $vgpr5
.LBB159_1786:
	s_delay_alu instid0(SALU_CYCLE_1)
	s_and_not1_b32 vcc_lo, exec_lo, s2
	s_cbranch_vccnz .LBB159_1788
; %bb.1787:
	global_load_b32 v5, v[12:13], off
.LBB159_1788:
	s_mov_b32 s2, 0
.LBB159_1789:
	s_delay_alu instid0(SALU_CYCLE_1)
	s_and_not1_b32 vcc_lo, exec_lo, s2
	s_cbranch_vccnz .LBB159_1791
; %bb.1790:
	global_load_u16 v5, v[12:13], off
.LBB159_1791:
	s_mov_b32 s2, 0
.LBB159_1792:
	s_delay_alu instid0(SALU_CYCLE_1)
	s_and_not1_b32 vcc_lo, exec_lo, s2
	s_cbranch_vccnz .LBB159_1798
; %bb.1793:
	v_cmp_lt_i16_e32 vcc_lo, 0, v15
	s_mov_b32 s2, 0
	s_cbranch_vccz .LBB159_1795
; %bb.1794:
	global_load_u8 v5, v[12:13], off
	s_branch .LBB159_1796
.LBB159_1795:
	s_mov_b32 s2, -1
                                        ; implicit-def: $vgpr5
.LBB159_1796:
	s_delay_alu instid0(SALU_CYCLE_1)
	s_and_not1_b32 vcc_lo, exec_lo, s2
	s_cbranch_vccnz .LBB159_1798
; %bb.1797:
	global_load_u8 v5, v[12:13], off
.LBB159_1798:
	s_branch .LBB159_1865
.LBB159_1799:
	s_trap 2
	s_sendmsg_rtn_b32 s0, sendmsg(MSG_RTN_GET_DOORBELL)
	s_mov_b32 ttmp2, m0
	s_waitcnt lgkmcnt(0)
	s_and_b32 s0, s0, 0x3ff
	s_delay_alu instid0(SALU_CYCLE_1) | instskip(NEXT) | instid1(SALU_CYCLE_1)
	s_bitset1_b32 s0, 10
	s_mov_b32 m0, s0
	s_sendmsg sendmsg(MSG_INTERRUPT)
	s_mov_b32 m0, ttmp2
.LBB159_1800:                           ; =>This Inner Loop Header: Depth=1
	s_sethalt 5
	s_branch .LBB159_1800
.LBB159_1801:
	s_mov_b32 s2, -1
.LBB159_1802:
                                        ; implicit-def: $vgpr5
.LBB159_1803:
	s_and_b32 vcc_lo, exec_lo, s12
	s_cbranch_vccz .LBB159_1807
; %bb.1804:
	v_cmp_eq_u16_e32 vcc_lo, 44, v15
	s_cbranch_vccz .LBB159_1806
; %bb.1805:
	global_load_u8 v5, v[12:13], off
	s_mov_b32 s2, 0
	s_mov_b32 s11, -1
	s_waitcnt vmcnt(0)
	v_lshlrev_b32_e32 v6, 23, v5
	v_cmp_ne_u32_e32 vcc_lo, 0, v5
	s_delay_alu instid0(VALU_DEP_2) | instskip(NEXT) | instid1(VALU_DEP_1)
	v_trunc_f32_e32 v6, v6
	v_mul_f32_e64 v17, 0x2f800000, |v6|
	s_delay_alu instid0(VALU_DEP_1) | instskip(NEXT) | instid1(VALU_DEP_1)
	v_floor_f32_e32 v17, v17
	v_fma_f32 v17, 0xcf800000, v17, |v6|
	v_ashrrev_i32_e32 v6, 31, v6
	s_delay_alu instid0(VALU_DEP_2) | instskip(NEXT) | instid1(VALU_DEP_1)
	v_cvt_u32_f32_e32 v17, v17
	v_xor_b32_e32 v17, v17, v6
	s_delay_alu instid0(VALU_DEP_1) | instskip(NEXT) | instid1(VALU_DEP_1)
	v_sub_nc_u32_e32 v6, v17, v6
	v_cndmask_b32_e32 v5, 0, v6, vcc_lo
	s_branch .LBB159_1807
.LBB159_1806:
	s_mov_b32 s2, -1
                                        ; implicit-def: $vgpr5
.LBB159_1807:
	s_mov_b32 s12, 0
.LBB159_1808:
	s_delay_alu instid0(SALU_CYCLE_1)
	s_and_b32 vcc_lo, exec_lo, s12
	s_cbranch_vccz .LBB159_1812
; %bb.1809:
	v_cmp_eq_u16_e32 vcc_lo, 29, v15
	s_cbranch_vccz .LBB159_1811
; %bb.1810:
	global_load_b64 v[5:6], v[12:13], off
	s_mov_b32 s2, 0
	s_mov_b32 s11, -1
	s_branch .LBB159_1812
.LBB159_1811:
	s_mov_b32 s2, -1
                                        ; implicit-def: $vgpr5
.LBB159_1812:
	s_mov_b32 s12, 0
.LBB159_1813:
	s_delay_alu instid0(SALU_CYCLE_1)
	s_and_b32 vcc_lo, exec_lo, s12
	s_cbranch_vccz .LBB159_1829
; %bb.1814:
	v_cmp_gt_i16_e32 vcc_lo, 27, v15
	s_cbranch_vccnz .LBB159_1817
; %bb.1815:
	v_cmp_lt_i16_e32 vcc_lo, 27, v15
	s_cbranch_vccz .LBB159_1818
; %bb.1816:
	global_load_b32 v5, v[12:13], off
	s_mov_b32 s11, 0
	s_branch .LBB159_1819
.LBB159_1817:
	s_mov_b32 s11, -1
                                        ; implicit-def: $vgpr5
	s_branch .LBB159_1822
.LBB159_1818:
	s_mov_b32 s11, -1
                                        ; implicit-def: $vgpr5
.LBB159_1819:
	s_delay_alu instid0(SALU_CYCLE_1)
	s_and_not1_b32 vcc_lo, exec_lo, s11
	s_cbranch_vccnz .LBB159_1821
; %bb.1820:
	global_load_u16 v5, v[12:13], off
.LBB159_1821:
	s_mov_b32 s11, 0
.LBB159_1822:
	s_delay_alu instid0(SALU_CYCLE_1)
	s_and_not1_b32 vcc_lo, exec_lo, s11
	s_cbranch_vccnz .LBB159_1828
; %bb.1823:
	global_load_u8 v6, v[12:13], off
	s_mov_b32 s12, 0
	s_mov_b32 s11, exec_lo
                                        ; implicit-def: $sgpr13
	s_waitcnt vmcnt(0)
	v_cmpx_lt_i16_e32 0x7f, v6
	s_xor_b32 s11, exec_lo, s11
	s_cbranch_execz .LBB159_1839
; %bb.1824:
	v_cmp_ne_u16_e32 vcc_lo, 0x80, v6
	s_mov_b32 s13, 0
	s_and_b32 s12, vcc_lo, exec_lo
	s_or_saveexec_b32 s11, s11
	v_mov_b32_e32 v5, s13
	s_xor_b32 exec_lo, exec_lo, s11
	s_cbranch_execnz .LBB159_1840
.LBB159_1825:
	s_or_b32 exec_lo, exec_lo, s11
	s_and_saveexec_b32 s11, s12
	s_cbranch_execz .LBB159_1827
.LBB159_1826:
	v_and_b32_e32 v5, 0xffff, v6
	s_delay_alu instid0(VALU_DEP_1) | instskip(NEXT) | instid1(VALU_DEP_1)
	v_and_b32_e32 v17, 7, v5
	v_clz_i32_u32_e32 v18, v17
	s_delay_alu instid0(VALU_DEP_1) | instskip(NEXT) | instid1(VALU_DEP_1)
	v_min_u32_e32 v18, 32, v18
	v_subrev_nc_u32_e32 v19, 28, v18
	v_sub_nc_u32_e32 v18, 29, v18
	s_delay_alu instid0(VALU_DEP_2) | instskip(SKIP_1) | instid1(VALU_DEP_2)
	v_lshlrev_b32_e32 v19, v19, v5
	v_bfe_u32 v5, v5, 3, 4
	v_and_b32_e32 v19, 7, v19
	s_delay_alu instid0(VALU_DEP_2) | instskip(NEXT) | instid1(VALU_DEP_2)
	v_cmp_eq_u32_e32 vcc_lo, 0, v5
	v_dual_cndmask_b32 v17, v17, v19 :: v_dual_lshlrev_b32 v6, 24, v6
	v_cndmask_b32_e32 v5, v5, v18, vcc_lo
	s_delay_alu instid0(VALU_DEP_2) | instskip(NEXT) | instid1(VALU_DEP_3)
	v_and_b32_e32 v6, 0x80000000, v6
	v_lshlrev_b32_e32 v17, 20, v17
	s_delay_alu instid0(VALU_DEP_3) | instskip(NEXT) | instid1(VALU_DEP_1)
	v_lshl_add_u32 v5, v5, 23, 0x3b800000
	v_or3_b32 v5, v6, v5, v17
	s_delay_alu instid0(VALU_DEP_1) | instskip(NEXT) | instid1(VALU_DEP_1)
	v_trunc_f32_e32 v5, v5
	v_mul_f32_e64 v6, 0x2f800000, |v5|
	s_delay_alu instid0(VALU_DEP_1) | instskip(NEXT) | instid1(VALU_DEP_1)
	v_floor_f32_e32 v6, v6
	v_fma_f32 v6, 0xcf800000, v6, |v5|
	v_ashrrev_i32_e32 v5, 31, v5
	s_delay_alu instid0(VALU_DEP_2) | instskip(NEXT) | instid1(VALU_DEP_1)
	v_cvt_u32_f32_e32 v6, v6
	v_xor_b32_e32 v6, v6, v5
	s_delay_alu instid0(VALU_DEP_1)
	v_sub_nc_u32_e32 v5, v6, v5
.LBB159_1827:
	s_or_b32 exec_lo, exec_lo, s11
.LBB159_1828:
	s_mov_b32 s11, -1
.LBB159_1829:
	s_branch .LBB159_1860
.LBB159_1830:
	v_cmp_lt_i16_e32 vcc_lo, 22, v15
	s_cbranch_vccz .LBB159_1838
; %bb.1831:
	v_cmp_gt_i16_e32 vcc_lo, 24, v15
	s_cbranch_vccnz .LBB159_1841
; %bb.1832:
	v_cmp_lt_i16_e32 vcc_lo, 24, v15
	s_cbranch_vccz .LBB159_1842
; %bb.1833:
	global_load_u8 v6, v[12:13], off
	s_mov_b32 s11, 0
	s_mov_b32 s3, exec_lo
                                        ; implicit-def: $sgpr12
	s_waitcnt vmcnt(0)
	v_cmpx_lt_i16_e32 0x7f, v6
	s_xor_b32 s3, exec_lo, s3
	s_cbranch_execz .LBB159_1854
; %bb.1834:
	v_cmp_ne_u16_e32 vcc_lo, 0x80, v6
	s_mov_b32 s12, 0
	s_and_b32 s11, vcc_lo, exec_lo
	s_or_saveexec_b32 s3, s3
	v_mov_b32_e32 v5, s12
	s_xor_b32 exec_lo, exec_lo, s3
	s_cbranch_execnz .LBB159_1855
.LBB159_1835:
	s_or_b32 exec_lo, exec_lo, s3
	s_and_saveexec_b32 s3, s11
	s_cbranch_execz .LBB159_1837
.LBB159_1836:
	v_and_b32_e32 v5, 0xffff, v6
	s_delay_alu instid0(VALU_DEP_1) | instskip(NEXT) | instid1(VALU_DEP_1)
	v_and_b32_e32 v17, 3, v5
	v_clz_i32_u32_e32 v18, v17
	s_delay_alu instid0(VALU_DEP_1) | instskip(NEXT) | instid1(VALU_DEP_1)
	v_min_u32_e32 v18, 32, v18
	v_subrev_nc_u32_e32 v19, 29, v18
	v_sub_nc_u32_e32 v18, 30, v18
	s_delay_alu instid0(VALU_DEP_2) | instskip(SKIP_1) | instid1(VALU_DEP_2)
	v_lshlrev_b32_e32 v19, v19, v5
	v_bfe_u32 v5, v5, 2, 5
	v_and_b32_e32 v19, 3, v19
	s_delay_alu instid0(VALU_DEP_2) | instskip(NEXT) | instid1(VALU_DEP_2)
	v_cmp_eq_u32_e32 vcc_lo, 0, v5
	v_dual_cndmask_b32 v17, v17, v19 :: v_dual_lshlrev_b32 v6, 24, v6
	v_cndmask_b32_e32 v5, v5, v18, vcc_lo
	s_delay_alu instid0(VALU_DEP_2) | instskip(NEXT) | instid1(VALU_DEP_3)
	v_and_b32_e32 v6, 0x80000000, v6
	v_lshlrev_b32_e32 v17, 21, v17
	s_delay_alu instid0(VALU_DEP_3) | instskip(NEXT) | instid1(VALU_DEP_1)
	v_lshl_add_u32 v5, v5, 23, 0x37800000
	v_or3_b32 v5, v6, v5, v17
	s_delay_alu instid0(VALU_DEP_1) | instskip(NEXT) | instid1(VALU_DEP_1)
	v_trunc_f32_e32 v5, v5
	v_mul_f32_e64 v6, 0x2f800000, |v5|
	s_delay_alu instid0(VALU_DEP_1) | instskip(NEXT) | instid1(VALU_DEP_1)
	v_floor_f32_e32 v6, v6
	v_fma_f32 v6, 0xcf800000, v6, |v5|
	v_ashrrev_i32_e32 v5, 31, v5
	s_delay_alu instid0(VALU_DEP_2) | instskip(NEXT) | instid1(VALU_DEP_1)
	v_cvt_u32_f32_e32 v6, v6
	v_xor_b32_e32 v6, v6, v5
	s_delay_alu instid0(VALU_DEP_1)
	v_sub_nc_u32_e32 v5, v6, v5
.LBB159_1837:
	s_or_b32 exec_lo, exec_lo, s3
	s_mov_b32 s3, 0
	s_branch .LBB159_1843
.LBB159_1838:
	s_mov_b32 s3, -1
                                        ; implicit-def: $vgpr5
	s_branch .LBB159_1849
.LBB159_1839:
	s_or_saveexec_b32 s11, s11
	v_mov_b32_e32 v5, s13
	s_xor_b32 exec_lo, exec_lo, s11
	s_cbranch_execz .LBB159_1825
.LBB159_1840:
	v_cmp_ne_u16_e32 vcc_lo, 0, v6
	v_mov_b32_e32 v5, 0
	s_and_not1_b32 s12, s12, exec_lo
	s_and_b32 s13, vcc_lo, exec_lo
	s_delay_alu instid0(SALU_CYCLE_1)
	s_or_b32 s12, s12, s13
	s_or_b32 exec_lo, exec_lo, s11
	s_and_saveexec_b32 s11, s12
	s_cbranch_execnz .LBB159_1826
	s_branch .LBB159_1827
.LBB159_1841:
	s_mov_b32 s3, -1
                                        ; implicit-def: $vgpr5
	s_branch .LBB159_1846
.LBB159_1842:
	s_mov_b32 s3, -1
                                        ; implicit-def: $vgpr5
.LBB159_1843:
	s_delay_alu instid0(SALU_CYCLE_1)
	s_and_b32 vcc_lo, exec_lo, s3
	s_cbranch_vccz .LBB159_1845
; %bb.1844:
	global_load_u8 v5, v[12:13], off
	s_waitcnt vmcnt(0)
	v_lshlrev_b32_e32 v5, 24, v5
	s_delay_alu instid0(VALU_DEP_1) | instskip(NEXT) | instid1(VALU_DEP_1)
	v_and_b32_e32 v6, 0x7f000000, v5
	v_clz_i32_u32_e32 v17, v6
	v_cmp_ne_u32_e32 vcc_lo, 0, v6
	v_add_nc_u32_e32 v19, 0x1000000, v6
	s_delay_alu instid0(VALU_DEP_3) | instskip(NEXT) | instid1(VALU_DEP_1)
	v_min_u32_e32 v17, 32, v17
	v_sub_nc_u32_e64 v17, v17, 4 clamp
	s_delay_alu instid0(VALU_DEP_1) | instskip(SKIP_1) | instid1(VALU_DEP_2)
	v_lshlrev_b32_e32 v18, v17, v6
	v_lshlrev_b32_e32 v17, 23, v17
	v_lshrrev_b32_e32 v18, 4, v18
	s_delay_alu instid0(VALU_DEP_1) | instskip(SKIP_1) | instid1(VALU_DEP_2)
	v_sub_nc_u32_e32 v17, v18, v17
	v_ashrrev_i32_e32 v18, 8, v19
	v_add_nc_u32_e32 v17, 0x3c000000, v17
	s_delay_alu instid0(VALU_DEP_1) | instskip(NEXT) | instid1(VALU_DEP_1)
	v_and_or_b32 v17, 0x7f800000, v18, v17
	v_cndmask_b32_e32 v6, 0, v17, vcc_lo
	s_delay_alu instid0(VALU_DEP_1) | instskip(NEXT) | instid1(VALU_DEP_1)
	v_and_or_b32 v5, 0x80000000, v5, v6
	v_trunc_f32_e32 v5, v5
	s_delay_alu instid0(VALU_DEP_1) | instskip(NEXT) | instid1(VALU_DEP_1)
	v_mul_f32_e64 v6, 0x2f800000, |v5|
	v_floor_f32_e32 v6, v6
	s_delay_alu instid0(VALU_DEP_1) | instskip(SKIP_1) | instid1(VALU_DEP_2)
	v_fma_f32 v6, 0xcf800000, v6, |v5|
	v_ashrrev_i32_e32 v5, 31, v5
	v_cvt_u32_f32_e32 v6, v6
	s_delay_alu instid0(VALU_DEP_1) | instskip(NEXT) | instid1(VALU_DEP_1)
	v_xor_b32_e32 v6, v6, v5
	v_sub_nc_u32_e32 v5, v6, v5
.LBB159_1845:
	s_mov_b32 s3, 0
.LBB159_1846:
	s_delay_alu instid0(SALU_CYCLE_1)
	s_and_not1_b32 vcc_lo, exec_lo, s3
	s_cbranch_vccnz .LBB159_1848
; %bb.1847:
	global_load_u8 v5, v[12:13], off
	s_waitcnt vmcnt(0)
	v_lshlrev_b32_e32 v6, 25, v5
	v_lshlrev_b16 v5, 8, v5
	s_delay_alu instid0(VALU_DEP_2) | instskip(NEXT) | instid1(VALU_DEP_2)
	v_lshrrev_b32_e32 v17, 4, v6
	v_and_or_b32 v18, 0x7f00, v5, 0.5
	v_cmp_gt_u32_e32 vcc_lo, 0x8000000, v6
	v_bfe_i32 v5, v5, 0, 16
	s_delay_alu instid0(VALU_DEP_4) | instskip(NEXT) | instid1(VALU_DEP_1)
	v_or_b32_e32 v17, 0x70000000, v17
	v_dual_add_f32 v18, -0.5, v18 :: v_dual_mul_f32 v17, 0x7800000, v17
	s_delay_alu instid0(VALU_DEP_1) | instskip(NEXT) | instid1(VALU_DEP_1)
	v_cndmask_b32_e32 v6, v17, v18, vcc_lo
	v_and_or_b32 v5, 0x80000000, v5, v6
	s_delay_alu instid0(VALU_DEP_1) | instskip(NEXT) | instid1(VALU_DEP_1)
	v_trunc_f32_e32 v5, v5
	v_mul_f32_e64 v6, 0x2f800000, |v5|
	s_delay_alu instid0(VALU_DEP_1) | instskip(NEXT) | instid1(VALU_DEP_1)
	v_floor_f32_e32 v6, v6
	v_fma_f32 v6, 0xcf800000, v6, |v5|
	v_ashrrev_i32_e32 v5, 31, v5
	s_delay_alu instid0(VALU_DEP_2) | instskip(NEXT) | instid1(VALU_DEP_1)
	v_cvt_u32_f32_e32 v6, v6
	v_xor_b32_e32 v6, v6, v5
	s_delay_alu instid0(VALU_DEP_1)
	v_sub_nc_u32_e32 v5, v6, v5
.LBB159_1848:
	s_mov_b32 s3, 0
	s_mov_b32 s11, -1
.LBB159_1849:
	s_and_not1_b32 vcc_lo, exec_lo, s3
	s_mov_b32 s3, 0
	s_cbranch_vccnz .LBB159_1860
; %bb.1850:
	v_cmp_lt_i16_e32 vcc_lo, 14, v15
	s_cbranch_vccz .LBB159_1853
; %bb.1851:
	v_cmp_eq_u16_e32 vcc_lo, 15, v15
	s_cbranch_vccz .LBB159_1856
; %bb.1852:
	global_load_u16 v5, v[12:13], off
	s_mov_b32 s2, 0
	s_mov_b32 s11, -1
	s_waitcnt vmcnt(0)
	v_lshlrev_b32_e32 v5, 16, v5
	s_delay_alu instid0(VALU_DEP_1) | instskip(NEXT) | instid1(VALU_DEP_1)
	v_trunc_f32_e32 v5, v5
	v_mul_f32_e64 v6, 0x2f800000, |v5|
	s_delay_alu instid0(VALU_DEP_1) | instskip(NEXT) | instid1(VALU_DEP_1)
	v_floor_f32_e32 v6, v6
	v_fma_f32 v6, 0xcf800000, v6, |v5|
	v_ashrrev_i32_e32 v5, 31, v5
	s_delay_alu instid0(VALU_DEP_2) | instskip(NEXT) | instid1(VALU_DEP_1)
	v_cvt_u32_f32_e32 v6, v6
	v_xor_b32_e32 v6, v6, v5
	s_delay_alu instid0(VALU_DEP_1)
	v_sub_nc_u32_e32 v5, v6, v5
	s_branch .LBB159_1858
.LBB159_1853:
	s_mov_b32 s3, -1
	s_branch .LBB159_1857
.LBB159_1854:
	s_or_saveexec_b32 s3, s3
	v_mov_b32_e32 v5, s12
	s_xor_b32 exec_lo, exec_lo, s3
	s_cbranch_execz .LBB159_1835
.LBB159_1855:
	v_cmp_ne_u16_e32 vcc_lo, 0, v6
	v_mov_b32_e32 v5, 0
	s_and_not1_b32 s11, s11, exec_lo
	s_and_b32 s12, vcc_lo, exec_lo
	s_delay_alu instid0(SALU_CYCLE_1)
	s_or_b32 s11, s11, s12
	s_or_b32 exec_lo, exec_lo, s3
	s_and_saveexec_b32 s3, s11
	s_cbranch_execnz .LBB159_1836
	s_branch .LBB159_1837
.LBB159_1856:
	s_mov_b32 s2, -1
.LBB159_1857:
                                        ; implicit-def: $vgpr5
.LBB159_1858:
	s_and_b32 vcc_lo, exec_lo, s3
	s_mov_b32 s3, 0
	s_cbranch_vccz .LBB159_1860
; %bb.1859:
	v_cmp_ne_u16_e64 s2, 11, v15
	s_mov_b32 s3, -1
                                        ; implicit-def: $vgpr5
.LBB159_1860:
	s_delay_alu instid0(VALU_DEP_1)
	s_and_b32 vcc_lo, exec_lo, s2
	s_cbranch_vccnz .LBB159_1884
; %bb.1861:
	s_and_not1_b32 vcc_lo, exec_lo, s3
	s_cbranch_vccnz .LBB159_1863
.LBB159_1862:
	global_load_u8 v5, v[12:13], off
	s_mov_b32 s11, -1
	s_waitcnt vmcnt(0)
	v_cmp_ne_u16_e32 vcc_lo, 0, v5
	v_cndmask_b32_e64 v5, 0, 1, vcc_lo
.LBB159_1863:
.LBB159_1864:
	s_and_not1_b32 vcc_lo, exec_lo, s11
	s_cbranch_vccnz .LBB159_3049
.LBB159_1865:
	v_cmp_gt_i16_e32 vcc_lo, 11, v16
	v_add_co_u32 v12, s2, s6, v9
	s_delay_alu instid0(VALU_DEP_1)
	v_add_co_ci_u32_e64 v13, null, s7, 0, s2
	s_mov_b32 s11, 0
	s_cbranch_vccnz .LBB159_1872
; %bb.1866:
	v_cmp_lt_i16_e32 vcc_lo, 25, v16
	s_mov_b32 s3, 0
	s_cbranch_vccz .LBB159_1878
; %bb.1867:
	v_cmp_lt_i16_e32 vcc_lo, 28, v16
	s_cbranch_vccz .LBB159_1880
; %bb.1868:
	v_cmp_lt_i16_e32 vcc_lo, 43, v16
	;; [unrolled: 3-line block ×3, first 2 shown]
	s_cbranch_vccz .LBB159_1888
; %bb.1870:
	v_cmp_eq_u16_e32 vcc_lo, 46, v16
	s_mov_b32 s12, 0
	s_cbranch_vccz .LBB159_1931
; %bb.1871:
	global_load_b32 v6, v[12:13], off
	s_mov_b32 s2, 0
	s_mov_b32 s11, -1
	s_waitcnt vmcnt(0)
	v_lshlrev_b32_e32 v17, 16, v6
	s_branch .LBB159_1933
.LBB159_1872:
                                        ; implicit-def: $vgpr17
	s_cbranch_execz .LBB159_1999
; %bb.1873:
	v_cmp_gt_i16_e32 vcc_lo, 5, v16
	s_cbranch_vccnz .LBB159_1879
; %bb.1874:
	v_cmp_gt_i16_e32 vcc_lo, 8, v16
	s_cbranch_vccnz .LBB159_1881
	;; [unrolled: 3-line block ×3, first 2 shown]
; %bb.1876:
	v_cmp_lt_i16_e32 vcc_lo, 9, v16
	s_cbranch_vccz .LBB159_1889
; %bb.1877:
	global_load_b64 v[17:18], v[12:13], off
	s_mov_b32 s2, 0
	s_waitcnt vmcnt(0)
	v_cvt_f32_f64_e32 v17, v[17:18]
	s_branch .LBB159_1890
.LBB159_1878:
	s_mov_b32 s12, -1
	s_mov_b32 s2, 0
                                        ; implicit-def: $vgpr17
	s_branch .LBB159_1962
.LBB159_1879:
	s_mov_b32 s2, -1
                                        ; implicit-def: $vgpr17
	s_branch .LBB159_1908
.LBB159_1880:
	s_mov_b32 s12, -1
	s_mov_b32 s2, 0
                                        ; implicit-def: $vgpr17
	s_branch .LBB159_1943
.LBB159_1881:
	s_mov_b32 s2, -1
                                        ; implicit-def: $vgpr17
	s_branch .LBB159_1896
.LBB159_1882:
	s_mov_b32 s12, -1
	s_mov_b32 s2, 0
                                        ; implicit-def: $vgpr17
	s_branch .LBB159_1938
.LBB159_1883:
	s_mov_b32 s2, -1
                                        ; implicit-def: $vgpr17
	s_branch .LBB159_1893
.LBB159_1884:
	s_cbranch_execnz .LBB159_1929
; %bb.1885:
	s_or_b32 s10, s10, exec_lo
                                        ; implicit-def: $vgpr5
	s_cbranch_execz .LBB159_1862
	s_branch .LBB159_1863
.LBB159_1886:
	s_or_saveexec_b32 s8, s8
                                        ; implicit-def: $sgpr9
	s_delay_alu instid0(SALU_CYCLE_1)
	s_xor_b32 exec_lo, exec_lo, s8
	s_cbranch_execz .LBB159_1489
.LBB159_1887:
	v_add_f32_e64 v0, 0x42800000, |v3|
	s_and_not1_b32 s7, s7, exec_lo
	s_mov_b32 s9, 0
	s_delay_alu instid0(VALU_DEP_1) | instskip(NEXT) | instid1(VALU_DEP_1)
	v_and_b32_e32 v0, 0xff, v0
	v_cmp_ne_u32_e32 vcc_lo, 0, v0
	s_and_b32 s10, vcc_lo, exec_lo
	s_delay_alu instid0(SALU_CYCLE_1)
	s_or_b32 s7, s7, s10
	s_or_b32 exec_lo, exec_lo, s8
	v_mov_b32_e32 v4, s9
	s_and_saveexec_b32 s8, s7
	s_cbranch_execnz .LBB159_1490
	s_branch .LBB159_1491
.LBB159_1888:
	s_mov_b32 s12, -1
	s_mov_b32 s2, 0
	s_branch .LBB159_1932
.LBB159_1889:
	s_mov_b32 s2, -1
                                        ; implicit-def: $vgpr17
.LBB159_1890:
	s_delay_alu instid0(SALU_CYCLE_1)
	s_and_not1_b32 vcc_lo, exec_lo, s2
	s_cbranch_vccnz .LBB159_1892
; %bb.1891:
	global_load_b32 v17, v[12:13], off
.LBB159_1892:
	s_mov_b32 s2, 0
.LBB159_1893:
	s_delay_alu instid0(SALU_CYCLE_1)
	s_and_not1_b32 vcc_lo, exec_lo, s2
	s_cbranch_vccnz .LBB159_1895
; %bb.1894:
	global_load_b32 v6, v[12:13], off
	s_waitcnt vmcnt(0)
	v_cvt_f32_f16_e32 v17, v6
.LBB159_1895:
	s_mov_b32 s2, 0
.LBB159_1896:
	s_delay_alu instid0(SALU_CYCLE_1)
	s_and_not1_b32 vcc_lo, exec_lo, s2
	s_cbranch_vccnz .LBB159_1907
; %bb.1897:
	v_cmp_gt_i16_e32 vcc_lo, 6, v16
	s_cbranch_vccnz .LBB159_1900
; %bb.1898:
	v_cmp_lt_i16_e32 vcc_lo, 6, v16
	s_cbranch_vccz .LBB159_1901
; %bb.1899:
	global_load_b64 v[17:18], v[12:13], off
	s_mov_b32 s2, 0
	s_waitcnt vmcnt(0)
	v_cvt_f32_f64_e32 v17, v[17:18]
	s_branch .LBB159_1902
.LBB159_1900:
	s_mov_b32 s2, -1
                                        ; implicit-def: $vgpr17
	s_branch .LBB159_1905
.LBB159_1901:
	s_mov_b32 s2, -1
                                        ; implicit-def: $vgpr17
.LBB159_1902:
	s_delay_alu instid0(SALU_CYCLE_1)
	s_and_not1_b32 vcc_lo, exec_lo, s2
	s_cbranch_vccnz .LBB159_1904
; %bb.1903:
	global_load_b32 v17, v[12:13], off
.LBB159_1904:
	s_mov_b32 s2, 0
.LBB159_1905:
	s_delay_alu instid0(SALU_CYCLE_1)
	s_and_not1_b32 vcc_lo, exec_lo, s2
	s_cbranch_vccnz .LBB159_1907
; %bb.1906:
	global_load_u16 v6, v[12:13], off
	s_waitcnt vmcnt(0)
	v_cvt_f32_f16_e32 v17, v6
.LBB159_1907:
	s_mov_b32 s2, 0
.LBB159_1908:
	s_delay_alu instid0(SALU_CYCLE_1)
	s_and_not1_b32 vcc_lo, exec_lo, s2
	s_cbranch_vccnz .LBB159_1928
; %bb.1909:
	v_cmp_gt_i16_e32 vcc_lo, 2, v16
	s_cbranch_vccnz .LBB159_1913
; %bb.1910:
	v_cmp_gt_i16_e32 vcc_lo, 3, v16
	s_cbranch_vccnz .LBB159_1914
; %bb.1911:
	v_cmp_lt_i16_e32 vcc_lo, 3, v16
	s_cbranch_vccz .LBB159_1915
; %bb.1912:
	global_load_b64 v[17:18], v[12:13], off
	s_mov_b32 s2, 0
	s_waitcnt vmcnt(0)
	v_xor_b32_e32 v6, v17, v18
	v_cls_i32_e32 v9, v18
	s_delay_alu instid0(VALU_DEP_2) | instskip(NEXT) | instid1(VALU_DEP_2)
	v_ashrrev_i32_e32 v6, 31, v6
	v_add_nc_u32_e32 v9, -1, v9
	s_delay_alu instid0(VALU_DEP_2) | instskip(NEXT) | instid1(VALU_DEP_1)
	v_add_nc_u32_e32 v6, 32, v6
	v_min_u32_e32 v6, v9, v6
	s_delay_alu instid0(VALU_DEP_1) | instskip(SKIP_1) | instid1(VALU_DEP_2)
	v_lshlrev_b64 v[17:18], v6, v[17:18]
	v_sub_nc_u32_e32 v6, 32, v6
	v_min_u32_e32 v9, 1, v17
	s_delay_alu instid0(VALU_DEP_1) | instskip(NEXT) | instid1(VALU_DEP_1)
	v_or_b32_e32 v9, v18, v9
	v_cvt_f32_i32_e32 v9, v9
	s_delay_alu instid0(VALU_DEP_1)
	v_ldexp_f32 v17, v9, v6
	s_branch .LBB159_1916
.LBB159_1913:
	s_mov_b32 s2, -1
                                        ; implicit-def: $vgpr17
	s_branch .LBB159_1922
.LBB159_1914:
	s_mov_b32 s2, -1
                                        ; implicit-def: $vgpr17
	s_branch .LBB159_1919
.LBB159_1915:
	s_mov_b32 s2, -1
                                        ; implicit-def: $vgpr17
.LBB159_1916:
	s_delay_alu instid0(SALU_CYCLE_1)
	s_and_not1_b32 vcc_lo, exec_lo, s2
	s_cbranch_vccnz .LBB159_1918
; %bb.1917:
	global_load_b32 v6, v[12:13], off
	s_waitcnt vmcnt(0)
	v_cvt_f32_i32_e32 v17, v6
.LBB159_1918:
	s_mov_b32 s2, 0
.LBB159_1919:
	s_delay_alu instid0(SALU_CYCLE_1)
	s_and_not1_b32 vcc_lo, exec_lo, s2
	s_cbranch_vccnz .LBB159_1921
; %bb.1920:
	global_load_i16 v6, v[12:13], off
	s_waitcnt vmcnt(0)
	v_cvt_f32_i32_e32 v17, v6
.LBB159_1921:
	s_mov_b32 s2, 0
.LBB159_1922:
	s_delay_alu instid0(SALU_CYCLE_1)
	s_and_not1_b32 vcc_lo, exec_lo, s2
	s_cbranch_vccnz .LBB159_1928
; %bb.1923:
	v_cmp_lt_i16_e32 vcc_lo, 0, v16
	s_mov_b32 s2, 0
	s_cbranch_vccz .LBB159_1925
; %bb.1924:
	global_load_i8 v6, v[12:13], off
	s_waitcnt vmcnt(0)
	v_cvt_f32_i32_e32 v17, v6
	s_branch .LBB159_1926
.LBB159_1925:
	s_mov_b32 s2, -1
                                        ; implicit-def: $vgpr17
.LBB159_1926:
	s_delay_alu instid0(SALU_CYCLE_1)
	s_and_not1_b32 vcc_lo, exec_lo, s2
	s_cbranch_vccnz .LBB159_1928
; %bb.1927:
	global_load_u8 v6, v[12:13], off
	s_waitcnt vmcnt(0)
	v_cvt_f32_ubyte0_e32 v17, v6
.LBB159_1928:
	s_branch .LBB159_2000
.LBB159_1929:
	s_trap 2
	s_sendmsg_rtn_b32 s0, sendmsg(MSG_RTN_GET_DOORBELL)
	s_mov_b32 ttmp2, m0
	s_waitcnt lgkmcnt(0)
	s_and_b32 s0, s0, 0x3ff
	s_delay_alu instid0(SALU_CYCLE_1) | instskip(NEXT) | instid1(SALU_CYCLE_1)
	s_bitset1_b32 s0, 10
	s_mov_b32 m0, s0
	s_sendmsg sendmsg(MSG_INTERRUPT)
	s_mov_b32 m0, ttmp2
.LBB159_1930:                           ; =>This Inner Loop Header: Depth=1
	s_sethalt 5
	s_branch .LBB159_1930
.LBB159_1931:
	s_mov_b32 s2, -1
.LBB159_1932:
                                        ; implicit-def: $vgpr17
.LBB159_1933:
	s_and_b32 vcc_lo, exec_lo, s12
	s_cbranch_vccz .LBB159_1937
; %bb.1934:
	v_cmp_eq_u16_e32 vcc_lo, 44, v16
	s_cbranch_vccz .LBB159_1936
; %bb.1935:
	global_load_u8 v6, v[12:13], off
	s_mov_b32 s2, 0
	s_mov_b32 s11, -1
	s_waitcnt vmcnt(0)
	v_lshlrev_b32_e32 v9, 23, v6
	v_cmp_ne_u32_e32 vcc_lo, 0xff, v6
	s_delay_alu instid0(VALU_DEP_2) | instskip(SKIP_1) | instid1(VALU_DEP_2)
	v_cndmask_b32_e32 v9, 0x7f800001, v9, vcc_lo
	v_cmp_ne_u32_e32 vcc_lo, 0, v6
	v_cndmask_b32_e32 v17, 0x400000, v9, vcc_lo
	s_branch .LBB159_1937
.LBB159_1936:
	s_mov_b32 s2, -1
                                        ; implicit-def: $vgpr17
.LBB159_1937:
	s_mov_b32 s12, 0
.LBB159_1938:
	s_delay_alu instid0(SALU_CYCLE_1)
	s_and_b32 vcc_lo, exec_lo, s12
	s_cbranch_vccz .LBB159_1942
; %bb.1939:
	v_cmp_eq_u16_e32 vcc_lo, 29, v16
	s_cbranch_vccz .LBB159_1941
; %bb.1940:
	global_load_b64 v[17:18], v[12:13], off
	s_mov_b32 s2, 0
	s_mov_b32 s11, -1
	s_mov_b32 s12, 0
	s_waitcnt vmcnt(0)
	v_clz_i32_u32_e32 v6, v18
	s_delay_alu instid0(VALU_DEP_1) | instskip(NEXT) | instid1(VALU_DEP_1)
	v_min_u32_e32 v6, 32, v6
	v_lshlrev_b64 v[17:18], v6, v[17:18]
	v_sub_nc_u32_e32 v6, 32, v6
	s_delay_alu instid0(VALU_DEP_2) | instskip(NEXT) | instid1(VALU_DEP_1)
	v_min_u32_e32 v9, 1, v17
	v_or_b32_e32 v9, v18, v9
	s_delay_alu instid0(VALU_DEP_1) | instskip(NEXT) | instid1(VALU_DEP_1)
	v_cvt_f32_u32_e32 v9, v9
	v_ldexp_f32 v17, v9, v6
	s_branch .LBB159_1943
.LBB159_1941:
	s_mov_b32 s2, -1
                                        ; implicit-def: $vgpr17
.LBB159_1942:
	s_mov_b32 s12, 0
.LBB159_1943:
	s_delay_alu instid0(SALU_CYCLE_1)
	s_and_b32 vcc_lo, exec_lo, s12
	s_cbranch_vccz .LBB159_1961
; %bb.1944:
	v_cmp_gt_i16_e32 vcc_lo, 27, v16
	s_cbranch_vccnz .LBB159_1947
; %bb.1945:
	v_cmp_lt_i16_e32 vcc_lo, 27, v16
	s_cbranch_vccz .LBB159_1948
; %bb.1946:
	global_load_b32 v6, v[12:13], off
	s_mov_b32 s11, 0
	s_waitcnt vmcnt(0)
	v_cvt_f32_u32_e32 v17, v6
	s_branch .LBB159_1949
.LBB159_1947:
	s_mov_b32 s11, -1
                                        ; implicit-def: $vgpr17
	s_branch .LBB159_1952
.LBB159_1948:
	s_mov_b32 s11, -1
                                        ; implicit-def: $vgpr17
.LBB159_1949:
	s_delay_alu instid0(SALU_CYCLE_1)
	s_and_not1_b32 vcc_lo, exec_lo, s11
	s_cbranch_vccnz .LBB159_1951
; %bb.1950:
	global_load_u16 v6, v[12:13], off
	s_waitcnt vmcnt(0)
	v_cvt_f32_u32_e32 v17, v6
.LBB159_1951:
	s_mov_b32 s11, 0
.LBB159_1952:
	s_delay_alu instid0(SALU_CYCLE_1)
	s_and_not1_b32 vcc_lo, exec_lo, s11
	s_cbranch_vccnz .LBB159_1960
; %bb.1953:
	global_load_u8 v6, v[12:13], off
	s_mov_b32 s11, 0
	s_mov_b32 s13, exec_lo
                                        ; implicit-def: $sgpr12
	s_waitcnt vmcnt(0)
	v_cmpx_lt_i16_e32 0x7f, v6
	s_xor_b32 s13, exec_lo, s13
	s_cbranch_execz .LBB159_1974
; %bb.1954:
	s_mov_b32 s11, -1
	s_mov_b32 s14, exec_lo
                                        ; implicit-def: $sgpr12
	v_cmpx_eq_u16_e32 0x80, v6
; %bb.1955:
	s_mov_b32 s12, 0x7f800001
	s_xor_b32 s11, exec_lo, -1
; %bb.1956:
	s_or_b32 exec_lo, exec_lo, s14
	s_delay_alu instid0(SALU_CYCLE_1)
	s_and_b32 s11, s11, exec_lo
	s_or_saveexec_b32 s13, s13
	v_mov_b32_e32 v17, s12
	s_xor_b32 exec_lo, exec_lo, s13
	s_cbranch_execnz .LBB159_1975
.LBB159_1957:
	s_or_b32 exec_lo, exec_lo, s13
	s_and_saveexec_b32 s12, s11
	s_cbranch_execz .LBB159_1959
.LBB159_1958:
	v_and_b32_e32 v9, 0xffff, v6
	s_delay_alu instid0(VALU_DEP_1) | instskip(NEXT) | instid1(VALU_DEP_1)
	v_and_b32_e32 v17, 7, v9
	v_clz_i32_u32_e32 v18, v17
	s_delay_alu instid0(VALU_DEP_1) | instskip(NEXT) | instid1(VALU_DEP_1)
	v_min_u32_e32 v18, 32, v18
	v_subrev_nc_u32_e32 v19, 28, v18
	v_sub_nc_u32_e32 v18, 29, v18
	s_delay_alu instid0(VALU_DEP_2) | instskip(SKIP_1) | instid1(VALU_DEP_2)
	v_lshlrev_b32_e32 v19, v19, v9
	v_bfe_u32 v9, v9, 3, 4
	v_and_b32_e32 v19, 7, v19
	s_delay_alu instid0(VALU_DEP_2) | instskip(NEXT) | instid1(VALU_DEP_2)
	v_cmp_eq_u32_e32 vcc_lo, 0, v9
	v_dual_cndmask_b32 v17, v17, v19 :: v_dual_lshlrev_b32 v6, 24, v6
	v_cndmask_b32_e32 v9, v9, v18, vcc_lo
	s_delay_alu instid0(VALU_DEP_2) | instskip(NEXT) | instid1(VALU_DEP_3)
	v_and_b32_e32 v6, 0x80000000, v6
	v_lshlrev_b32_e32 v17, 20, v17
	s_delay_alu instid0(VALU_DEP_3) | instskip(NEXT) | instid1(VALU_DEP_1)
	v_lshl_add_u32 v9, v9, 23, 0x3b800000
	v_or3_b32 v17, v6, v9, v17
.LBB159_1959:
	s_or_b32 exec_lo, exec_lo, s12
.LBB159_1960:
	s_mov_b32 s11, -1
.LBB159_1961:
	s_mov_b32 s12, 0
.LBB159_1962:
	s_delay_alu instid0(SALU_CYCLE_1)
	s_and_b32 vcc_lo, exec_lo, s12
	s_cbranch_vccz .LBB159_1995
; %bb.1963:
	v_cmp_lt_i16_e32 vcc_lo, 22, v16
	s_cbranch_vccz .LBB159_1973
; %bb.1964:
	v_cmp_gt_i16_e32 vcc_lo, 24, v16
	s_cbranch_vccnz .LBB159_1976
; %bb.1965:
	v_cmp_lt_i16_e32 vcc_lo, 24, v16
	s_cbranch_vccz .LBB159_1977
; %bb.1966:
	global_load_u8 v6, v[12:13], off
	s_mov_b32 s12, exec_lo
                                        ; implicit-def: $sgpr11
	s_waitcnt vmcnt(0)
	v_cmpx_lt_i16_e32 0x7f, v6
	s_xor_b32 s12, exec_lo, s12
	s_cbranch_execz .LBB159_1989
; %bb.1967:
	s_mov_b32 s3, -1
	s_mov_b32 s13, exec_lo
                                        ; implicit-def: $sgpr11
	v_cmpx_eq_u16_e32 0x80, v6
; %bb.1968:
	s_mov_b32 s11, 0x7f800001
	s_xor_b32 s3, exec_lo, -1
; %bb.1969:
	s_or_b32 exec_lo, exec_lo, s13
	s_delay_alu instid0(SALU_CYCLE_1)
	s_and_b32 s3, s3, exec_lo
	s_or_saveexec_b32 s12, s12
	v_mov_b32_e32 v17, s11
	s_xor_b32 exec_lo, exec_lo, s12
	s_cbranch_execnz .LBB159_1990
.LBB159_1970:
	s_or_b32 exec_lo, exec_lo, s12
	s_and_saveexec_b32 s11, s3
	s_cbranch_execz .LBB159_1972
.LBB159_1971:
	v_and_b32_e32 v9, 0xffff, v6
	s_delay_alu instid0(VALU_DEP_1) | instskip(NEXT) | instid1(VALU_DEP_1)
	v_and_b32_e32 v17, 3, v9
	v_clz_i32_u32_e32 v18, v17
	s_delay_alu instid0(VALU_DEP_1) | instskip(NEXT) | instid1(VALU_DEP_1)
	v_min_u32_e32 v18, 32, v18
	v_subrev_nc_u32_e32 v19, 29, v18
	v_sub_nc_u32_e32 v18, 30, v18
	s_delay_alu instid0(VALU_DEP_2) | instskip(SKIP_1) | instid1(VALU_DEP_2)
	v_lshlrev_b32_e32 v19, v19, v9
	v_bfe_u32 v9, v9, 2, 5
	v_and_b32_e32 v19, 3, v19
	s_delay_alu instid0(VALU_DEP_2) | instskip(NEXT) | instid1(VALU_DEP_2)
	v_cmp_eq_u32_e32 vcc_lo, 0, v9
	v_dual_cndmask_b32 v17, v17, v19 :: v_dual_lshlrev_b32 v6, 24, v6
	v_cndmask_b32_e32 v9, v9, v18, vcc_lo
	s_delay_alu instid0(VALU_DEP_2) | instskip(NEXT) | instid1(VALU_DEP_3)
	v_and_b32_e32 v6, 0x80000000, v6
	v_lshlrev_b32_e32 v17, 21, v17
	s_delay_alu instid0(VALU_DEP_3) | instskip(NEXT) | instid1(VALU_DEP_1)
	v_lshl_add_u32 v9, v9, 23, 0x37800000
	v_or3_b32 v17, v6, v9, v17
.LBB159_1972:
	s_or_b32 exec_lo, exec_lo, s11
	s_mov_b32 s3, 0
	s_branch .LBB159_1978
.LBB159_1973:
	s_mov_b32 s3, -1
                                        ; implicit-def: $vgpr17
	s_branch .LBB159_1984
.LBB159_1974:
	s_or_saveexec_b32 s13, s13
	v_mov_b32_e32 v17, s12
	s_xor_b32 exec_lo, exec_lo, s13
	s_cbranch_execz .LBB159_1957
.LBB159_1975:
	v_cmp_ne_u16_e32 vcc_lo, 0, v6
	v_mov_b32_e32 v17, 0
	s_and_not1_b32 s11, s11, exec_lo
	s_and_b32 s12, vcc_lo, exec_lo
	s_delay_alu instid0(SALU_CYCLE_1)
	s_or_b32 s11, s11, s12
	s_or_b32 exec_lo, exec_lo, s13
	s_and_saveexec_b32 s12, s11
	s_cbranch_execnz .LBB159_1958
	s_branch .LBB159_1959
.LBB159_1976:
	s_mov_b32 s3, -1
                                        ; implicit-def: $vgpr17
	s_branch .LBB159_1981
.LBB159_1977:
	s_mov_b32 s3, -1
                                        ; implicit-def: $vgpr17
.LBB159_1978:
	s_delay_alu instid0(SALU_CYCLE_1)
	s_and_b32 vcc_lo, exec_lo, s3
	s_cbranch_vccz .LBB159_1980
; %bb.1979:
	global_load_u8 v6, v[12:13], off
	s_waitcnt vmcnt(0)
	v_lshlrev_b32_e32 v6, 24, v6
	s_delay_alu instid0(VALU_DEP_1) | instskip(NEXT) | instid1(VALU_DEP_1)
	v_and_b32_e32 v9, 0x7f000000, v6
	v_clz_i32_u32_e32 v17, v9
	v_add_nc_u32_e32 v19, 0x1000000, v9
	v_cmp_ne_u32_e32 vcc_lo, 0, v9
	s_delay_alu instid0(VALU_DEP_3) | instskip(NEXT) | instid1(VALU_DEP_1)
	v_min_u32_e32 v17, 32, v17
	v_sub_nc_u32_e64 v17, v17, 4 clamp
	s_delay_alu instid0(VALU_DEP_1) | instskip(SKIP_1) | instid1(VALU_DEP_2)
	v_lshlrev_b32_e32 v18, v17, v9
	v_lshlrev_b32_e32 v17, 23, v17
	v_lshrrev_b32_e32 v18, 4, v18
	s_delay_alu instid0(VALU_DEP_1) | instskip(SKIP_1) | instid1(VALU_DEP_2)
	v_sub_nc_u32_e32 v17, v18, v17
	v_ashrrev_i32_e32 v18, 8, v19
	v_add_nc_u32_e32 v17, 0x3c000000, v17
	s_delay_alu instid0(VALU_DEP_1) | instskip(NEXT) | instid1(VALU_DEP_1)
	v_and_or_b32 v17, 0x7f800000, v18, v17
	v_cndmask_b32_e32 v9, 0, v17, vcc_lo
	s_delay_alu instid0(VALU_DEP_1)
	v_and_or_b32 v17, 0x80000000, v6, v9
.LBB159_1980:
	s_mov_b32 s3, 0
.LBB159_1981:
	s_delay_alu instid0(SALU_CYCLE_1)
	s_and_not1_b32 vcc_lo, exec_lo, s3
	s_cbranch_vccnz .LBB159_1983
; %bb.1982:
	global_load_u8 v6, v[12:13], off
	s_waitcnt vmcnt(0)
	v_lshlrev_b32_e32 v9, 25, v6
	v_lshlrev_b16 v6, 8, v6
	s_delay_alu instid0(VALU_DEP_2) | instskip(NEXT) | instid1(VALU_DEP_2)
	v_lshrrev_b32_e32 v17, 4, v9
	v_and_or_b32 v18, 0x7f00, v6, 0.5
	v_cmp_gt_u32_e32 vcc_lo, 0x8000000, v9
	v_bfe_i32 v6, v6, 0, 16
	s_delay_alu instid0(VALU_DEP_4) | instskip(NEXT) | instid1(VALU_DEP_1)
	v_or_b32_e32 v17, 0x70000000, v17
	v_dual_add_f32 v18, -0.5, v18 :: v_dual_mul_f32 v17, 0x7800000, v17
	s_delay_alu instid0(VALU_DEP_1) | instskip(NEXT) | instid1(VALU_DEP_1)
	v_cndmask_b32_e32 v9, v17, v18, vcc_lo
	v_and_or_b32 v17, 0x80000000, v6, v9
.LBB159_1983:
	s_mov_b32 s3, 0
	s_mov_b32 s11, -1
.LBB159_1984:
	s_and_not1_b32 vcc_lo, exec_lo, s3
	s_mov_b32 s3, 0
	s_cbranch_vccnz .LBB159_1995
; %bb.1985:
	v_cmp_lt_i16_e32 vcc_lo, 14, v16
	s_cbranch_vccz .LBB159_1988
; %bb.1986:
	v_cmp_eq_u16_e32 vcc_lo, 15, v16
	s_cbranch_vccz .LBB159_1991
; %bb.1987:
	global_load_u16 v6, v[12:13], off
	s_mov_b32 s2, 0
	s_mov_b32 s11, -1
	s_waitcnt vmcnt(0)
	v_lshlrev_b32_e32 v17, 16, v6
	s_branch .LBB159_1993
.LBB159_1988:
	s_mov_b32 s3, -1
	s_branch .LBB159_1992
.LBB159_1989:
	s_or_saveexec_b32 s12, s12
	v_mov_b32_e32 v17, s11
	s_xor_b32 exec_lo, exec_lo, s12
	s_cbranch_execz .LBB159_1970
.LBB159_1990:
	v_cmp_ne_u16_e32 vcc_lo, 0, v6
	v_mov_b32_e32 v17, 0
	s_and_not1_b32 s3, s3, exec_lo
	s_and_b32 s11, vcc_lo, exec_lo
	s_delay_alu instid0(SALU_CYCLE_1)
	s_or_b32 s3, s3, s11
	s_or_b32 exec_lo, exec_lo, s12
	s_and_saveexec_b32 s11, s3
	s_cbranch_execnz .LBB159_1971
	s_branch .LBB159_1972
.LBB159_1991:
	s_mov_b32 s2, -1
.LBB159_1992:
                                        ; implicit-def: $vgpr17
.LBB159_1993:
	s_and_b32 vcc_lo, exec_lo, s3
	s_mov_b32 s3, 0
	s_cbranch_vccz .LBB159_1995
; %bb.1994:
	v_cmp_ne_u16_e64 s2, 11, v16
	s_mov_b32 s3, -1
                                        ; implicit-def: $vgpr17
.LBB159_1995:
	s_delay_alu instid0(VALU_DEP_1)
	s_and_b32 vcc_lo, exec_lo, s2
	s_cbranch_vccnz .LBB159_2011
; %bb.1996:
	s_and_not1_b32 vcc_lo, exec_lo, s3
	s_cbranch_vccnz .LBB159_1998
.LBB159_1997:
	global_load_u8 v6, v[12:13], off
	s_mov_b32 s11, -1
	s_waitcnt vmcnt(0)
	v_cmp_ne_u16_e32 vcc_lo, 0, v6
	v_cndmask_b32_e64 v17, 0, 1.0, vcc_lo
.LBB159_1998:
.LBB159_1999:
	s_and_not1_b32 vcc_lo, exec_lo, s11
	s_cbranch_vccnz .LBB159_3049
.LBB159_2000:
	v_cmp_gt_i16_e32 vcc_lo, 11, v15
	v_add_co_u32 v12, s2, s0, v8
	s_delay_alu instid0(VALU_DEP_1)
	v_add_co_ci_u32_e64 v13, null, s1, 0, s2
	s_mov_b32 s11, 0
	s_cbranch_vccnz .LBB159_2007
; %bb.2001:
	v_cmp_lt_i16_e32 vcc_lo, 25, v15
	s_mov_b32 s3, 0
	s_cbranch_vccz .LBB159_2008
; %bb.2002:
	v_cmp_lt_i16_e32 vcc_lo, 28, v15
	s_cbranch_vccz .LBB159_2009
; %bb.2003:
	v_cmp_lt_i16_e32 vcc_lo, 43, v15
	;; [unrolled: 3-line block ×3, first 2 shown]
	s_cbranch_vccz .LBB159_2013
; %bb.2005:
	v_cmp_eq_u16_e32 vcc_lo, 46, v15
	s_mov_b32 s12, 0
	s_cbranch_vccz .LBB159_2016
; %bb.2006:
	global_load_b32 v6, v[12:13], off
	s_mov_b32 s2, 0
	s_mov_b32 s11, -1
	s_waitcnt vmcnt(0)
	v_lshlrev_b32_e32 v6, 16, v6
	s_delay_alu instid0(VALU_DEP_1) | instskip(NEXT) | instid1(VALU_DEP_1)
	v_trunc_f32_e32 v6, v6
	v_mul_f32_e64 v8, 0x2f800000, |v6|
	s_delay_alu instid0(VALU_DEP_1) | instskip(NEXT) | instid1(VALU_DEP_1)
	v_floor_f32_e32 v8, v8
	v_fma_f32 v8, 0xcf800000, v8, |v6|
	v_ashrrev_i32_e32 v6, 31, v6
	s_delay_alu instid0(VALU_DEP_2) | instskip(NEXT) | instid1(VALU_DEP_1)
	v_cvt_u32_f32_e32 v8, v8
	v_xor_b32_e32 v8, v8, v6
	s_delay_alu instid0(VALU_DEP_1)
	v_sub_nc_u32_e32 v8, v8, v6
	s_branch .LBB159_2018
.LBB159_2007:
	s_mov_b32 s2, -1
                                        ; implicit-def: $vgpr8
	s_branch .LBB159_2080
.LBB159_2008:
	s_mov_b32 s12, -1
	s_mov_b32 s2, 0
                                        ; implicit-def: $vgpr8
	s_branch .LBB159_2045
.LBB159_2009:
	s_mov_b32 s12, -1
	s_mov_b32 s2, 0
                                        ; implicit-def: $vgpr8
	s_branch .LBB159_2028
.LBB159_2010:
	s_mov_b32 s12, -1
	s_mov_b32 s2, 0
                                        ; implicit-def: $vgpr8
	s_branch .LBB159_2023
.LBB159_2011:
	s_cbranch_execnz .LBB159_2014
; %bb.2012:
	s_or_b32 s10, s10, exec_lo
                                        ; implicit-def: $vgpr17
	s_cbranch_execz .LBB159_1997
	s_branch .LBB159_1998
.LBB159_2013:
	s_mov_b32 s12, -1
	s_mov_b32 s2, 0
	s_branch .LBB159_2017
.LBB159_2014:
	s_trap 2
	s_sendmsg_rtn_b32 s0, sendmsg(MSG_RTN_GET_DOORBELL)
	s_mov_b32 ttmp2, m0
	s_waitcnt lgkmcnt(0)
	s_and_b32 s0, s0, 0x3ff
	s_delay_alu instid0(SALU_CYCLE_1) | instskip(NEXT) | instid1(SALU_CYCLE_1)
	s_bitset1_b32 s0, 10
	s_mov_b32 m0, s0
	s_sendmsg sendmsg(MSG_INTERRUPT)
	s_mov_b32 m0, ttmp2
.LBB159_2015:                           ; =>This Inner Loop Header: Depth=1
	s_sethalt 5
	s_branch .LBB159_2015
.LBB159_2016:
	s_mov_b32 s2, -1
.LBB159_2017:
                                        ; implicit-def: $vgpr8
.LBB159_2018:
	s_and_b32 vcc_lo, exec_lo, s12
	s_cbranch_vccz .LBB159_2022
; %bb.2019:
	v_cmp_eq_u16_e32 vcc_lo, 44, v15
	s_cbranch_vccz .LBB159_2021
; %bb.2020:
	global_load_u8 v6, v[12:13], off
	s_mov_b32 s2, 0
	s_mov_b32 s11, -1
	s_waitcnt vmcnt(0)
	v_lshlrev_b32_e32 v8, 23, v6
	v_cmp_ne_u32_e32 vcc_lo, 0, v6
	s_delay_alu instid0(VALU_DEP_2) | instskip(NEXT) | instid1(VALU_DEP_1)
	v_trunc_f32_e32 v8, v8
	v_mul_f32_e64 v9, 0x2f800000, |v8|
	s_delay_alu instid0(VALU_DEP_1) | instskip(NEXT) | instid1(VALU_DEP_1)
	v_floor_f32_e32 v9, v9
	v_fma_f32 v9, 0xcf800000, v9, |v8|
	v_ashrrev_i32_e32 v8, 31, v8
	s_delay_alu instid0(VALU_DEP_2) | instskip(NEXT) | instid1(VALU_DEP_1)
	v_cvt_u32_f32_e32 v9, v9
	v_xor_b32_e32 v9, v9, v8
	s_delay_alu instid0(VALU_DEP_1) | instskip(NEXT) | instid1(VALU_DEP_1)
	v_sub_nc_u32_e32 v8, v9, v8
	v_cndmask_b32_e32 v8, 0, v8, vcc_lo
	s_branch .LBB159_2022
.LBB159_2021:
	s_mov_b32 s2, -1
                                        ; implicit-def: $vgpr8
.LBB159_2022:
	s_mov_b32 s12, 0
.LBB159_2023:
	s_delay_alu instid0(SALU_CYCLE_1)
	s_and_b32 vcc_lo, exec_lo, s12
	s_cbranch_vccz .LBB159_2027
; %bb.2024:
	v_cmp_eq_u16_e32 vcc_lo, 29, v15
	s_cbranch_vccz .LBB159_2026
; %bb.2025:
	global_load_b64 v[8:9], v[12:13], off
	s_mov_b32 s2, 0
	s_mov_b32 s11, -1
	s_branch .LBB159_2027
.LBB159_2026:
	s_mov_b32 s2, -1
                                        ; implicit-def: $vgpr8
.LBB159_2027:
	s_mov_b32 s12, 0
.LBB159_2028:
	s_delay_alu instid0(SALU_CYCLE_1)
	s_and_b32 vcc_lo, exec_lo, s12
	s_cbranch_vccz .LBB159_2044
; %bb.2029:
	v_cmp_gt_i16_e32 vcc_lo, 27, v15
	s_cbranch_vccnz .LBB159_2032
; %bb.2030:
	v_cmp_lt_i16_e32 vcc_lo, 27, v15
	s_cbranch_vccz .LBB159_2033
; %bb.2031:
	global_load_b32 v8, v[12:13], off
	s_mov_b32 s11, 0
	s_branch .LBB159_2034
.LBB159_2032:
	s_mov_b32 s11, -1
                                        ; implicit-def: $vgpr8
	s_branch .LBB159_2037
.LBB159_2033:
	s_mov_b32 s11, -1
                                        ; implicit-def: $vgpr8
.LBB159_2034:
	s_delay_alu instid0(SALU_CYCLE_1)
	s_and_not1_b32 vcc_lo, exec_lo, s11
	s_cbranch_vccnz .LBB159_2036
; %bb.2035:
	global_load_u16 v8, v[12:13], off
.LBB159_2036:
	s_mov_b32 s11, 0
.LBB159_2037:
	s_delay_alu instid0(SALU_CYCLE_1)
	s_and_not1_b32 vcc_lo, exec_lo, s11
	s_cbranch_vccnz .LBB159_2043
; %bb.2038:
	global_load_u8 v6, v[12:13], off
	s_mov_b32 s12, 0
	s_mov_b32 s11, exec_lo
                                        ; implicit-def: $sgpr13
	s_waitcnt vmcnt(0)
	v_cmpx_lt_i16_e32 0x7f, v6
	s_xor_b32 s11, exec_lo, s11
	s_cbranch_execz .LBB159_2055
; %bb.2039:
	v_cmp_ne_u16_e32 vcc_lo, 0x80, v6
	s_mov_b32 s13, 0
	s_and_b32 s12, vcc_lo, exec_lo
	s_or_saveexec_b32 s11, s11
	v_mov_b32_e32 v8, s13
	s_xor_b32 exec_lo, exec_lo, s11
	s_cbranch_execnz .LBB159_2056
.LBB159_2040:
	s_or_b32 exec_lo, exec_lo, s11
	s_and_saveexec_b32 s11, s12
	s_cbranch_execz .LBB159_2042
.LBB159_2041:
	v_and_b32_e32 v8, 0xffff, v6
	v_lshlrev_b32_e32 v6, 24, v6
	s_delay_alu instid0(VALU_DEP_2) | instskip(NEXT) | instid1(VALU_DEP_2)
	v_and_b32_e32 v9, 7, v8
	v_and_b32_e32 v6, 0x80000000, v6
	s_delay_alu instid0(VALU_DEP_2) | instskip(NEXT) | instid1(VALU_DEP_1)
	v_clz_i32_u32_e32 v18, v9
	v_min_u32_e32 v18, 32, v18
	s_delay_alu instid0(VALU_DEP_1) | instskip(SKIP_1) | instid1(VALU_DEP_2)
	v_subrev_nc_u32_e32 v19, 28, v18
	v_sub_nc_u32_e32 v18, 29, v18
	v_lshlrev_b32_e32 v19, v19, v8
	v_bfe_u32 v8, v8, 3, 4
	s_delay_alu instid0(VALU_DEP_2) | instskip(NEXT) | instid1(VALU_DEP_2)
	v_and_b32_e32 v19, 7, v19
	v_cmp_eq_u32_e32 vcc_lo, 0, v8
	s_delay_alu instid0(VALU_DEP_2) | instskip(NEXT) | instid1(VALU_DEP_1)
	v_dual_cndmask_b32 v8, v8, v18 :: v_dual_cndmask_b32 v9, v9, v19
	v_lshl_add_u32 v8, v8, 23, 0x3b800000
	s_delay_alu instid0(VALU_DEP_2) | instskip(NEXT) | instid1(VALU_DEP_1)
	v_lshlrev_b32_e32 v9, 20, v9
	v_or3_b32 v6, v6, v8, v9
	s_delay_alu instid0(VALU_DEP_1) | instskip(NEXT) | instid1(VALU_DEP_1)
	v_trunc_f32_e32 v6, v6
	v_mul_f32_e64 v8, 0x2f800000, |v6|
	s_delay_alu instid0(VALU_DEP_1) | instskip(NEXT) | instid1(VALU_DEP_1)
	v_floor_f32_e32 v8, v8
	v_fma_f32 v8, 0xcf800000, v8, |v6|
	v_ashrrev_i32_e32 v6, 31, v6
	s_delay_alu instid0(VALU_DEP_2) | instskip(NEXT) | instid1(VALU_DEP_1)
	v_cvt_u32_f32_e32 v8, v8
	v_xor_b32_e32 v8, v8, v6
	s_delay_alu instid0(VALU_DEP_1)
	v_sub_nc_u32_e32 v8, v8, v6
.LBB159_2042:
	s_or_b32 exec_lo, exec_lo, s11
.LBB159_2043:
	s_mov_b32 s11, -1
.LBB159_2044:
	s_mov_b32 s12, 0
.LBB159_2045:
	s_delay_alu instid0(SALU_CYCLE_1)
	s_and_b32 vcc_lo, exec_lo, s12
	s_cbranch_vccz .LBB159_2076
; %bb.2046:
	v_cmp_lt_i16_e32 vcc_lo, 22, v15
	s_cbranch_vccz .LBB159_2054
; %bb.2047:
	v_cmp_gt_i16_e32 vcc_lo, 24, v15
	s_cbranch_vccnz .LBB159_2057
; %bb.2048:
	v_cmp_lt_i16_e32 vcc_lo, 24, v15
	s_cbranch_vccz .LBB159_2058
; %bb.2049:
	global_load_u8 v6, v[12:13], off
	s_mov_b32 s11, 0
	s_mov_b32 s3, exec_lo
                                        ; implicit-def: $sgpr12
	s_waitcnt vmcnt(0)
	v_cmpx_lt_i16_e32 0x7f, v6
	s_xor_b32 s3, exec_lo, s3
	s_cbranch_execz .LBB159_2070
; %bb.2050:
	v_cmp_ne_u16_e32 vcc_lo, 0x80, v6
	s_mov_b32 s12, 0
	s_and_b32 s11, vcc_lo, exec_lo
	s_or_saveexec_b32 s3, s3
	v_mov_b32_e32 v8, s12
	s_xor_b32 exec_lo, exec_lo, s3
	s_cbranch_execnz .LBB159_2071
.LBB159_2051:
	s_or_b32 exec_lo, exec_lo, s3
	s_and_saveexec_b32 s3, s11
	s_cbranch_execz .LBB159_2053
.LBB159_2052:
	v_and_b32_e32 v8, 0xffff, v6
	v_lshlrev_b32_e32 v6, 24, v6
	s_delay_alu instid0(VALU_DEP_2) | instskip(NEXT) | instid1(VALU_DEP_2)
	v_and_b32_e32 v9, 3, v8
	v_and_b32_e32 v6, 0x80000000, v6
	s_delay_alu instid0(VALU_DEP_2) | instskip(NEXT) | instid1(VALU_DEP_1)
	v_clz_i32_u32_e32 v18, v9
	v_min_u32_e32 v18, 32, v18
	s_delay_alu instid0(VALU_DEP_1) | instskip(SKIP_1) | instid1(VALU_DEP_2)
	v_subrev_nc_u32_e32 v19, 29, v18
	v_sub_nc_u32_e32 v18, 30, v18
	v_lshlrev_b32_e32 v19, v19, v8
	v_bfe_u32 v8, v8, 2, 5
	s_delay_alu instid0(VALU_DEP_2) | instskip(NEXT) | instid1(VALU_DEP_2)
	v_and_b32_e32 v19, 3, v19
	v_cmp_eq_u32_e32 vcc_lo, 0, v8
	s_delay_alu instid0(VALU_DEP_2) | instskip(NEXT) | instid1(VALU_DEP_1)
	v_dual_cndmask_b32 v8, v8, v18 :: v_dual_cndmask_b32 v9, v9, v19
	v_lshl_add_u32 v8, v8, 23, 0x37800000
	s_delay_alu instid0(VALU_DEP_2) | instskip(NEXT) | instid1(VALU_DEP_1)
	v_lshlrev_b32_e32 v9, 21, v9
	v_or3_b32 v6, v6, v8, v9
	s_delay_alu instid0(VALU_DEP_1) | instskip(NEXT) | instid1(VALU_DEP_1)
	v_trunc_f32_e32 v6, v6
	v_mul_f32_e64 v8, 0x2f800000, |v6|
	s_delay_alu instid0(VALU_DEP_1) | instskip(NEXT) | instid1(VALU_DEP_1)
	v_floor_f32_e32 v8, v8
	v_fma_f32 v8, 0xcf800000, v8, |v6|
	v_ashrrev_i32_e32 v6, 31, v6
	s_delay_alu instid0(VALU_DEP_2) | instskip(NEXT) | instid1(VALU_DEP_1)
	v_cvt_u32_f32_e32 v8, v8
	v_xor_b32_e32 v8, v8, v6
	s_delay_alu instid0(VALU_DEP_1)
	v_sub_nc_u32_e32 v8, v8, v6
.LBB159_2053:
	s_or_b32 exec_lo, exec_lo, s3
	s_mov_b32 s3, 0
	s_branch .LBB159_2059
.LBB159_2054:
	s_mov_b32 s3, -1
                                        ; implicit-def: $vgpr8
	s_branch .LBB159_2065
.LBB159_2055:
	s_or_saveexec_b32 s11, s11
	v_mov_b32_e32 v8, s13
	s_xor_b32 exec_lo, exec_lo, s11
	s_cbranch_execz .LBB159_2040
.LBB159_2056:
	v_cmp_ne_u16_e32 vcc_lo, 0, v6
	v_mov_b32_e32 v8, 0
	s_and_not1_b32 s12, s12, exec_lo
	s_and_b32 s13, vcc_lo, exec_lo
	s_delay_alu instid0(SALU_CYCLE_1)
	s_or_b32 s12, s12, s13
	s_or_b32 exec_lo, exec_lo, s11
	s_and_saveexec_b32 s11, s12
	s_cbranch_execnz .LBB159_2041
	s_branch .LBB159_2042
.LBB159_2057:
	s_mov_b32 s3, -1
                                        ; implicit-def: $vgpr8
	s_branch .LBB159_2062
.LBB159_2058:
	s_mov_b32 s3, -1
                                        ; implicit-def: $vgpr8
.LBB159_2059:
	s_delay_alu instid0(SALU_CYCLE_1)
	s_and_b32 vcc_lo, exec_lo, s3
	s_cbranch_vccz .LBB159_2061
; %bb.2060:
	global_load_u8 v6, v[12:13], off
	s_waitcnt vmcnt(0)
	v_lshlrev_b32_e32 v6, 24, v6
	s_delay_alu instid0(VALU_DEP_1) | instskip(NEXT) | instid1(VALU_DEP_1)
	v_and_b32_e32 v8, 0x7f000000, v6
	v_clz_i32_u32_e32 v9, v8
	v_cmp_ne_u32_e32 vcc_lo, 0, v8
	v_add_nc_u32_e32 v19, 0x1000000, v8
	s_delay_alu instid0(VALU_DEP_3) | instskip(NEXT) | instid1(VALU_DEP_1)
	v_min_u32_e32 v9, 32, v9
	v_sub_nc_u32_e64 v9, v9, 4 clamp
	s_delay_alu instid0(VALU_DEP_1) | instskip(SKIP_1) | instid1(VALU_DEP_2)
	v_lshlrev_b32_e32 v18, v9, v8
	v_lshlrev_b32_e32 v9, 23, v9
	v_lshrrev_b32_e32 v18, 4, v18
	s_delay_alu instid0(VALU_DEP_1) | instskip(SKIP_1) | instid1(VALU_DEP_2)
	v_sub_nc_u32_e32 v9, v18, v9
	v_ashrrev_i32_e32 v18, 8, v19
	v_add_nc_u32_e32 v9, 0x3c000000, v9
	s_delay_alu instid0(VALU_DEP_1) | instskip(NEXT) | instid1(VALU_DEP_1)
	v_and_or_b32 v9, 0x7f800000, v18, v9
	v_cndmask_b32_e32 v8, 0, v9, vcc_lo
	s_delay_alu instid0(VALU_DEP_1) | instskip(NEXT) | instid1(VALU_DEP_1)
	v_and_or_b32 v6, 0x80000000, v6, v8
	v_trunc_f32_e32 v6, v6
	s_delay_alu instid0(VALU_DEP_1) | instskip(NEXT) | instid1(VALU_DEP_1)
	v_mul_f32_e64 v8, 0x2f800000, |v6|
	v_floor_f32_e32 v8, v8
	s_delay_alu instid0(VALU_DEP_1) | instskip(SKIP_1) | instid1(VALU_DEP_2)
	v_fma_f32 v8, 0xcf800000, v8, |v6|
	v_ashrrev_i32_e32 v6, 31, v6
	v_cvt_u32_f32_e32 v8, v8
	s_delay_alu instid0(VALU_DEP_1) | instskip(NEXT) | instid1(VALU_DEP_1)
	v_xor_b32_e32 v8, v8, v6
	v_sub_nc_u32_e32 v8, v8, v6
.LBB159_2061:
	s_mov_b32 s3, 0
.LBB159_2062:
	s_delay_alu instid0(SALU_CYCLE_1)
	s_and_not1_b32 vcc_lo, exec_lo, s3
	s_cbranch_vccnz .LBB159_2064
; %bb.2063:
	global_load_u8 v6, v[12:13], off
	s_waitcnt vmcnt(0)
	v_lshlrev_b32_e32 v8, 25, v6
	v_lshlrev_b16 v6, 8, v6
	s_delay_alu instid0(VALU_DEP_2) | instskip(NEXT) | instid1(VALU_DEP_2)
	v_lshrrev_b32_e32 v9, 4, v8
	v_and_or_b32 v18, 0x7f00, v6, 0.5
	v_bfe_i32 v6, v6, 0, 16
	s_delay_alu instid0(VALU_DEP_3) | instskip(NEXT) | instid1(VALU_DEP_1)
	v_or_b32_e32 v9, 0x70000000, v9
	v_dual_add_f32 v18, -0.5, v18 :: v_dual_mul_f32 v9, 0x7800000, v9
	v_cmp_gt_u32_e32 vcc_lo, 0x8000000, v8
	s_delay_alu instid0(VALU_DEP_2) | instskip(NEXT) | instid1(VALU_DEP_1)
	v_cndmask_b32_e32 v8, v9, v18, vcc_lo
	v_and_or_b32 v6, 0x80000000, v6, v8
	s_delay_alu instid0(VALU_DEP_1) | instskip(NEXT) | instid1(VALU_DEP_1)
	v_trunc_f32_e32 v6, v6
	v_mul_f32_e64 v8, 0x2f800000, |v6|
	s_delay_alu instid0(VALU_DEP_1) | instskip(NEXT) | instid1(VALU_DEP_1)
	v_floor_f32_e32 v8, v8
	v_fma_f32 v8, 0xcf800000, v8, |v6|
	v_ashrrev_i32_e32 v6, 31, v6
	s_delay_alu instid0(VALU_DEP_2) | instskip(NEXT) | instid1(VALU_DEP_1)
	v_cvt_u32_f32_e32 v8, v8
	v_xor_b32_e32 v8, v8, v6
	s_delay_alu instid0(VALU_DEP_1)
	v_sub_nc_u32_e32 v8, v8, v6
.LBB159_2064:
	s_mov_b32 s3, 0
	s_mov_b32 s11, -1
.LBB159_2065:
	s_and_not1_b32 vcc_lo, exec_lo, s3
	s_mov_b32 s3, 0
	s_cbranch_vccnz .LBB159_2076
; %bb.2066:
	v_cmp_lt_i16_e32 vcc_lo, 14, v15
	s_cbranch_vccz .LBB159_2069
; %bb.2067:
	v_cmp_eq_u16_e32 vcc_lo, 15, v15
	s_cbranch_vccz .LBB159_2072
; %bb.2068:
	global_load_u16 v6, v[12:13], off
	s_mov_b32 s2, 0
	s_mov_b32 s11, -1
	s_waitcnt vmcnt(0)
	v_lshlrev_b32_e32 v6, 16, v6
	s_delay_alu instid0(VALU_DEP_1) | instskip(NEXT) | instid1(VALU_DEP_1)
	v_trunc_f32_e32 v6, v6
	v_mul_f32_e64 v8, 0x2f800000, |v6|
	s_delay_alu instid0(VALU_DEP_1) | instskip(NEXT) | instid1(VALU_DEP_1)
	v_floor_f32_e32 v8, v8
	v_fma_f32 v8, 0xcf800000, v8, |v6|
	v_ashrrev_i32_e32 v6, 31, v6
	s_delay_alu instid0(VALU_DEP_2) | instskip(NEXT) | instid1(VALU_DEP_1)
	v_cvt_u32_f32_e32 v8, v8
	v_xor_b32_e32 v8, v8, v6
	s_delay_alu instid0(VALU_DEP_1)
	v_sub_nc_u32_e32 v8, v8, v6
	s_branch .LBB159_2074
.LBB159_2069:
	s_mov_b32 s3, -1
	s_branch .LBB159_2073
.LBB159_2070:
	s_or_saveexec_b32 s3, s3
	v_mov_b32_e32 v8, s12
	s_xor_b32 exec_lo, exec_lo, s3
	s_cbranch_execz .LBB159_2051
.LBB159_2071:
	v_cmp_ne_u16_e32 vcc_lo, 0, v6
	v_mov_b32_e32 v8, 0
	s_and_not1_b32 s11, s11, exec_lo
	s_and_b32 s12, vcc_lo, exec_lo
	s_delay_alu instid0(SALU_CYCLE_1)
	s_or_b32 s11, s11, s12
	s_or_b32 exec_lo, exec_lo, s3
	s_and_saveexec_b32 s3, s11
	s_cbranch_execnz .LBB159_2052
	s_branch .LBB159_2053
.LBB159_2072:
	s_mov_b32 s2, -1
.LBB159_2073:
                                        ; implicit-def: $vgpr8
.LBB159_2074:
	s_and_b32 vcc_lo, exec_lo, s3
	s_mov_b32 s3, 0
	s_cbranch_vccz .LBB159_2076
; %bb.2075:
	v_cmp_ne_u16_e64 s2, 11, v15
	s_mov_b32 s3, -1
                                        ; implicit-def: $vgpr8
.LBB159_2076:
	s_delay_alu instid0(VALU_DEP_1)
	s_and_b32 vcc_lo, exec_lo, s2
	s_cbranch_vccnz .LBB159_2141
; %bb.2077:
	s_and_not1_b32 vcc_lo, exec_lo, s3
	s_cbranch_vccnz .LBB159_2079
.LBB159_2078:
	global_load_u8 v6, v[12:13], off
	s_mov_b32 s11, -1
	s_waitcnt vmcnt(0)
	v_cmp_ne_u16_e32 vcc_lo, 0, v6
	v_cndmask_b32_e64 v8, 0, 1, vcc_lo
.LBB159_2079:
	s_mov_b32 s2, 0
.LBB159_2080:
	s_delay_alu instid0(SALU_CYCLE_1)
	s_and_b32 vcc_lo, exec_lo, s2
	s_cbranch_vccz .LBB159_2129
; %bb.2081:
	v_cmp_gt_i16_e32 vcc_lo, 5, v15
	s_cbranch_vccnz .LBB159_2086
; %bb.2082:
	v_cmp_gt_i16_e32 vcc_lo, 8, v15
	s_cbranch_vccnz .LBB159_2087
	;; [unrolled: 3-line block ×3, first 2 shown]
; %bb.2084:
	v_cmp_lt_i16_e32 vcc_lo, 9, v15
	s_cbranch_vccz .LBB159_2089
; %bb.2085:
	global_load_b64 v[8:9], v[12:13], off
	s_mov_b32 s2, 0
	s_waitcnt vmcnt(0)
	v_trunc_f64_e32 v[8:9], v[8:9]
	s_delay_alu instid0(VALU_DEP_1) | instskip(NEXT) | instid1(VALU_DEP_1)
	v_ldexp_f64 v[18:19], v[8:9], 0xffffffe0
	v_floor_f64_e32 v[18:19], v[18:19]
	s_delay_alu instid0(VALU_DEP_1) | instskip(NEXT) | instid1(VALU_DEP_1)
	v_fma_f64 v[8:9], 0xc1f00000, v[18:19], v[8:9]
	v_cvt_u32_f64_e32 v8, v[8:9]
	s_branch .LBB159_2090
.LBB159_2086:
	s_mov_b32 s2, -1
                                        ; implicit-def: $vgpr8
	s_branch .LBB159_2108
.LBB159_2087:
	s_mov_b32 s2, -1
                                        ; implicit-def: $vgpr8
	s_branch .LBB159_2096
.LBB159_2088:
	s_mov_b32 s2, -1
                                        ; implicit-def: $vgpr8
	s_branch .LBB159_2093
.LBB159_2089:
	s_mov_b32 s2, -1
                                        ; implicit-def: $vgpr8
.LBB159_2090:
	s_delay_alu instid0(SALU_CYCLE_1)
	s_and_not1_b32 vcc_lo, exec_lo, s2
	s_cbranch_vccnz .LBB159_2092
; %bb.2091:
	global_load_b32 v6, v[12:13], off
	s_waitcnt vmcnt(0)
	v_trunc_f32_e32 v6, v6
	s_delay_alu instid0(VALU_DEP_1) | instskip(NEXT) | instid1(VALU_DEP_1)
	v_mul_f32_e64 v8, 0x2f800000, |v6|
	v_floor_f32_e32 v8, v8
	s_delay_alu instid0(VALU_DEP_1) | instskip(SKIP_1) | instid1(VALU_DEP_2)
	v_fma_f32 v8, 0xcf800000, v8, |v6|
	v_ashrrev_i32_e32 v6, 31, v6
	v_cvt_u32_f32_e32 v8, v8
	s_delay_alu instid0(VALU_DEP_1) | instskip(NEXT) | instid1(VALU_DEP_1)
	v_xor_b32_e32 v8, v8, v6
	v_sub_nc_u32_e32 v8, v8, v6
.LBB159_2092:
	s_mov_b32 s2, 0
.LBB159_2093:
	s_delay_alu instid0(SALU_CYCLE_1)
	s_and_not1_b32 vcc_lo, exec_lo, s2
	s_cbranch_vccnz .LBB159_2095
; %bb.2094:
	global_load_b32 v6, v[12:13], off
	s_waitcnt vmcnt(0)
	v_cvt_f32_f16_e32 v6, v6
	s_delay_alu instid0(VALU_DEP_1)
	v_cvt_i32_f32_e32 v8, v6
.LBB159_2095:
	s_mov_b32 s2, 0
.LBB159_2096:
	s_delay_alu instid0(SALU_CYCLE_1)
	s_and_not1_b32 vcc_lo, exec_lo, s2
	s_cbranch_vccnz .LBB159_2107
; %bb.2097:
	v_cmp_gt_i16_e32 vcc_lo, 6, v15
	s_cbranch_vccnz .LBB159_2100
; %bb.2098:
	v_cmp_lt_i16_e32 vcc_lo, 6, v15
	s_cbranch_vccz .LBB159_2101
; %bb.2099:
	global_load_b64 v[8:9], v[12:13], off
	s_mov_b32 s2, 0
	s_waitcnt vmcnt(0)
	v_trunc_f64_e32 v[8:9], v[8:9]
	s_delay_alu instid0(VALU_DEP_1) | instskip(NEXT) | instid1(VALU_DEP_1)
	v_ldexp_f64 v[18:19], v[8:9], 0xffffffe0
	v_floor_f64_e32 v[18:19], v[18:19]
	s_delay_alu instid0(VALU_DEP_1) | instskip(NEXT) | instid1(VALU_DEP_1)
	v_fma_f64 v[8:9], 0xc1f00000, v[18:19], v[8:9]
	v_cvt_u32_f64_e32 v8, v[8:9]
	s_branch .LBB159_2102
.LBB159_2100:
	s_mov_b32 s2, -1
                                        ; implicit-def: $vgpr8
	s_branch .LBB159_2105
.LBB159_2101:
	s_mov_b32 s2, -1
                                        ; implicit-def: $vgpr8
.LBB159_2102:
	s_delay_alu instid0(SALU_CYCLE_1)
	s_and_not1_b32 vcc_lo, exec_lo, s2
	s_cbranch_vccnz .LBB159_2104
; %bb.2103:
	global_load_b32 v6, v[12:13], off
	s_waitcnt vmcnt(0)
	v_trunc_f32_e32 v6, v6
	s_delay_alu instid0(VALU_DEP_1) | instskip(NEXT) | instid1(VALU_DEP_1)
	v_mul_f32_e64 v8, 0x2f800000, |v6|
	v_floor_f32_e32 v8, v8
	s_delay_alu instid0(VALU_DEP_1) | instskip(SKIP_1) | instid1(VALU_DEP_2)
	v_fma_f32 v8, 0xcf800000, v8, |v6|
	v_ashrrev_i32_e32 v6, 31, v6
	v_cvt_u32_f32_e32 v8, v8
	s_delay_alu instid0(VALU_DEP_1) | instskip(NEXT) | instid1(VALU_DEP_1)
	v_xor_b32_e32 v8, v8, v6
	v_sub_nc_u32_e32 v8, v8, v6
.LBB159_2104:
	s_mov_b32 s2, 0
.LBB159_2105:
	s_delay_alu instid0(SALU_CYCLE_1)
	s_and_not1_b32 vcc_lo, exec_lo, s2
	s_cbranch_vccnz .LBB159_2107
; %bb.2106:
	global_load_u16 v6, v[12:13], off
	s_waitcnt vmcnt(0)
	v_cvt_f32_f16_e32 v6, v6
	s_delay_alu instid0(VALU_DEP_1)
	v_cvt_i32_f32_e32 v8, v6
.LBB159_2107:
	s_mov_b32 s2, 0
.LBB159_2108:
	s_delay_alu instid0(SALU_CYCLE_1)
	s_and_not1_b32 vcc_lo, exec_lo, s2
	s_cbranch_vccnz .LBB159_2128
; %bb.2109:
	v_cmp_gt_i16_e32 vcc_lo, 2, v15
	s_cbranch_vccnz .LBB159_2113
; %bb.2110:
	v_cmp_gt_i16_e32 vcc_lo, 3, v15
	s_cbranch_vccnz .LBB159_2114
; %bb.2111:
	v_cmp_lt_i16_e32 vcc_lo, 3, v15
	s_cbranch_vccz .LBB159_2115
; %bb.2112:
	global_load_b64 v[8:9], v[12:13], off
	s_mov_b32 s2, 0
	s_branch .LBB159_2116
.LBB159_2113:
	s_mov_b32 s2, -1
                                        ; implicit-def: $vgpr8
	s_branch .LBB159_2122
.LBB159_2114:
	s_mov_b32 s2, -1
                                        ; implicit-def: $vgpr8
	s_branch .LBB159_2119
.LBB159_2115:
	s_mov_b32 s2, -1
                                        ; implicit-def: $vgpr8
.LBB159_2116:
	s_delay_alu instid0(SALU_CYCLE_1)
	s_and_not1_b32 vcc_lo, exec_lo, s2
	s_cbranch_vccnz .LBB159_2118
; %bb.2117:
	global_load_b32 v8, v[12:13], off
.LBB159_2118:
	s_mov_b32 s2, 0
.LBB159_2119:
	s_delay_alu instid0(SALU_CYCLE_1)
	s_and_not1_b32 vcc_lo, exec_lo, s2
	s_cbranch_vccnz .LBB159_2121
; %bb.2120:
	global_load_u16 v8, v[12:13], off
.LBB159_2121:
	s_mov_b32 s2, 0
.LBB159_2122:
	s_delay_alu instid0(SALU_CYCLE_1)
	s_and_not1_b32 vcc_lo, exec_lo, s2
	s_cbranch_vccnz .LBB159_2128
; %bb.2123:
	v_cmp_lt_i16_e32 vcc_lo, 0, v15
	s_mov_b32 s2, 0
	s_cbranch_vccz .LBB159_2125
; %bb.2124:
	global_load_u8 v8, v[12:13], off
	s_branch .LBB159_2126
.LBB159_2125:
	s_mov_b32 s2, -1
                                        ; implicit-def: $vgpr8
.LBB159_2126:
	s_delay_alu instid0(SALU_CYCLE_1)
	s_and_not1_b32 vcc_lo, exec_lo, s2
	s_cbranch_vccnz .LBB159_2128
; %bb.2127:
	global_load_u8 v8, v[12:13], off
.LBB159_2128:
	s_mov_b32 s11, -1
.LBB159_2129:
	s_delay_alu instid0(SALU_CYCLE_1)
	s_and_not1_b32 vcc_lo, exec_lo, s11
	s_cbranch_vccnz .LBB159_3049
; %bb.2130:
	v_cmp_gt_i16_e32 vcc_lo, 11, v16
	v_add_co_u32 v11, s2, s6, v11
	s_delay_alu instid0(VALU_DEP_1)
	v_add_co_ci_u32_e64 v12, null, s7, 0, s2
	s_mov_b32 s11, 0
	s_cbranch_vccnz .LBB159_2137
; %bb.2131:
	v_cmp_lt_i16_e32 vcc_lo, 25, v16
	s_mov_b32 s3, 0
	s_cbranch_vccz .LBB159_2138
; %bb.2132:
	v_cmp_lt_i16_e32 vcc_lo, 28, v16
	s_cbranch_vccz .LBB159_2139
; %bb.2133:
	v_cmp_lt_i16_e32 vcc_lo, 43, v16
	;; [unrolled: 3-line block ×3, first 2 shown]
	s_cbranch_vccz .LBB159_2143
; %bb.2135:
	v_cmp_eq_u16_e32 vcc_lo, 46, v16
	s_mov_b32 s12, 0
	s_cbranch_vccz .LBB159_2146
; %bb.2136:
	global_load_b32 v6, v[11:12], off
	s_mov_b32 s2, 0
	s_mov_b32 s11, -1
	s_waitcnt vmcnt(0)
	v_lshlrev_b32_e32 v13, 16, v6
	s_branch .LBB159_2148
.LBB159_2137:
	s_mov_b32 s2, -1
                                        ; implicit-def: $vgpr13
	s_branch .LBB159_2214
.LBB159_2138:
	s_mov_b32 s12, -1
	s_mov_b32 s2, 0
                                        ; implicit-def: $vgpr13
	s_branch .LBB159_2177
.LBB159_2139:
	s_mov_b32 s12, -1
	s_mov_b32 s2, 0
                                        ; implicit-def: $vgpr13
	s_branch .LBB159_2158
.LBB159_2140:
	s_mov_b32 s12, -1
	s_mov_b32 s2, 0
                                        ; implicit-def: $vgpr13
	s_branch .LBB159_2153
.LBB159_2141:
	s_cbranch_execnz .LBB159_2144
; %bb.2142:
	s_or_b32 s10, s10, exec_lo
                                        ; implicit-def: $vgpr8
	s_cbranch_execz .LBB159_2078
	s_branch .LBB159_2079
.LBB159_2143:
	s_mov_b32 s12, -1
	s_mov_b32 s2, 0
	s_branch .LBB159_2147
.LBB159_2144:
	s_trap 2
	s_sendmsg_rtn_b32 s0, sendmsg(MSG_RTN_GET_DOORBELL)
	s_mov_b32 ttmp2, m0
	s_waitcnt lgkmcnt(0)
	s_and_b32 s0, s0, 0x3ff
	s_delay_alu instid0(SALU_CYCLE_1) | instskip(NEXT) | instid1(SALU_CYCLE_1)
	s_bitset1_b32 s0, 10
	s_mov_b32 m0, s0
	s_sendmsg sendmsg(MSG_INTERRUPT)
	s_mov_b32 m0, ttmp2
.LBB159_2145:                           ; =>This Inner Loop Header: Depth=1
	s_sethalt 5
	s_branch .LBB159_2145
.LBB159_2146:
	s_mov_b32 s2, -1
.LBB159_2147:
                                        ; implicit-def: $vgpr13
.LBB159_2148:
	s_and_b32 vcc_lo, exec_lo, s12
	s_cbranch_vccz .LBB159_2152
; %bb.2149:
	v_cmp_eq_u16_e32 vcc_lo, 44, v16
	s_cbranch_vccz .LBB159_2151
; %bb.2150:
	global_load_u8 v6, v[11:12], off
	s_mov_b32 s2, 0
	s_mov_b32 s11, -1
	s_waitcnt vmcnt(0)
	v_lshlrev_b32_e32 v9, 23, v6
	v_cmp_ne_u32_e32 vcc_lo, 0xff, v6
	s_delay_alu instid0(VALU_DEP_2) | instskip(SKIP_1) | instid1(VALU_DEP_2)
	v_cndmask_b32_e32 v9, 0x7f800001, v9, vcc_lo
	v_cmp_ne_u32_e32 vcc_lo, 0, v6
	v_cndmask_b32_e32 v13, 0x400000, v9, vcc_lo
	s_branch .LBB159_2152
.LBB159_2151:
	s_mov_b32 s2, -1
                                        ; implicit-def: $vgpr13
.LBB159_2152:
	s_mov_b32 s12, 0
.LBB159_2153:
	s_delay_alu instid0(SALU_CYCLE_1)
	s_and_b32 vcc_lo, exec_lo, s12
	s_cbranch_vccz .LBB159_2157
; %bb.2154:
	v_cmp_eq_u16_e32 vcc_lo, 29, v16
	s_cbranch_vccz .LBB159_2156
; %bb.2155:
	global_load_b64 v[18:19], v[11:12], off
	s_mov_b32 s2, 0
	s_mov_b32 s11, -1
	s_mov_b32 s12, 0
	s_waitcnt vmcnt(0)
	v_clz_i32_u32_e32 v6, v19
	s_delay_alu instid0(VALU_DEP_1) | instskip(NEXT) | instid1(VALU_DEP_1)
	v_min_u32_e32 v6, 32, v6
	v_lshlrev_b64 v[18:19], v6, v[18:19]
	v_sub_nc_u32_e32 v6, 32, v6
	s_delay_alu instid0(VALU_DEP_2) | instskip(NEXT) | instid1(VALU_DEP_1)
	v_min_u32_e32 v9, 1, v18
	v_or_b32_e32 v9, v19, v9
	s_delay_alu instid0(VALU_DEP_1) | instskip(NEXT) | instid1(VALU_DEP_1)
	v_cvt_f32_u32_e32 v9, v9
	v_ldexp_f32 v13, v9, v6
	s_branch .LBB159_2158
.LBB159_2156:
	s_mov_b32 s2, -1
                                        ; implicit-def: $vgpr13
.LBB159_2157:
	s_mov_b32 s12, 0
.LBB159_2158:
	s_delay_alu instid0(SALU_CYCLE_1)
	s_and_b32 vcc_lo, exec_lo, s12
	s_cbranch_vccz .LBB159_2176
; %bb.2159:
	v_cmp_gt_i16_e32 vcc_lo, 27, v16
	s_cbranch_vccnz .LBB159_2162
; %bb.2160:
	v_cmp_lt_i16_e32 vcc_lo, 27, v16
	s_cbranch_vccz .LBB159_2163
; %bb.2161:
	global_load_b32 v6, v[11:12], off
	s_mov_b32 s11, 0
	s_waitcnt vmcnt(0)
	v_cvt_f32_u32_e32 v13, v6
	s_branch .LBB159_2164
.LBB159_2162:
	s_mov_b32 s11, -1
                                        ; implicit-def: $vgpr13
	s_branch .LBB159_2167
.LBB159_2163:
	s_mov_b32 s11, -1
                                        ; implicit-def: $vgpr13
.LBB159_2164:
	s_delay_alu instid0(SALU_CYCLE_1)
	s_and_not1_b32 vcc_lo, exec_lo, s11
	s_cbranch_vccnz .LBB159_2166
; %bb.2165:
	global_load_u16 v6, v[11:12], off
	s_waitcnt vmcnt(0)
	v_cvt_f32_u32_e32 v13, v6
.LBB159_2166:
	s_mov_b32 s11, 0
.LBB159_2167:
	s_delay_alu instid0(SALU_CYCLE_1)
	s_and_not1_b32 vcc_lo, exec_lo, s11
	s_cbranch_vccnz .LBB159_2175
; %bb.2168:
	global_load_u8 v6, v[11:12], off
	s_mov_b32 s11, 0
	s_mov_b32 s13, exec_lo
                                        ; implicit-def: $sgpr12
	s_waitcnt vmcnt(0)
	v_cmpx_lt_i16_e32 0x7f, v6
	s_xor_b32 s13, exec_lo, s13
	s_cbranch_execz .LBB159_2189
; %bb.2169:
	s_mov_b32 s11, -1
	s_mov_b32 s14, exec_lo
                                        ; implicit-def: $sgpr12
	v_cmpx_eq_u16_e32 0x80, v6
; %bb.2170:
	s_mov_b32 s12, 0x7f800001
	s_xor_b32 s11, exec_lo, -1
; %bb.2171:
	s_or_b32 exec_lo, exec_lo, s14
	s_delay_alu instid0(SALU_CYCLE_1)
	s_and_b32 s11, s11, exec_lo
	s_or_saveexec_b32 s13, s13
	v_mov_b32_e32 v13, s12
	s_xor_b32 exec_lo, exec_lo, s13
	s_cbranch_execnz .LBB159_2190
.LBB159_2172:
	s_or_b32 exec_lo, exec_lo, s13
	s_and_saveexec_b32 s12, s11
	s_cbranch_execz .LBB159_2174
.LBB159_2173:
	v_and_b32_e32 v9, 0xffff, v6
	s_delay_alu instid0(VALU_DEP_1) | instskip(NEXT) | instid1(VALU_DEP_1)
	v_and_b32_e32 v13, 7, v9
	v_clz_i32_u32_e32 v18, v13
	s_delay_alu instid0(VALU_DEP_1) | instskip(NEXT) | instid1(VALU_DEP_1)
	v_min_u32_e32 v18, 32, v18
	v_subrev_nc_u32_e32 v19, 28, v18
	v_sub_nc_u32_e32 v18, 29, v18
	s_delay_alu instid0(VALU_DEP_2) | instskip(SKIP_1) | instid1(VALU_DEP_2)
	v_lshlrev_b32_e32 v19, v19, v9
	v_bfe_u32 v9, v9, 3, 4
	v_and_b32_e32 v19, 7, v19
	s_delay_alu instid0(VALU_DEP_2) | instskip(NEXT) | instid1(VALU_DEP_2)
	v_cmp_eq_u32_e32 vcc_lo, 0, v9
	v_dual_cndmask_b32 v13, v13, v19 :: v_dual_lshlrev_b32 v6, 24, v6
	v_cndmask_b32_e32 v9, v9, v18, vcc_lo
	s_delay_alu instid0(VALU_DEP_2) | instskip(NEXT) | instid1(VALU_DEP_3)
	v_and_b32_e32 v6, 0x80000000, v6
	v_lshlrev_b32_e32 v13, 20, v13
	s_delay_alu instid0(VALU_DEP_3) | instskip(NEXT) | instid1(VALU_DEP_1)
	v_lshl_add_u32 v9, v9, 23, 0x3b800000
	v_or3_b32 v13, v6, v9, v13
.LBB159_2174:
	s_or_b32 exec_lo, exec_lo, s12
.LBB159_2175:
	s_mov_b32 s11, -1
.LBB159_2176:
	s_mov_b32 s12, 0
.LBB159_2177:
	s_delay_alu instid0(SALU_CYCLE_1)
	s_and_b32 vcc_lo, exec_lo, s12
	s_cbranch_vccz .LBB159_2210
; %bb.2178:
	v_cmp_lt_i16_e32 vcc_lo, 22, v16
	s_cbranch_vccz .LBB159_2188
; %bb.2179:
	v_cmp_gt_i16_e32 vcc_lo, 24, v16
	s_cbranch_vccnz .LBB159_2191
; %bb.2180:
	v_cmp_lt_i16_e32 vcc_lo, 24, v16
	s_cbranch_vccz .LBB159_2192
; %bb.2181:
	global_load_u8 v6, v[11:12], off
	s_mov_b32 s12, exec_lo
                                        ; implicit-def: $sgpr11
	s_waitcnt vmcnt(0)
	v_cmpx_lt_i16_e32 0x7f, v6
	s_xor_b32 s12, exec_lo, s12
	s_cbranch_execz .LBB159_2204
; %bb.2182:
	s_mov_b32 s3, -1
	s_mov_b32 s13, exec_lo
                                        ; implicit-def: $sgpr11
	v_cmpx_eq_u16_e32 0x80, v6
; %bb.2183:
	s_mov_b32 s11, 0x7f800001
	s_xor_b32 s3, exec_lo, -1
; %bb.2184:
	s_or_b32 exec_lo, exec_lo, s13
	s_delay_alu instid0(SALU_CYCLE_1)
	s_and_b32 s3, s3, exec_lo
	s_or_saveexec_b32 s12, s12
	v_mov_b32_e32 v13, s11
	s_xor_b32 exec_lo, exec_lo, s12
	s_cbranch_execnz .LBB159_2205
.LBB159_2185:
	s_or_b32 exec_lo, exec_lo, s12
	s_and_saveexec_b32 s11, s3
	s_cbranch_execz .LBB159_2187
.LBB159_2186:
	v_and_b32_e32 v9, 0xffff, v6
	s_delay_alu instid0(VALU_DEP_1) | instskip(NEXT) | instid1(VALU_DEP_1)
	v_and_b32_e32 v13, 3, v9
	v_clz_i32_u32_e32 v18, v13
	s_delay_alu instid0(VALU_DEP_1) | instskip(NEXT) | instid1(VALU_DEP_1)
	v_min_u32_e32 v18, 32, v18
	v_subrev_nc_u32_e32 v19, 29, v18
	v_sub_nc_u32_e32 v18, 30, v18
	s_delay_alu instid0(VALU_DEP_2) | instskip(SKIP_1) | instid1(VALU_DEP_2)
	v_lshlrev_b32_e32 v19, v19, v9
	v_bfe_u32 v9, v9, 2, 5
	v_and_b32_e32 v19, 3, v19
	s_delay_alu instid0(VALU_DEP_2) | instskip(NEXT) | instid1(VALU_DEP_2)
	v_cmp_eq_u32_e32 vcc_lo, 0, v9
	v_dual_cndmask_b32 v13, v13, v19 :: v_dual_lshlrev_b32 v6, 24, v6
	v_cndmask_b32_e32 v9, v9, v18, vcc_lo
	s_delay_alu instid0(VALU_DEP_2) | instskip(NEXT) | instid1(VALU_DEP_3)
	v_and_b32_e32 v6, 0x80000000, v6
	v_lshlrev_b32_e32 v13, 21, v13
	s_delay_alu instid0(VALU_DEP_3) | instskip(NEXT) | instid1(VALU_DEP_1)
	v_lshl_add_u32 v9, v9, 23, 0x37800000
	v_or3_b32 v13, v6, v9, v13
.LBB159_2187:
	s_or_b32 exec_lo, exec_lo, s11
	s_mov_b32 s3, 0
	s_branch .LBB159_2193
.LBB159_2188:
	s_mov_b32 s3, -1
                                        ; implicit-def: $vgpr13
	s_branch .LBB159_2199
.LBB159_2189:
	s_or_saveexec_b32 s13, s13
	v_mov_b32_e32 v13, s12
	s_xor_b32 exec_lo, exec_lo, s13
	s_cbranch_execz .LBB159_2172
.LBB159_2190:
	v_cmp_ne_u16_e32 vcc_lo, 0, v6
	v_mov_b32_e32 v13, 0
	s_and_not1_b32 s11, s11, exec_lo
	s_and_b32 s12, vcc_lo, exec_lo
	s_delay_alu instid0(SALU_CYCLE_1)
	s_or_b32 s11, s11, s12
	s_or_b32 exec_lo, exec_lo, s13
	s_and_saveexec_b32 s12, s11
	s_cbranch_execnz .LBB159_2173
	s_branch .LBB159_2174
.LBB159_2191:
	s_mov_b32 s3, -1
                                        ; implicit-def: $vgpr13
	s_branch .LBB159_2196
.LBB159_2192:
	s_mov_b32 s3, -1
                                        ; implicit-def: $vgpr13
.LBB159_2193:
	s_delay_alu instid0(SALU_CYCLE_1)
	s_and_b32 vcc_lo, exec_lo, s3
	s_cbranch_vccz .LBB159_2195
; %bb.2194:
	global_load_u8 v6, v[11:12], off
	s_waitcnt vmcnt(0)
	v_lshlrev_b32_e32 v6, 24, v6
	s_delay_alu instid0(VALU_DEP_1) | instskip(NEXT) | instid1(VALU_DEP_1)
	v_and_b32_e32 v9, 0x7f000000, v6
	v_clz_i32_u32_e32 v13, v9
	v_add_nc_u32_e32 v19, 0x1000000, v9
	v_cmp_ne_u32_e32 vcc_lo, 0, v9
	s_delay_alu instid0(VALU_DEP_3) | instskip(NEXT) | instid1(VALU_DEP_1)
	v_min_u32_e32 v13, 32, v13
	v_sub_nc_u32_e64 v13, v13, 4 clamp
	s_delay_alu instid0(VALU_DEP_1) | instskip(SKIP_1) | instid1(VALU_DEP_2)
	v_lshlrev_b32_e32 v18, v13, v9
	v_lshlrev_b32_e32 v13, 23, v13
	v_lshrrev_b32_e32 v18, 4, v18
	s_delay_alu instid0(VALU_DEP_1) | instskip(SKIP_1) | instid1(VALU_DEP_2)
	v_sub_nc_u32_e32 v13, v18, v13
	v_ashrrev_i32_e32 v18, 8, v19
	v_add_nc_u32_e32 v13, 0x3c000000, v13
	s_delay_alu instid0(VALU_DEP_1) | instskip(NEXT) | instid1(VALU_DEP_1)
	v_and_or_b32 v13, 0x7f800000, v18, v13
	v_cndmask_b32_e32 v9, 0, v13, vcc_lo
	s_delay_alu instid0(VALU_DEP_1)
	v_and_or_b32 v13, 0x80000000, v6, v9
.LBB159_2195:
	s_mov_b32 s3, 0
.LBB159_2196:
	s_delay_alu instid0(SALU_CYCLE_1)
	s_and_not1_b32 vcc_lo, exec_lo, s3
	s_cbranch_vccnz .LBB159_2198
; %bb.2197:
	global_load_u8 v6, v[11:12], off
	s_waitcnt vmcnt(0)
	v_lshlrev_b32_e32 v9, 25, v6
	v_lshlrev_b16 v6, 8, v6
	s_delay_alu instid0(VALU_DEP_2) | instskip(NEXT) | instid1(VALU_DEP_2)
	v_lshrrev_b32_e32 v13, 4, v9
	v_and_or_b32 v18, 0x7f00, v6, 0.5
	v_cmp_gt_u32_e32 vcc_lo, 0x8000000, v9
	v_bfe_i32 v6, v6, 0, 16
	s_delay_alu instid0(VALU_DEP_4) | instskip(NEXT) | instid1(VALU_DEP_1)
	v_or_b32_e32 v13, 0x70000000, v13
	v_dual_add_f32 v18, -0.5, v18 :: v_dual_mul_f32 v13, 0x7800000, v13
	s_delay_alu instid0(VALU_DEP_1) | instskip(NEXT) | instid1(VALU_DEP_1)
	v_cndmask_b32_e32 v9, v13, v18, vcc_lo
	v_and_or_b32 v13, 0x80000000, v6, v9
.LBB159_2198:
	s_mov_b32 s3, 0
	s_mov_b32 s11, -1
.LBB159_2199:
	s_and_not1_b32 vcc_lo, exec_lo, s3
	s_mov_b32 s3, 0
	s_cbranch_vccnz .LBB159_2210
; %bb.2200:
	v_cmp_lt_i16_e32 vcc_lo, 14, v16
	s_cbranch_vccz .LBB159_2203
; %bb.2201:
	v_cmp_eq_u16_e32 vcc_lo, 15, v16
	s_cbranch_vccz .LBB159_2206
; %bb.2202:
	global_load_u16 v6, v[11:12], off
	s_mov_b32 s2, 0
	s_mov_b32 s11, -1
	s_waitcnt vmcnt(0)
	v_lshlrev_b32_e32 v13, 16, v6
	s_branch .LBB159_2208
.LBB159_2203:
	s_mov_b32 s3, -1
	s_branch .LBB159_2207
.LBB159_2204:
	s_or_saveexec_b32 s12, s12
	v_mov_b32_e32 v13, s11
	s_xor_b32 exec_lo, exec_lo, s12
	s_cbranch_execz .LBB159_2185
.LBB159_2205:
	v_cmp_ne_u16_e32 vcc_lo, 0, v6
	v_mov_b32_e32 v13, 0
	s_and_not1_b32 s3, s3, exec_lo
	s_and_b32 s11, vcc_lo, exec_lo
	s_delay_alu instid0(SALU_CYCLE_1)
	s_or_b32 s3, s3, s11
	s_or_b32 exec_lo, exec_lo, s12
	s_and_saveexec_b32 s11, s3
	s_cbranch_execnz .LBB159_2186
	s_branch .LBB159_2187
.LBB159_2206:
	s_mov_b32 s2, -1
.LBB159_2207:
                                        ; implicit-def: $vgpr13
.LBB159_2208:
	s_and_b32 vcc_lo, exec_lo, s3
	s_mov_b32 s3, 0
	s_cbranch_vccz .LBB159_2210
; %bb.2209:
	v_cmp_ne_u16_e64 s2, 11, v16
	s_mov_b32 s3, -1
                                        ; implicit-def: $vgpr13
.LBB159_2210:
	s_delay_alu instid0(VALU_DEP_1)
	s_and_b32 vcc_lo, exec_lo, s2
	s_cbranch_vccnz .LBB159_2275
; %bb.2211:
	s_and_not1_b32 vcc_lo, exec_lo, s3
	s_cbranch_vccnz .LBB159_2213
.LBB159_2212:
	global_load_u8 v6, v[11:12], off
	s_mov_b32 s11, -1
	s_waitcnt vmcnt(0)
	v_cmp_ne_u16_e32 vcc_lo, 0, v6
	v_cndmask_b32_e64 v13, 0, 1.0, vcc_lo
.LBB159_2213:
	s_mov_b32 s2, 0
.LBB159_2214:
	s_delay_alu instid0(SALU_CYCLE_1)
	s_and_b32 vcc_lo, exec_lo, s2
	s_cbranch_vccz .LBB159_2263
; %bb.2215:
	v_cmp_gt_i16_e32 vcc_lo, 5, v16
	s_cbranch_vccnz .LBB159_2220
; %bb.2216:
	v_cmp_gt_i16_e32 vcc_lo, 8, v16
	s_cbranch_vccnz .LBB159_2221
	;; [unrolled: 3-line block ×3, first 2 shown]
; %bb.2218:
	v_cmp_lt_i16_e32 vcc_lo, 9, v16
	s_cbranch_vccz .LBB159_2223
; %bb.2219:
	global_load_b64 v[18:19], v[11:12], off
	s_mov_b32 s2, 0
	s_waitcnt vmcnt(0)
	v_cvt_f32_f64_e32 v13, v[18:19]
	s_branch .LBB159_2224
.LBB159_2220:
	s_mov_b32 s2, -1
                                        ; implicit-def: $vgpr13
	s_branch .LBB159_2242
.LBB159_2221:
	s_mov_b32 s2, -1
                                        ; implicit-def: $vgpr13
	s_branch .LBB159_2230
.LBB159_2222:
	s_mov_b32 s2, -1
                                        ; implicit-def: $vgpr13
	s_branch .LBB159_2227
.LBB159_2223:
	s_mov_b32 s2, -1
                                        ; implicit-def: $vgpr13
.LBB159_2224:
	s_delay_alu instid0(SALU_CYCLE_1)
	s_and_not1_b32 vcc_lo, exec_lo, s2
	s_cbranch_vccnz .LBB159_2226
; %bb.2225:
	global_load_b32 v13, v[11:12], off
.LBB159_2226:
	s_mov_b32 s2, 0
.LBB159_2227:
	s_delay_alu instid0(SALU_CYCLE_1)
	s_and_not1_b32 vcc_lo, exec_lo, s2
	s_cbranch_vccnz .LBB159_2229
; %bb.2228:
	global_load_b32 v6, v[11:12], off
	s_waitcnt vmcnt(0)
	v_cvt_f32_f16_e32 v13, v6
.LBB159_2229:
	s_mov_b32 s2, 0
.LBB159_2230:
	s_delay_alu instid0(SALU_CYCLE_1)
	s_and_not1_b32 vcc_lo, exec_lo, s2
	s_cbranch_vccnz .LBB159_2241
; %bb.2231:
	v_cmp_gt_i16_e32 vcc_lo, 6, v16
	s_cbranch_vccnz .LBB159_2234
; %bb.2232:
	v_cmp_lt_i16_e32 vcc_lo, 6, v16
	s_cbranch_vccz .LBB159_2235
; %bb.2233:
	global_load_b64 v[18:19], v[11:12], off
	s_mov_b32 s2, 0
	s_waitcnt vmcnt(0)
	v_cvt_f32_f64_e32 v13, v[18:19]
	s_branch .LBB159_2236
.LBB159_2234:
	s_mov_b32 s2, -1
                                        ; implicit-def: $vgpr13
	s_branch .LBB159_2239
.LBB159_2235:
	s_mov_b32 s2, -1
                                        ; implicit-def: $vgpr13
.LBB159_2236:
	s_delay_alu instid0(SALU_CYCLE_1)
	s_and_not1_b32 vcc_lo, exec_lo, s2
	s_cbranch_vccnz .LBB159_2238
; %bb.2237:
	global_load_b32 v13, v[11:12], off
.LBB159_2238:
	s_mov_b32 s2, 0
.LBB159_2239:
	s_delay_alu instid0(SALU_CYCLE_1)
	s_and_not1_b32 vcc_lo, exec_lo, s2
	s_cbranch_vccnz .LBB159_2241
; %bb.2240:
	global_load_u16 v6, v[11:12], off
	s_waitcnt vmcnt(0)
	v_cvt_f32_f16_e32 v13, v6
.LBB159_2241:
	s_mov_b32 s2, 0
.LBB159_2242:
	s_delay_alu instid0(SALU_CYCLE_1)
	s_and_not1_b32 vcc_lo, exec_lo, s2
	s_cbranch_vccnz .LBB159_2262
; %bb.2243:
	v_cmp_gt_i16_e32 vcc_lo, 2, v16
	s_cbranch_vccnz .LBB159_2247
; %bb.2244:
	v_cmp_gt_i16_e32 vcc_lo, 3, v16
	s_cbranch_vccnz .LBB159_2248
; %bb.2245:
	v_cmp_lt_i16_e32 vcc_lo, 3, v16
	s_cbranch_vccz .LBB159_2249
; %bb.2246:
	global_load_b64 v[18:19], v[11:12], off
	s_mov_b32 s2, 0
	s_waitcnt vmcnt(0)
	v_xor_b32_e32 v6, v18, v19
	v_cls_i32_e32 v9, v19
	s_delay_alu instid0(VALU_DEP_2) | instskip(NEXT) | instid1(VALU_DEP_2)
	v_ashrrev_i32_e32 v6, 31, v6
	v_add_nc_u32_e32 v9, -1, v9
	s_delay_alu instid0(VALU_DEP_2) | instskip(NEXT) | instid1(VALU_DEP_1)
	v_add_nc_u32_e32 v6, 32, v6
	v_min_u32_e32 v6, v9, v6
	s_delay_alu instid0(VALU_DEP_1) | instskip(SKIP_1) | instid1(VALU_DEP_2)
	v_lshlrev_b64 v[18:19], v6, v[18:19]
	v_sub_nc_u32_e32 v6, 32, v6
	v_min_u32_e32 v9, 1, v18
	s_delay_alu instid0(VALU_DEP_1) | instskip(NEXT) | instid1(VALU_DEP_1)
	v_or_b32_e32 v9, v19, v9
	v_cvt_f32_i32_e32 v9, v9
	s_delay_alu instid0(VALU_DEP_1)
	v_ldexp_f32 v13, v9, v6
	s_branch .LBB159_2250
.LBB159_2247:
	s_mov_b32 s2, -1
                                        ; implicit-def: $vgpr13
	s_branch .LBB159_2256
.LBB159_2248:
	s_mov_b32 s2, -1
                                        ; implicit-def: $vgpr13
	s_branch .LBB159_2253
.LBB159_2249:
	s_mov_b32 s2, -1
                                        ; implicit-def: $vgpr13
.LBB159_2250:
	s_delay_alu instid0(SALU_CYCLE_1)
	s_and_not1_b32 vcc_lo, exec_lo, s2
	s_cbranch_vccnz .LBB159_2252
; %bb.2251:
	global_load_b32 v6, v[11:12], off
	s_waitcnt vmcnt(0)
	v_cvt_f32_i32_e32 v13, v6
.LBB159_2252:
	s_mov_b32 s2, 0
.LBB159_2253:
	s_delay_alu instid0(SALU_CYCLE_1)
	s_and_not1_b32 vcc_lo, exec_lo, s2
	s_cbranch_vccnz .LBB159_2255
; %bb.2254:
	global_load_i16 v6, v[11:12], off
	s_waitcnt vmcnt(0)
	v_cvt_f32_i32_e32 v13, v6
.LBB159_2255:
	s_mov_b32 s2, 0
.LBB159_2256:
	s_delay_alu instid0(SALU_CYCLE_1)
	s_and_not1_b32 vcc_lo, exec_lo, s2
	s_cbranch_vccnz .LBB159_2262
; %bb.2257:
	v_cmp_lt_i16_e32 vcc_lo, 0, v16
	s_mov_b32 s2, 0
	s_cbranch_vccz .LBB159_2259
; %bb.2258:
	global_load_i8 v6, v[11:12], off
	s_waitcnt vmcnt(0)
	v_cvt_f32_i32_e32 v13, v6
	s_branch .LBB159_2260
.LBB159_2259:
	s_mov_b32 s2, -1
                                        ; implicit-def: $vgpr13
.LBB159_2260:
	s_delay_alu instid0(SALU_CYCLE_1)
	s_and_not1_b32 vcc_lo, exec_lo, s2
	s_cbranch_vccnz .LBB159_2262
; %bb.2261:
	global_load_u8 v6, v[11:12], off
	s_waitcnt vmcnt(0)
	v_cvt_f32_ubyte0_e32 v13, v6
.LBB159_2262:
	s_mov_b32 s11, -1
.LBB159_2263:
	s_delay_alu instid0(SALU_CYCLE_1)
	s_and_not1_b32 vcc_lo, exec_lo, s11
	s_cbranch_vccnz .LBB159_3049
; %bb.2264:
	v_cmp_gt_i16_e32 vcc_lo, 11, v15
	v_add_co_u32 v11, s2, s0, v10
	s_delay_alu instid0(VALU_DEP_1)
	v_add_co_ci_u32_e64 v12, null, s1, 0, s2
	s_mov_b32 s11, 0
	s_cbranch_vccnz .LBB159_2271
; %bb.2265:
	v_cmp_lt_i16_e32 vcc_lo, 25, v15
	s_mov_b32 s3, 0
	s_cbranch_vccz .LBB159_2272
; %bb.2266:
	v_cmp_lt_i16_e32 vcc_lo, 28, v15
	s_cbranch_vccz .LBB159_2273
; %bb.2267:
	v_cmp_lt_i16_e32 vcc_lo, 43, v15
	;; [unrolled: 3-line block ×3, first 2 shown]
	s_cbranch_vccz .LBB159_2277
; %bb.2269:
	v_cmp_eq_u16_e32 vcc_lo, 46, v15
	s_mov_b32 s12, 0
	s_cbranch_vccz .LBB159_2282
; %bb.2270:
	global_load_b32 v6, v[11:12], off
	s_mov_b32 s2, 0
	s_mov_b32 s11, -1
	s_waitcnt vmcnt(0)
	v_lshlrev_b32_e32 v6, 16, v6
	s_delay_alu instid0(VALU_DEP_1) | instskip(NEXT) | instid1(VALU_DEP_1)
	v_trunc_f32_e32 v6, v6
	v_mul_f32_e64 v9, 0x2f800000, |v6|
	s_delay_alu instid0(VALU_DEP_1) | instskip(NEXT) | instid1(VALU_DEP_1)
	v_floor_f32_e32 v9, v9
	v_fma_f32 v9, 0xcf800000, v9, |v6|
	v_ashrrev_i32_e32 v6, 31, v6
	s_delay_alu instid0(VALU_DEP_2) | instskip(NEXT) | instid1(VALU_DEP_1)
	v_cvt_u32_f32_e32 v9, v9
	v_xor_b32_e32 v9, v9, v6
	s_delay_alu instid0(VALU_DEP_1)
	v_sub_nc_u32_e32 v9, v9, v6
	s_branch .LBB159_2284
.LBB159_2271:
	s_mov_b32 s2, -1
                                        ; implicit-def: $vgpr9
	s_branch .LBB159_2346
.LBB159_2272:
	s_mov_b32 s12, -1
	s_mov_b32 s2, 0
                                        ; implicit-def: $vgpr9
	s_branch .LBB159_2311
.LBB159_2273:
	s_mov_b32 s12, -1
	s_mov_b32 s2, 0
                                        ; implicit-def: $vgpr9
	s_branch .LBB159_2294
.LBB159_2274:
	s_mov_b32 s12, -1
	s_mov_b32 s2, 0
                                        ; implicit-def: $vgpr9
	s_branch .LBB159_2289
.LBB159_2275:
	s_cbranch_execnz .LBB159_2278
; %bb.2276:
	s_or_b32 s10, s10, exec_lo
                                        ; implicit-def: $vgpr13
	s_cbranch_execz .LBB159_2212
	s_branch .LBB159_2213
.LBB159_2277:
	s_mov_b32 s12, -1
	s_mov_b32 s2, 0
	s_branch .LBB159_2283
.LBB159_2278:
	s_trap 2
	s_sendmsg_rtn_b32 s0, sendmsg(MSG_RTN_GET_DOORBELL)
	s_mov_b32 ttmp2, m0
	s_waitcnt lgkmcnt(0)
	s_and_b32 s0, s0, 0x3ff
	s_delay_alu instid0(SALU_CYCLE_1) | instskip(NEXT) | instid1(SALU_CYCLE_1)
	s_bitset1_b32 s0, 10
	s_mov_b32 m0, s0
	s_sendmsg sendmsg(MSG_INTERRUPT)
	s_mov_b32 m0, ttmp2
.LBB159_2279:                           ; =>This Inner Loop Header: Depth=1
	s_sethalt 5
	s_branch .LBB159_2279
.LBB159_2280:
	s_or_saveexec_b32 s50, s50
                                        ; implicit-def: $sgpr51
	s_delay_alu instid0(SALU_CYCLE_1)
	s_xor_b32 exec_lo, exec_lo, s50
	s_cbranch_execz .LBB159_1161
.LBB159_2281:
	v_add_f32_e64 v3, 0x42800000, |v2|
	s_and_not1_b32 s49, s49, exec_lo
	s_mov_b32 s51, 0
	s_delay_alu instid0(VALU_DEP_1) | instskip(NEXT) | instid1(VALU_DEP_1)
	v_and_b32_e32 v3, 0xff, v3
	v_cmp_ne_u32_e32 vcc_lo, 0, v3
	s_and_b32 s52, vcc_lo, exec_lo
	s_delay_alu instid0(SALU_CYCLE_1)
	s_or_b32 s49, s49, s52
	s_or_b32 exec_lo, exec_lo, s50
	v_mov_b32_e32 v5, s51
	s_and_saveexec_b32 s50, s49
	s_cbranch_execnz .LBB159_1162
	s_branch .LBB159_1163
.LBB159_2282:
	s_mov_b32 s2, -1
.LBB159_2283:
                                        ; implicit-def: $vgpr9
.LBB159_2284:
	s_and_b32 vcc_lo, exec_lo, s12
	s_cbranch_vccz .LBB159_2288
; %bb.2285:
	v_cmp_eq_u16_e32 vcc_lo, 44, v15
	s_cbranch_vccz .LBB159_2287
; %bb.2286:
	global_load_u8 v6, v[11:12], off
	s_mov_b32 s2, 0
	s_mov_b32 s11, -1
	s_waitcnt vmcnt(0)
	v_lshlrev_b32_e32 v9, 23, v6
	v_cmp_ne_u32_e32 vcc_lo, 0, v6
	s_delay_alu instid0(VALU_DEP_2) | instskip(NEXT) | instid1(VALU_DEP_1)
	v_trunc_f32_e32 v9, v9
	v_mul_f32_e64 v10, 0x2f800000, |v9|
	s_delay_alu instid0(VALU_DEP_1) | instskip(NEXT) | instid1(VALU_DEP_1)
	v_floor_f32_e32 v10, v10
	v_fma_f32 v10, 0xcf800000, v10, |v9|
	v_ashrrev_i32_e32 v9, 31, v9
	s_delay_alu instid0(VALU_DEP_2) | instskip(NEXT) | instid1(VALU_DEP_1)
	v_cvt_u32_f32_e32 v10, v10
	v_xor_b32_e32 v10, v10, v9
	s_delay_alu instid0(VALU_DEP_1) | instskip(NEXT) | instid1(VALU_DEP_1)
	v_sub_nc_u32_e32 v9, v10, v9
	v_cndmask_b32_e32 v9, 0, v9, vcc_lo
	s_branch .LBB159_2288
.LBB159_2287:
	s_mov_b32 s2, -1
                                        ; implicit-def: $vgpr9
.LBB159_2288:
	s_mov_b32 s12, 0
.LBB159_2289:
	s_delay_alu instid0(SALU_CYCLE_1)
	s_and_b32 vcc_lo, exec_lo, s12
	s_cbranch_vccz .LBB159_2293
; %bb.2290:
	v_cmp_eq_u16_e32 vcc_lo, 29, v15
	s_cbranch_vccz .LBB159_2292
; %bb.2291:
	global_load_b64 v[9:10], v[11:12], off
	s_mov_b32 s2, 0
	s_mov_b32 s11, -1
	s_branch .LBB159_2293
.LBB159_2292:
	s_mov_b32 s2, -1
                                        ; implicit-def: $vgpr9
.LBB159_2293:
	s_mov_b32 s12, 0
.LBB159_2294:
	s_delay_alu instid0(SALU_CYCLE_1)
	s_and_b32 vcc_lo, exec_lo, s12
	s_cbranch_vccz .LBB159_2310
; %bb.2295:
	v_cmp_gt_i16_e32 vcc_lo, 27, v15
	s_cbranch_vccnz .LBB159_2298
; %bb.2296:
	v_cmp_lt_i16_e32 vcc_lo, 27, v15
	s_cbranch_vccz .LBB159_2299
; %bb.2297:
	global_load_b32 v9, v[11:12], off
	s_mov_b32 s11, 0
	s_branch .LBB159_2300
.LBB159_2298:
	s_mov_b32 s11, -1
                                        ; implicit-def: $vgpr9
	s_branch .LBB159_2303
.LBB159_2299:
	s_mov_b32 s11, -1
                                        ; implicit-def: $vgpr9
.LBB159_2300:
	s_delay_alu instid0(SALU_CYCLE_1)
	s_and_not1_b32 vcc_lo, exec_lo, s11
	s_cbranch_vccnz .LBB159_2302
; %bb.2301:
	global_load_u16 v9, v[11:12], off
.LBB159_2302:
	s_mov_b32 s11, 0
.LBB159_2303:
	s_delay_alu instid0(SALU_CYCLE_1)
	s_and_not1_b32 vcc_lo, exec_lo, s11
	s_cbranch_vccnz .LBB159_2309
; %bb.2304:
	global_load_u8 v6, v[11:12], off
	s_mov_b32 s12, 0
	s_mov_b32 s11, exec_lo
                                        ; implicit-def: $sgpr13
	s_waitcnt vmcnt(0)
	v_cmpx_lt_i16_e32 0x7f, v6
	s_xor_b32 s11, exec_lo, s11
	s_cbranch_execz .LBB159_2321
; %bb.2305:
	v_cmp_ne_u16_e32 vcc_lo, 0x80, v6
	s_mov_b32 s13, 0
	s_and_b32 s12, vcc_lo, exec_lo
	s_or_saveexec_b32 s11, s11
	v_mov_b32_e32 v9, s13
	s_xor_b32 exec_lo, exec_lo, s11
	s_cbranch_execnz .LBB159_2322
.LBB159_2306:
	s_or_b32 exec_lo, exec_lo, s11
	s_and_saveexec_b32 s11, s12
	s_cbranch_execz .LBB159_2308
.LBB159_2307:
	v_and_b32_e32 v9, 0xffff, v6
	v_lshlrev_b32_e32 v6, 24, v6
	s_delay_alu instid0(VALU_DEP_2) | instskip(NEXT) | instid1(VALU_DEP_2)
	v_and_b32_e32 v10, 7, v9
	v_and_b32_e32 v6, 0x80000000, v6
	s_delay_alu instid0(VALU_DEP_2) | instskip(NEXT) | instid1(VALU_DEP_1)
	v_clz_i32_u32_e32 v18, v10
	v_min_u32_e32 v18, 32, v18
	s_delay_alu instid0(VALU_DEP_1) | instskip(SKIP_1) | instid1(VALU_DEP_2)
	v_subrev_nc_u32_e32 v19, 28, v18
	v_sub_nc_u32_e32 v18, 29, v18
	v_lshlrev_b32_e32 v19, v19, v9
	v_bfe_u32 v9, v9, 3, 4
	s_delay_alu instid0(VALU_DEP_2) | instskip(NEXT) | instid1(VALU_DEP_2)
	v_and_b32_e32 v19, 7, v19
	v_cmp_eq_u32_e32 vcc_lo, 0, v9
	s_delay_alu instid0(VALU_DEP_2) | instskip(NEXT) | instid1(VALU_DEP_1)
	v_dual_cndmask_b32 v9, v9, v18 :: v_dual_cndmask_b32 v10, v10, v19
	v_lshl_add_u32 v9, v9, 23, 0x3b800000
	s_delay_alu instid0(VALU_DEP_2) | instskip(NEXT) | instid1(VALU_DEP_1)
	v_lshlrev_b32_e32 v10, 20, v10
	v_or3_b32 v6, v6, v9, v10
	s_delay_alu instid0(VALU_DEP_1) | instskip(NEXT) | instid1(VALU_DEP_1)
	v_trunc_f32_e32 v6, v6
	v_mul_f32_e64 v9, 0x2f800000, |v6|
	s_delay_alu instid0(VALU_DEP_1) | instskip(NEXT) | instid1(VALU_DEP_1)
	v_floor_f32_e32 v9, v9
	v_fma_f32 v9, 0xcf800000, v9, |v6|
	v_ashrrev_i32_e32 v6, 31, v6
	s_delay_alu instid0(VALU_DEP_2) | instskip(NEXT) | instid1(VALU_DEP_1)
	v_cvt_u32_f32_e32 v9, v9
	v_xor_b32_e32 v9, v9, v6
	s_delay_alu instid0(VALU_DEP_1)
	v_sub_nc_u32_e32 v9, v9, v6
.LBB159_2308:
	s_or_b32 exec_lo, exec_lo, s11
.LBB159_2309:
	s_mov_b32 s11, -1
.LBB159_2310:
	s_mov_b32 s12, 0
.LBB159_2311:
	s_delay_alu instid0(SALU_CYCLE_1)
	s_and_b32 vcc_lo, exec_lo, s12
	s_cbranch_vccz .LBB159_2342
; %bb.2312:
	v_cmp_lt_i16_e32 vcc_lo, 22, v15
	s_cbranch_vccz .LBB159_2320
; %bb.2313:
	v_cmp_gt_i16_e32 vcc_lo, 24, v15
	s_cbranch_vccnz .LBB159_2323
; %bb.2314:
	v_cmp_lt_i16_e32 vcc_lo, 24, v15
	s_cbranch_vccz .LBB159_2324
; %bb.2315:
	global_load_u8 v6, v[11:12], off
	s_mov_b32 s11, 0
	s_mov_b32 s3, exec_lo
                                        ; implicit-def: $sgpr12
	s_waitcnt vmcnt(0)
	v_cmpx_lt_i16_e32 0x7f, v6
	s_xor_b32 s3, exec_lo, s3
	s_cbranch_execz .LBB159_2336
; %bb.2316:
	v_cmp_ne_u16_e32 vcc_lo, 0x80, v6
	s_mov_b32 s12, 0
	s_and_b32 s11, vcc_lo, exec_lo
	s_or_saveexec_b32 s3, s3
	v_mov_b32_e32 v9, s12
	s_xor_b32 exec_lo, exec_lo, s3
	s_cbranch_execnz .LBB159_2337
.LBB159_2317:
	s_or_b32 exec_lo, exec_lo, s3
	s_and_saveexec_b32 s3, s11
	s_cbranch_execz .LBB159_2319
.LBB159_2318:
	v_and_b32_e32 v9, 0xffff, v6
	v_lshlrev_b32_e32 v6, 24, v6
	s_delay_alu instid0(VALU_DEP_2) | instskip(NEXT) | instid1(VALU_DEP_2)
	v_and_b32_e32 v10, 3, v9
	v_and_b32_e32 v6, 0x80000000, v6
	s_delay_alu instid0(VALU_DEP_2) | instskip(NEXT) | instid1(VALU_DEP_1)
	v_clz_i32_u32_e32 v18, v10
	v_min_u32_e32 v18, 32, v18
	s_delay_alu instid0(VALU_DEP_1) | instskip(SKIP_1) | instid1(VALU_DEP_2)
	v_subrev_nc_u32_e32 v19, 29, v18
	v_sub_nc_u32_e32 v18, 30, v18
	v_lshlrev_b32_e32 v19, v19, v9
	v_bfe_u32 v9, v9, 2, 5
	s_delay_alu instid0(VALU_DEP_2) | instskip(NEXT) | instid1(VALU_DEP_2)
	v_and_b32_e32 v19, 3, v19
	v_cmp_eq_u32_e32 vcc_lo, 0, v9
	s_delay_alu instid0(VALU_DEP_2) | instskip(NEXT) | instid1(VALU_DEP_1)
	v_dual_cndmask_b32 v9, v9, v18 :: v_dual_cndmask_b32 v10, v10, v19
	v_lshl_add_u32 v9, v9, 23, 0x37800000
	s_delay_alu instid0(VALU_DEP_2) | instskip(NEXT) | instid1(VALU_DEP_1)
	v_lshlrev_b32_e32 v10, 21, v10
	v_or3_b32 v6, v6, v9, v10
	s_delay_alu instid0(VALU_DEP_1) | instskip(NEXT) | instid1(VALU_DEP_1)
	v_trunc_f32_e32 v6, v6
	v_mul_f32_e64 v9, 0x2f800000, |v6|
	s_delay_alu instid0(VALU_DEP_1) | instskip(NEXT) | instid1(VALU_DEP_1)
	v_floor_f32_e32 v9, v9
	v_fma_f32 v9, 0xcf800000, v9, |v6|
	v_ashrrev_i32_e32 v6, 31, v6
	s_delay_alu instid0(VALU_DEP_2) | instskip(NEXT) | instid1(VALU_DEP_1)
	v_cvt_u32_f32_e32 v9, v9
	v_xor_b32_e32 v9, v9, v6
	s_delay_alu instid0(VALU_DEP_1)
	v_sub_nc_u32_e32 v9, v9, v6
.LBB159_2319:
	s_or_b32 exec_lo, exec_lo, s3
	s_mov_b32 s3, 0
	s_branch .LBB159_2325
.LBB159_2320:
	s_mov_b32 s3, -1
                                        ; implicit-def: $vgpr9
	s_branch .LBB159_2331
.LBB159_2321:
	s_or_saveexec_b32 s11, s11
	v_mov_b32_e32 v9, s13
	s_xor_b32 exec_lo, exec_lo, s11
	s_cbranch_execz .LBB159_2306
.LBB159_2322:
	v_cmp_ne_u16_e32 vcc_lo, 0, v6
	v_mov_b32_e32 v9, 0
	s_and_not1_b32 s12, s12, exec_lo
	s_and_b32 s13, vcc_lo, exec_lo
	s_delay_alu instid0(SALU_CYCLE_1)
	s_or_b32 s12, s12, s13
	s_or_b32 exec_lo, exec_lo, s11
	s_and_saveexec_b32 s11, s12
	s_cbranch_execnz .LBB159_2307
	s_branch .LBB159_2308
.LBB159_2323:
	s_mov_b32 s3, -1
                                        ; implicit-def: $vgpr9
	s_branch .LBB159_2328
.LBB159_2324:
	s_mov_b32 s3, -1
                                        ; implicit-def: $vgpr9
.LBB159_2325:
	s_delay_alu instid0(SALU_CYCLE_1)
	s_and_b32 vcc_lo, exec_lo, s3
	s_cbranch_vccz .LBB159_2327
; %bb.2326:
	global_load_u8 v6, v[11:12], off
	s_waitcnt vmcnt(0)
	v_lshlrev_b32_e32 v6, 24, v6
	s_delay_alu instid0(VALU_DEP_1) | instskip(NEXT) | instid1(VALU_DEP_1)
	v_and_b32_e32 v9, 0x7f000000, v6
	v_clz_i32_u32_e32 v10, v9
	v_cmp_ne_u32_e32 vcc_lo, 0, v9
	v_add_nc_u32_e32 v19, 0x1000000, v9
	s_delay_alu instid0(VALU_DEP_3) | instskip(NEXT) | instid1(VALU_DEP_1)
	v_min_u32_e32 v10, 32, v10
	v_sub_nc_u32_e64 v10, v10, 4 clamp
	s_delay_alu instid0(VALU_DEP_1) | instskip(SKIP_1) | instid1(VALU_DEP_2)
	v_lshlrev_b32_e32 v18, v10, v9
	v_lshlrev_b32_e32 v10, 23, v10
	v_lshrrev_b32_e32 v18, 4, v18
	s_delay_alu instid0(VALU_DEP_1) | instskip(SKIP_1) | instid1(VALU_DEP_2)
	v_sub_nc_u32_e32 v10, v18, v10
	v_ashrrev_i32_e32 v18, 8, v19
	v_add_nc_u32_e32 v10, 0x3c000000, v10
	s_delay_alu instid0(VALU_DEP_1) | instskip(NEXT) | instid1(VALU_DEP_1)
	v_and_or_b32 v10, 0x7f800000, v18, v10
	v_cndmask_b32_e32 v9, 0, v10, vcc_lo
	s_delay_alu instid0(VALU_DEP_1) | instskip(NEXT) | instid1(VALU_DEP_1)
	v_and_or_b32 v6, 0x80000000, v6, v9
	v_trunc_f32_e32 v6, v6
	s_delay_alu instid0(VALU_DEP_1) | instskip(NEXT) | instid1(VALU_DEP_1)
	v_mul_f32_e64 v9, 0x2f800000, |v6|
	v_floor_f32_e32 v9, v9
	s_delay_alu instid0(VALU_DEP_1) | instskip(SKIP_1) | instid1(VALU_DEP_2)
	v_fma_f32 v9, 0xcf800000, v9, |v6|
	v_ashrrev_i32_e32 v6, 31, v6
	v_cvt_u32_f32_e32 v9, v9
	s_delay_alu instid0(VALU_DEP_1) | instskip(NEXT) | instid1(VALU_DEP_1)
	v_xor_b32_e32 v9, v9, v6
	v_sub_nc_u32_e32 v9, v9, v6
.LBB159_2327:
	s_mov_b32 s3, 0
.LBB159_2328:
	s_delay_alu instid0(SALU_CYCLE_1)
	s_and_not1_b32 vcc_lo, exec_lo, s3
	s_cbranch_vccnz .LBB159_2330
; %bb.2329:
	global_load_u8 v6, v[11:12], off
	s_waitcnt vmcnt(0)
	v_lshlrev_b32_e32 v9, 25, v6
	v_lshlrev_b16 v6, 8, v6
	s_delay_alu instid0(VALU_DEP_2) | instskip(NEXT) | instid1(VALU_DEP_2)
	v_lshrrev_b32_e32 v10, 4, v9
	v_and_or_b32 v18, 0x7f00, v6, 0.5
	v_cmp_gt_u32_e32 vcc_lo, 0x8000000, v9
	v_bfe_i32 v6, v6, 0, 16
	s_delay_alu instid0(VALU_DEP_4) | instskip(NEXT) | instid1(VALU_DEP_4)
	v_or_b32_e32 v10, 0x70000000, v10
	v_add_f32_e32 v18, -0.5, v18
	s_delay_alu instid0(VALU_DEP_2) | instskip(NEXT) | instid1(VALU_DEP_1)
	v_mul_f32_e32 v10, 0x7800000, v10
	v_cndmask_b32_e32 v9, v10, v18, vcc_lo
	s_delay_alu instid0(VALU_DEP_1) | instskip(NEXT) | instid1(VALU_DEP_1)
	v_and_or_b32 v6, 0x80000000, v6, v9
	v_trunc_f32_e32 v6, v6
	s_delay_alu instid0(VALU_DEP_1) | instskip(NEXT) | instid1(VALU_DEP_1)
	v_mul_f32_e64 v9, 0x2f800000, |v6|
	v_floor_f32_e32 v9, v9
	s_delay_alu instid0(VALU_DEP_1) | instskip(SKIP_1) | instid1(VALU_DEP_2)
	v_fma_f32 v9, 0xcf800000, v9, |v6|
	v_ashrrev_i32_e32 v6, 31, v6
	v_cvt_u32_f32_e32 v9, v9
	s_delay_alu instid0(VALU_DEP_1) | instskip(NEXT) | instid1(VALU_DEP_1)
	v_xor_b32_e32 v9, v9, v6
	v_sub_nc_u32_e32 v9, v9, v6
.LBB159_2330:
	s_mov_b32 s3, 0
	s_mov_b32 s11, -1
.LBB159_2331:
	s_and_not1_b32 vcc_lo, exec_lo, s3
	s_mov_b32 s3, 0
	s_cbranch_vccnz .LBB159_2342
; %bb.2332:
	v_cmp_lt_i16_e32 vcc_lo, 14, v15
	s_cbranch_vccz .LBB159_2335
; %bb.2333:
	v_cmp_eq_u16_e32 vcc_lo, 15, v15
	s_cbranch_vccz .LBB159_2338
; %bb.2334:
	global_load_u16 v6, v[11:12], off
	s_mov_b32 s2, 0
	s_mov_b32 s11, -1
	s_waitcnt vmcnt(0)
	v_lshlrev_b32_e32 v6, 16, v6
	s_delay_alu instid0(VALU_DEP_1) | instskip(NEXT) | instid1(VALU_DEP_1)
	v_trunc_f32_e32 v6, v6
	v_mul_f32_e64 v9, 0x2f800000, |v6|
	s_delay_alu instid0(VALU_DEP_1) | instskip(NEXT) | instid1(VALU_DEP_1)
	v_floor_f32_e32 v9, v9
	v_fma_f32 v9, 0xcf800000, v9, |v6|
	v_ashrrev_i32_e32 v6, 31, v6
	s_delay_alu instid0(VALU_DEP_2) | instskip(NEXT) | instid1(VALU_DEP_1)
	v_cvt_u32_f32_e32 v9, v9
	v_xor_b32_e32 v9, v9, v6
	s_delay_alu instid0(VALU_DEP_1)
	v_sub_nc_u32_e32 v9, v9, v6
	s_branch .LBB159_2340
.LBB159_2335:
	s_mov_b32 s3, -1
	s_branch .LBB159_2339
.LBB159_2336:
	s_or_saveexec_b32 s3, s3
	v_mov_b32_e32 v9, s12
	s_xor_b32 exec_lo, exec_lo, s3
	s_cbranch_execz .LBB159_2317
.LBB159_2337:
	v_cmp_ne_u16_e32 vcc_lo, 0, v6
	v_mov_b32_e32 v9, 0
	s_and_not1_b32 s11, s11, exec_lo
	s_and_b32 s12, vcc_lo, exec_lo
	s_delay_alu instid0(SALU_CYCLE_1)
	s_or_b32 s11, s11, s12
	s_or_b32 exec_lo, exec_lo, s3
	s_and_saveexec_b32 s3, s11
	s_cbranch_execnz .LBB159_2318
	s_branch .LBB159_2319
.LBB159_2338:
	s_mov_b32 s2, -1
.LBB159_2339:
                                        ; implicit-def: $vgpr9
.LBB159_2340:
	s_and_b32 vcc_lo, exec_lo, s3
	s_mov_b32 s3, 0
	s_cbranch_vccz .LBB159_2342
; %bb.2341:
	v_cmp_ne_u16_e64 s2, 11, v15
	s_mov_b32 s3, -1
                                        ; implicit-def: $vgpr9
.LBB159_2342:
	s_delay_alu instid0(VALU_DEP_1)
	s_and_b32 vcc_lo, exec_lo, s2
	s_cbranch_vccnz .LBB159_2407
; %bb.2343:
	s_and_not1_b32 vcc_lo, exec_lo, s3
	s_cbranch_vccnz .LBB159_2345
.LBB159_2344:
	global_load_u8 v6, v[11:12], off
	s_mov_b32 s11, -1
	s_waitcnt vmcnt(0)
	v_cmp_ne_u16_e32 vcc_lo, 0, v6
	v_cndmask_b32_e64 v9, 0, 1, vcc_lo
.LBB159_2345:
	s_mov_b32 s2, 0
.LBB159_2346:
	s_delay_alu instid0(SALU_CYCLE_1)
	s_and_b32 vcc_lo, exec_lo, s2
	s_cbranch_vccz .LBB159_2395
; %bb.2347:
	v_cmp_gt_i16_e32 vcc_lo, 5, v15
	s_cbranch_vccnz .LBB159_2352
; %bb.2348:
	v_cmp_gt_i16_e32 vcc_lo, 8, v15
	s_cbranch_vccnz .LBB159_2353
	;; [unrolled: 3-line block ×3, first 2 shown]
; %bb.2350:
	v_cmp_lt_i16_e32 vcc_lo, 9, v15
	s_cbranch_vccz .LBB159_2355
; %bb.2351:
	global_load_b64 v[9:10], v[11:12], off
	s_mov_b32 s2, 0
	s_waitcnt vmcnt(0)
	v_trunc_f64_e32 v[9:10], v[9:10]
	s_delay_alu instid0(VALU_DEP_1) | instskip(NEXT) | instid1(VALU_DEP_1)
	v_ldexp_f64 v[18:19], v[9:10], 0xffffffe0
	v_floor_f64_e32 v[18:19], v[18:19]
	s_delay_alu instid0(VALU_DEP_1) | instskip(NEXT) | instid1(VALU_DEP_1)
	v_fma_f64 v[9:10], 0xc1f00000, v[18:19], v[9:10]
	v_cvt_u32_f64_e32 v9, v[9:10]
	s_branch .LBB159_2356
.LBB159_2352:
	s_mov_b32 s2, -1
                                        ; implicit-def: $vgpr9
	s_branch .LBB159_2374
.LBB159_2353:
	s_mov_b32 s2, -1
                                        ; implicit-def: $vgpr9
	s_branch .LBB159_2362
.LBB159_2354:
	s_mov_b32 s2, -1
                                        ; implicit-def: $vgpr9
	s_branch .LBB159_2359
.LBB159_2355:
	s_mov_b32 s2, -1
                                        ; implicit-def: $vgpr9
.LBB159_2356:
	s_delay_alu instid0(SALU_CYCLE_1)
	s_and_not1_b32 vcc_lo, exec_lo, s2
	s_cbranch_vccnz .LBB159_2358
; %bb.2357:
	global_load_b32 v6, v[11:12], off
	s_waitcnt vmcnt(0)
	v_trunc_f32_e32 v6, v6
	s_delay_alu instid0(VALU_DEP_1) | instskip(NEXT) | instid1(VALU_DEP_1)
	v_mul_f32_e64 v9, 0x2f800000, |v6|
	v_floor_f32_e32 v9, v9
	s_delay_alu instid0(VALU_DEP_1) | instskip(SKIP_1) | instid1(VALU_DEP_2)
	v_fma_f32 v9, 0xcf800000, v9, |v6|
	v_ashrrev_i32_e32 v6, 31, v6
	v_cvt_u32_f32_e32 v9, v9
	s_delay_alu instid0(VALU_DEP_1) | instskip(NEXT) | instid1(VALU_DEP_1)
	v_xor_b32_e32 v9, v9, v6
	v_sub_nc_u32_e32 v9, v9, v6
.LBB159_2358:
	s_mov_b32 s2, 0
.LBB159_2359:
	s_delay_alu instid0(SALU_CYCLE_1)
	s_and_not1_b32 vcc_lo, exec_lo, s2
	s_cbranch_vccnz .LBB159_2361
; %bb.2360:
	global_load_b32 v6, v[11:12], off
	s_waitcnt vmcnt(0)
	v_cvt_f32_f16_e32 v6, v6
	s_delay_alu instid0(VALU_DEP_1)
	v_cvt_i32_f32_e32 v9, v6
.LBB159_2361:
	s_mov_b32 s2, 0
.LBB159_2362:
	s_delay_alu instid0(SALU_CYCLE_1)
	s_and_not1_b32 vcc_lo, exec_lo, s2
	s_cbranch_vccnz .LBB159_2373
; %bb.2363:
	v_cmp_gt_i16_e32 vcc_lo, 6, v15
	s_cbranch_vccnz .LBB159_2366
; %bb.2364:
	v_cmp_lt_i16_e32 vcc_lo, 6, v15
	s_cbranch_vccz .LBB159_2367
; %bb.2365:
	global_load_b64 v[9:10], v[11:12], off
	s_mov_b32 s2, 0
	s_waitcnt vmcnt(0)
	v_trunc_f64_e32 v[9:10], v[9:10]
	s_delay_alu instid0(VALU_DEP_1) | instskip(NEXT) | instid1(VALU_DEP_1)
	v_ldexp_f64 v[18:19], v[9:10], 0xffffffe0
	v_floor_f64_e32 v[18:19], v[18:19]
	s_delay_alu instid0(VALU_DEP_1) | instskip(NEXT) | instid1(VALU_DEP_1)
	v_fma_f64 v[9:10], 0xc1f00000, v[18:19], v[9:10]
	v_cvt_u32_f64_e32 v9, v[9:10]
	s_branch .LBB159_2368
.LBB159_2366:
	s_mov_b32 s2, -1
                                        ; implicit-def: $vgpr9
	s_branch .LBB159_2371
.LBB159_2367:
	s_mov_b32 s2, -1
                                        ; implicit-def: $vgpr9
.LBB159_2368:
	s_delay_alu instid0(SALU_CYCLE_1)
	s_and_not1_b32 vcc_lo, exec_lo, s2
	s_cbranch_vccnz .LBB159_2370
; %bb.2369:
	global_load_b32 v6, v[11:12], off
	s_waitcnt vmcnt(0)
	v_trunc_f32_e32 v6, v6
	s_delay_alu instid0(VALU_DEP_1) | instskip(NEXT) | instid1(VALU_DEP_1)
	v_mul_f32_e64 v9, 0x2f800000, |v6|
	v_floor_f32_e32 v9, v9
	s_delay_alu instid0(VALU_DEP_1) | instskip(SKIP_1) | instid1(VALU_DEP_2)
	v_fma_f32 v9, 0xcf800000, v9, |v6|
	v_ashrrev_i32_e32 v6, 31, v6
	v_cvt_u32_f32_e32 v9, v9
	s_delay_alu instid0(VALU_DEP_1) | instskip(NEXT) | instid1(VALU_DEP_1)
	v_xor_b32_e32 v9, v9, v6
	v_sub_nc_u32_e32 v9, v9, v6
.LBB159_2370:
	s_mov_b32 s2, 0
.LBB159_2371:
	s_delay_alu instid0(SALU_CYCLE_1)
	s_and_not1_b32 vcc_lo, exec_lo, s2
	s_cbranch_vccnz .LBB159_2373
; %bb.2372:
	global_load_u16 v6, v[11:12], off
	s_waitcnt vmcnt(0)
	v_cvt_f32_f16_e32 v6, v6
	s_delay_alu instid0(VALU_DEP_1)
	v_cvt_i32_f32_e32 v9, v6
.LBB159_2373:
	s_mov_b32 s2, 0
.LBB159_2374:
	s_delay_alu instid0(SALU_CYCLE_1)
	s_and_not1_b32 vcc_lo, exec_lo, s2
	s_cbranch_vccnz .LBB159_2394
; %bb.2375:
	v_cmp_gt_i16_e32 vcc_lo, 2, v15
	s_cbranch_vccnz .LBB159_2379
; %bb.2376:
	v_cmp_gt_i16_e32 vcc_lo, 3, v15
	s_cbranch_vccnz .LBB159_2380
; %bb.2377:
	v_cmp_lt_i16_e32 vcc_lo, 3, v15
	s_cbranch_vccz .LBB159_2381
; %bb.2378:
	global_load_b64 v[9:10], v[11:12], off
	s_mov_b32 s2, 0
	s_branch .LBB159_2382
.LBB159_2379:
	s_mov_b32 s2, -1
                                        ; implicit-def: $vgpr9
	s_branch .LBB159_2388
.LBB159_2380:
	s_mov_b32 s2, -1
                                        ; implicit-def: $vgpr9
	s_branch .LBB159_2385
.LBB159_2381:
	s_mov_b32 s2, -1
                                        ; implicit-def: $vgpr9
.LBB159_2382:
	s_delay_alu instid0(SALU_CYCLE_1)
	s_and_not1_b32 vcc_lo, exec_lo, s2
	s_cbranch_vccnz .LBB159_2384
; %bb.2383:
	global_load_b32 v9, v[11:12], off
.LBB159_2384:
	s_mov_b32 s2, 0
.LBB159_2385:
	s_delay_alu instid0(SALU_CYCLE_1)
	s_and_not1_b32 vcc_lo, exec_lo, s2
	s_cbranch_vccnz .LBB159_2387
; %bb.2386:
	global_load_u16 v9, v[11:12], off
.LBB159_2387:
	s_mov_b32 s2, 0
.LBB159_2388:
	s_delay_alu instid0(SALU_CYCLE_1)
	s_and_not1_b32 vcc_lo, exec_lo, s2
	s_cbranch_vccnz .LBB159_2394
; %bb.2389:
	v_cmp_lt_i16_e32 vcc_lo, 0, v15
	s_mov_b32 s2, 0
	s_cbranch_vccz .LBB159_2391
; %bb.2390:
	global_load_u8 v9, v[11:12], off
	s_branch .LBB159_2392
.LBB159_2391:
	s_mov_b32 s2, -1
                                        ; implicit-def: $vgpr9
.LBB159_2392:
	s_delay_alu instid0(SALU_CYCLE_1)
	s_and_not1_b32 vcc_lo, exec_lo, s2
	s_cbranch_vccnz .LBB159_2394
; %bb.2393:
	global_load_u8 v9, v[11:12], off
.LBB159_2394:
	s_mov_b32 s11, -1
.LBB159_2395:
	s_delay_alu instid0(SALU_CYCLE_1)
	s_and_not1_b32 vcc_lo, exec_lo, s11
	s_cbranch_vccnz .LBB159_3049
; %bb.2396:
	v_cmp_gt_i16_e32 vcc_lo, 11, v16
	s_waitcnt vmcnt(0)
	v_add_co_u32 v6, s2, s6, v7
	s_delay_alu instid0(VALU_DEP_1)
	v_add_co_ci_u32_e64 v7, null, s7, 0, s2
	s_mov_b32 s6, 0
	s_cbranch_vccnz .LBB159_2403
; %bb.2397:
	v_cmp_lt_i16_e32 vcc_lo, 25, v16
	s_mov_b32 s3, 0
	s_cbranch_vccz .LBB159_2404
; %bb.2398:
	v_cmp_lt_i16_e32 vcc_lo, 28, v16
	s_cbranch_vccz .LBB159_2405
; %bb.2399:
	v_cmp_lt_i16_e32 vcc_lo, 43, v16
	s_cbranch_vccz .LBB159_2406
; %bb.2400:
	v_cmp_lt_i16_e32 vcc_lo, 45, v16
	s_cbranch_vccz .LBB159_2409
; %bb.2401:
	v_cmp_eq_u16_e32 vcc_lo, 46, v16
	s_mov_b32 s7, 0
	s_cbranch_vccz .LBB159_2412
; %bb.2402:
	global_load_b32 v10, v[6:7], off
	s_mov_b32 s2, 0
	s_mov_b32 s6, -1
	s_waitcnt vmcnt(0)
	v_lshlrev_b32_e32 v12, 16, v10
	s_branch .LBB159_2414
.LBB159_2403:
	s_mov_b32 s2, -1
                                        ; implicit-def: $vgpr12
	s_branch .LBB159_2480
.LBB159_2404:
	s_mov_b32 s7, -1
	s_mov_b32 s2, 0
                                        ; implicit-def: $vgpr12
	s_branch .LBB159_2443
.LBB159_2405:
	s_mov_b32 s7, -1
	s_mov_b32 s2, 0
                                        ; implicit-def: $vgpr12
	s_branch .LBB159_2424
.LBB159_2406:
	s_mov_b32 s7, -1
	s_mov_b32 s2, 0
                                        ; implicit-def: $vgpr12
	s_branch .LBB159_2419
.LBB159_2407:
	s_cbranch_execnz .LBB159_2410
; %bb.2408:
	s_or_b32 s10, s10, exec_lo
                                        ; implicit-def: $vgpr9
	s_cbranch_execz .LBB159_2344
	s_branch .LBB159_2345
.LBB159_2409:
	s_mov_b32 s7, -1
	s_mov_b32 s2, 0
	s_branch .LBB159_2413
.LBB159_2410:
	s_trap 2
	s_sendmsg_rtn_b32 s0, sendmsg(MSG_RTN_GET_DOORBELL)
	s_mov_b32 ttmp2, m0
	s_waitcnt lgkmcnt(0)
	s_and_b32 s0, s0, 0x3ff
	s_delay_alu instid0(SALU_CYCLE_1) | instskip(NEXT) | instid1(SALU_CYCLE_1)
	s_bitset1_b32 s0, 10
	s_mov_b32 m0, s0
	s_sendmsg sendmsg(MSG_INTERRUPT)
	s_mov_b32 m0, ttmp2
.LBB159_2411:                           ; =>This Inner Loop Header: Depth=1
	s_sethalt 5
	s_branch .LBB159_2411
.LBB159_2412:
	s_mov_b32 s2, -1
.LBB159_2413:
                                        ; implicit-def: $vgpr12
.LBB159_2414:
	s_and_b32 vcc_lo, exec_lo, s7
	s_cbranch_vccz .LBB159_2418
; %bb.2415:
	v_cmp_eq_u16_e32 vcc_lo, 44, v16
	s_cbranch_vccz .LBB159_2417
; %bb.2416:
	global_load_u8 v10, v[6:7], off
	s_mov_b32 s2, 0
	s_mov_b32 s6, -1
	s_waitcnt vmcnt(0)
	v_lshlrev_b32_e32 v11, 23, v10
	v_cmp_ne_u32_e32 vcc_lo, 0xff, v10
	s_delay_alu instid0(VALU_DEP_2) | instskip(SKIP_1) | instid1(VALU_DEP_2)
	v_cndmask_b32_e32 v11, 0x7f800001, v11, vcc_lo
	v_cmp_ne_u32_e32 vcc_lo, 0, v10
	v_cndmask_b32_e32 v12, 0x400000, v11, vcc_lo
	s_branch .LBB159_2418
.LBB159_2417:
	s_mov_b32 s2, -1
                                        ; implicit-def: $vgpr12
.LBB159_2418:
	s_mov_b32 s7, 0
.LBB159_2419:
	s_delay_alu instid0(SALU_CYCLE_1)
	s_and_b32 vcc_lo, exec_lo, s7
	s_cbranch_vccz .LBB159_2423
; %bb.2420:
	v_cmp_eq_u16_e32 vcc_lo, 29, v16
	s_cbranch_vccz .LBB159_2422
; %bb.2421:
	global_load_b64 v[10:11], v[6:7], off
	s_mov_b32 s2, 0
	s_mov_b32 s6, -1
	s_mov_b32 s7, 0
	s_waitcnt vmcnt(0)
	v_clz_i32_u32_e32 v12, v11
	s_delay_alu instid0(VALU_DEP_1) | instskip(NEXT) | instid1(VALU_DEP_1)
	v_min_u32_e32 v12, 32, v12
	v_lshlrev_b64 v[10:11], v12, v[10:11]
	s_delay_alu instid0(VALU_DEP_1) | instskip(NEXT) | instid1(VALU_DEP_1)
	v_min_u32_e32 v10, 1, v10
	v_or_b32_e32 v10, v11, v10
	v_sub_nc_u32_e32 v11, 32, v12
	s_delay_alu instid0(VALU_DEP_2) | instskip(NEXT) | instid1(VALU_DEP_1)
	v_cvt_f32_u32_e32 v10, v10
	v_ldexp_f32 v12, v10, v11
	s_branch .LBB159_2424
.LBB159_2422:
	s_mov_b32 s2, -1
                                        ; implicit-def: $vgpr12
.LBB159_2423:
	s_mov_b32 s7, 0
.LBB159_2424:
	s_delay_alu instid0(SALU_CYCLE_1)
	s_and_b32 vcc_lo, exec_lo, s7
	s_cbranch_vccz .LBB159_2442
; %bb.2425:
	v_cmp_gt_i16_e32 vcc_lo, 27, v16
	s_cbranch_vccnz .LBB159_2428
; %bb.2426:
	v_cmp_lt_i16_e32 vcc_lo, 27, v16
	s_cbranch_vccz .LBB159_2429
; %bb.2427:
	global_load_b32 v10, v[6:7], off
	s_mov_b32 s6, 0
	s_waitcnt vmcnt(0)
	v_cvt_f32_u32_e32 v12, v10
	s_branch .LBB159_2430
.LBB159_2428:
	s_mov_b32 s6, -1
                                        ; implicit-def: $vgpr12
	s_branch .LBB159_2433
.LBB159_2429:
	s_mov_b32 s6, -1
                                        ; implicit-def: $vgpr12
.LBB159_2430:
	s_delay_alu instid0(SALU_CYCLE_1)
	s_and_not1_b32 vcc_lo, exec_lo, s6
	s_cbranch_vccnz .LBB159_2432
; %bb.2431:
	global_load_u16 v10, v[6:7], off
	s_waitcnt vmcnt(0)
	v_cvt_f32_u32_e32 v12, v10
.LBB159_2432:
	s_mov_b32 s6, 0
.LBB159_2433:
	s_delay_alu instid0(SALU_CYCLE_1)
	s_and_not1_b32 vcc_lo, exec_lo, s6
	s_cbranch_vccnz .LBB159_2441
; %bb.2434:
	global_load_u8 v10, v[6:7], off
	s_mov_b32 s6, 0
	s_mov_b32 s11, exec_lo
                                        ; implicit-def: $sgpr7
	s_waitcnt vmcnt(0)
	v_cmpx_lt_i16_e32 0x7f, v10
	s_xor_b32 s11, exec_lo, s11
	s_cbranch_execz .LBB159_2455
; %bb.2435:
	s_mov_b32 s6, -1
	s_mov_b32 s12, exec_lo
                                        ; implicit-def: $sgpr7
	v_cmpx_eq_u16_e32 0x80, v10
; %bb.2436:
	s_mov_b32 s7, 0x7f800001
	s_xor_b32 s6, exec_lo, -1
; %bb.2437:
	s_or_b32 exec_lo, exec_lo, s12
	s_delay_alu instid0(SALU_CYCLE_1)
	s_and_b32 s6, s6, exec_lo
	s_or_saveexec_b32 s11, s11
	v_mov_b32_e32 v12, s7
	s_xor_b32 exec_lo, exec_lo, s11
	s_cbranch_execnz .LBB159_2456
.LBB159_2438:
	s_or_b32 exec_lo, exec_lo, s11
	s_and_saveexec_b32 s7, s6
	s_cbranch_execz .LBB159_2440
.LBB159_2439:
	v_and_b32_e32 v11, 0xffff, v10
	v_lshlrev_b32_e32 v10, 24, v10
	s_delay_alu instid0(VALU_DEP_2) | instskip(NEXT) | instid1(VALU_DEP_2)
	v_and_b32_e32 v12, 7, v11
	v_and_b32_e32 v10, 0x80000000, v10
	s_delay_alu instid0(VALU_DEP_2) | instskip(NEXT) | instid1(VALU_DEP_1)
	v_clz_i32_u32_e32 v18, v12
	v_min_u32_e32 v18, 32, v18
	s_delay_alu instid0(VALU_DEP_1) | instskip(SKIP_1) | instid1(VALU_DEP_2)
	v_subrev_nc_u32_e32 v19, 28, v18
	v_sub_nc_u32_e32 v18, 29, v18
	v_lshlrev_b32_e32 v19, v19, v11
	v_bfe_u32 v11, v11, 3, 4
	s_delay_alu instid0(VALU_DEP_2) | instskip(NEXT) | instid1(VALU_DEP_2)
	v_and_b32_e32 v19, 7, v19
	v_cmp_eq_u32_e32 vcc_lo, 0, v11
	s_delay_alu instid0(VALU_DEP_2) | instskip(NEXT) | instid1(VALU_DEP_1)
	v_dual_cndmask_b32 v11, v11, v18 :: v_dual_cndmask_b32 v12, v12, v19
	v_lshl_add_u32 v11, v11, 23, 0x3b800000
	s_delay_alu instid0(VALU_DEP_2) | instskip(NEXT) | instid1(VALU_DEP_1)
	v_lshlrev_b32_e32 v12, 20, v12
	v_or3_b32 v12, v10, v11, v12
.LBB159_2440:
	s_or_b32 exec_lo, exec_lo, s7
.LBB159_2441:
	s_mov_b32 s6, -1
.LBB159_2442:
	s_mov_b32 s7, 0
.LBB159_2443:
	s_delay_alu instid0(SALU_CYCLE_1)
	s_and_b32 vcc_lo, exec_lo, s7
	s_cbranch_vccz .LBB159_2476
; %bb.2444:
	v_cmp_lt_i16_e32 vcc_lo, 22, v16
	s_cbranch_vccz .LBB159_2454
; %bb.2445:
	v_cmp_gt_i16_e32 vcc_lo, 24, v16
	s_cbranch_vccnz .LBB159_2457
; %bb.2446:
	v_cmp_lt_i16_e32 vcc_lo, 24, v16
	s_cbranch_vccz .LBB159_2458
; %bb.2447:
	global_load_u8 v10, v[6:7], off
	s_mov_b32 s7, exec_lo
                                        ; implicit-def: $sgpr6
	s_waitcnt vmcnt(0)
	v_cmpx_lt_i16_e32 0x7f, v10
	s_xor_b32 s7, exec_lo, s7
	s_cbranch_execz .LBB159_2470
; %bb.2448:
	s_mov_b32 s3, -1
	s_mov_b32 s11, exec_lo
                                        ; implicit-def: $sgpr6
	v_cmpx_eq_u16_e32 0x80, v10
; %bb.2449:
	s_mov_b32 s6, 0x7f800001
	s_xor_b32 s3, exec_lo, -1
; %bb.2450:
	s_or_b32 exec_lo, exec_lo, s11
	s_delay_alu instid0(SALU_CYCLE_1)
	s_and_b32 s3, s3, exec_lo
	s_or_saveexec_b32 s7, s7
	v_mov_b32_e32 v12, s6
	s_xor_b32 exec_lo, exec_lo, s7
	s_cbranch_execnz .LBB159_2471
.LBB159_2451:
	s_or_b32 exec_lo, exec_lo, s7
	s_and_saveexec_b32 s6, s3
	s_cbranch_execz .LBB159_2453
.LBB159_2452:
	v_and_b32_e32 v11, 0xffff, v10
	v_lshlrev_b32_e32 v10, 24, v10
	s_delay_alu instid0(VALU_DEP_2) | instskip(NEXT) | instid1(VALU_DEP_2)
	v_and_b32_e32 v12, 3, v11
	v_and_b32_e32 v10, 0x80000000, v10
	s_delay_alu instid0(VALU_DEP_2) | instskip(NEXT) | instid1(VALU_DEP_1)
	v_clz_i32_u32_e32 v18, v12
	v_min_u32_e32 v18, 32, v18
	s_delay_alu instid0(VALU_DEP_1) | instskip(SKIP_1) | instid1(VALU_DEP_2)
	v_subrev_nc_u32_e32 v19, 29, v18
	v_sub_nc_u32_e32 v18, 30, v18
	v_lshlrev_b32_e32 v19, v19, v11
	v_bfe_u32 v11, v11, 2, 5
	s_delay_alu instid0(VALU_DEP_2) | instskip(NEXT) | instid1(VALU_DEP_2)
	v_and_b32_e32 v19, 3, v19
	v_cmp_eq_u32_e32 vcc_lo, 0, v11
	s_delay_alu instid0(VALU_DEP_2) | instskip(NEXT) | instid1(VALU_DEP_1)
	v_dual_cndmask_b32 v11, v11, v18 :: v_dual_cndmask_b32 v12, v12, v19
	v_lshl_add_u32 v11, v11, 23, 0x37800000
	s_delay_alu instid0(VALU_DEP_2) | instskip(NEXT) | instid1(VALU_DEP_1)
	v_lshlrev_b32_e32 v12, 21, v12
	v_or3_b32 v12, v10, v11, v12
.LBB159_2453:
	s_or_b32 exec_lo, exec_lo, s6
	s_mov_b32 s3, 0
	s_branch .LBB159_2459
.LBB159_2454:
	s_mov_b32 s3, -1
                                        ; implicit-def: $vgpr12
	s_branch .LBB159_2465
.LBB159_2455:
	s_or_saveexec_b32 s11, s11
	v_mov_b32_e32 v12, s7
	s_xor_b32 exec_lo, exec_lo, s11
	s_cbranch_execz .LBB159_2438
.LBB159_2456:
	v_cmp_ne_u16_e32 vcc_lo, 0, v10
	v_mov_b32_e32 v12, 0
	s_and_not1_b32 s6, s6, exec_lo
	s_and_b32 s7, vcc_lo, exec_lo
	s_delay_alu instid0(SALU_CYCLE_1)
	s_or_b32 s6, s6, s7
	s_or_b32 exec_lo, exec_lo, s11
	s_and_saveexec_b32 s7, s6
	s_cbranch_execnz .LBB159_2439
	s_branch .LBB159_2440
.LBB159_2457:
	s_mov_b32 s3, -1
                                        ; implicit-def: $vgpr12
	s_branch .LBB159_2462
.LBB159_2458:
	s_mov_b32 s3, -1
                                        ; implicit-def: $vgpr12
.LBB159_2459:
	s_delay_alu instid0(SALU_CYCLE_1)
	s_and_b32 vcc_lo, exec_lo, s3
	s_cbranch_vccz .LBB159_2461
; %bb.2460:
	global_load_u8 v10, v[6:7], off
	s_waitcnt vmcnt(0)
	v_lshlrev_b32_e32 v10, 24, v10
	s_delay_alu instid0(VALU_DEP_1) | instskip(NEXT) | instid1(VALU_DEP_1)
	v_and_b32_e32 v11, 0x7f000000, v10
	v_clz_i32_u32_e32 v12, v11
	v_add_nc_u32_e32 v19, 0x1000000, v11
	v_cmp_ne_u32_e32 vcc_lo, 0, v11
	s_delay_alu instid0(VALU_DEP_3) | instskip(NEXT) | instid1(VALU_DEP_1)
	v_min_u32_e32 v12, 32, v12
	v_sub_nc_u32_e64 v12, v12, 4 clamp
	s_delay_alu instid0(VALU_DEP_1) | instskip(SKIP_1) | instid1(VALU_DEP_2)
	v_lshlrev_b32_e32 v18, v12, v11
	v_lshlrev_b32_e32 v12, 23, v12
	v_lshrrev_b32_e32 v18, 4, v18
	s_delay_alu instid0(VALU_DEP_1) | instskip(SKIP_1) | instid1(VALU_DEP_2)
	v_sub_nc_u32_e32 v12, v18, v12
	v_ashrrev_i32_e32 v18, 8, v19
	v_add_nc_u32_e32 v12, 0x3c000000, v12
	s_delay_alu instid0(VALU_DEP_1) | instskip(NEXT) | instid1(VALU_DEP_1)
	v_and_or_b32 v12, 0x7f800000, v18, v12
	v_cndmask_b32_e32 v11, 0, v12, vcc_lo
	s_delay_alu instid0(VALU_DEP_1)
	v_and_or_b32 v12, 0x80000000, v10, v11
.LBB159_2461:
	s_mov_b32 s3, 0
.LBB159_2462:
	s_delay_alu instid0(SALU_CYCLE_1)
	s_and_not1_b32 vcc_lo, exec_lo, s3
	s_cbranch_vccnz .LBB159_2464
; %bb.2463:
	global_load_u8 v10, v[6:7], off
	s_waitcnt vmcnt(0)
	v_lshlrev_b32_e32 v11, 25, v10
	v_lshlrev_b16 v10, 8, v10
	s_delay_alu instid0(VALU_DEP_2) | instskip(NEXT) | instid1(VALU_DEP_2)
	v_lshrrev_b32_e32 v12, 4, v11
	v_and_or_b32 v18, 0x7f00, v10, 0.5
	v_bfe_i32 v10, v10, 0, 16
	s_delay_alu instid0(VALU_DEP_3) | instskip(NEXT) | instid1(VALU_DEP_3)
	v_or_b32_e32 v12, 0x70000000, v12
	v_add_f32_e32 v18, -0.5, v18
	s_delay_alu instid0(VALU_DEP_2) | instskip(SKIP_1) | instid1(VALU_DEP_2)
	v_mul_f32_e32 v12, 0x7800000, v12
	v_cmp_gt_u32_e32 vcc_lo, 0x8000000, v11
	v_cndmask_b32_e32 v11, v12, v18, vcc_lo
	s_delay_alu instid0(VALU_DEP_1)
	v_and_or_b32 v12, 0x80000000, v10, v11
.LBB159_2464:
	s_mov_b32 s3, 0
	s_mov_b32 s6, -1
.LBB159_2465:
	s_and_not1_b32 vcc_lo, exec_lo, s3
	s_mov_b32 s3, 0
	s_cbranch_vccnz .LBB159_2476
; %bb.2466:
	v_cmp_lt_i16_e32 vcc_lo, 14, v16
	s_cbranch_vccz .LBB159_2469
; %bb.2467:
	v_cmp_eq_u16_e32 vcc_lo, 15, v16
	s_cbranch_vccz .LBB159_2472
; %bb.2468:
	global_load_u16 v10, v[6:7], off
	s_mov_b32 s2, 0
	s_mov_b32 s6, -1
	s_waitcnt vmcnt(0)
	v_lshlrev_b32_e32 v12, 16, v10
	s_branch .LBB159_2474
.LBB159_2469:
	s_mov_b32 s3, -1
	s_branch .LBB159_2473
.LBB159_2470:
	s_or_saveexec_b32 s7, s7
	v_mov_b32_e32 v12, s6
	s_xor_b32 exec_lo, exec_lo, s7
	s_cbranch_execz .LBB159_2451
.LBB159_2471:
	v_cmp_ne_u16_e32 vcc_lo, 0, v10
	v_mov_b32_e32 v12, 0
	s_and_not1_b32 s3, s3, exec_lo
	s_and_b32 s6, vcc_lo, exec_lo
	s_delay_alu instid0(SALU_CYCLE_1)
	s_or_b32 s3, s3, s6
	s_or_b32 exec_lo, exec_lo, s7
	s_and_saveexec_b32 s6, s3
	s_cbranch_execnz .LBB159_2452
	s_branch .LBB159_2453
.LBB159_2472:
	s_mov_b32 s2, -1
.LBB159_2473:
                                        ; implicit-def: $vgpr12
.LBB159_2474:
	s_and_b32 vcc_lo, exec_lo, s3
	s_mov_b32 s3, 0
	s_cbranch_vccz .LBB159_2476
; %bb.2475:
	v_cmp_ne_u16_e64 s2, 11, v16
	s_mov_b32 s3, -1
                                        ; implicit-def: $vgpr12
.LBB159_2476:
	s_delay_alu instid0(VALU_DEP_1)
	s_and_b32 vcc_lo, exec_lo, s2
	s_cbranch_vccnz .LBB159_2541
; %bb.2477:
	s_and_not1_b32 vcc_lo, exec_lo, s3
	s_cbranch_vccnz .LBB159_2479
.LBB159_2478:
	global_load_u8 v10, v[6:7], off
	s_mov_b32 s6, -1
	s_waitcnt vmcnt(0)
	v_cmp_ne_u16_e32 vcc_lo, 0, v10
	v_cndmask_b32_e64 v12, 0, 1.0, vcc_lo
.LBB159_2479:
	s_mov_b32 s2, 0
.LBB159_2480:
	s_delay_alu instid0(SALU_CYCLE_1)
	s_and_b32 vcc_lo, exec_lo, s2
	s_cbranch_vccz .LBB159_2529
; %bb.2481:
	v_cmp_gt_i16_e32 vcc_lo, 5, v16
	s_cbranch_vccnz .LBB159_2486
; %bb.2482:
	v_cmp_gt_i16_e32 vcc_lo, 8, v16
	s_cbranch_vccnz .LBB159_2487
	;; [unrolled: 3-line block ×3, first 2 shown]
; %bb.2484:
	v_cmp_lt_i16_e32 vcc_lo, 9, v16
	s_cbranch_vccz .LBB159_2489
; %bb.2485:
	global_load_b64 v[10:11], v[6:7], off
	s_mov_b32 s2, 0
	s_waitcnt vmcnt(0)
	v_cvt_f32_f64_e32 v12, v[10:11]
	s_branch .LBB159_2490
.LBB159_2486:
	s_mov_b32 s2, -1
                                        ; implicit-def: $vgpr12
	s_branch .LBB159_2508
.LBB159_2487:
	s_mov_b32 s2, -1
                                        ; implicit-def: $vgpr12
	s_branch .LBB159_2496
.LBB159_2488:
	s_mov_b32 s2, -1
                                        ; implicit-def: $vgpr12
	s_branch .LBB159_2493
.LBB159_2489:
	s_mov_b32 s2, -1
                                        ; implicit-def: $vgpr12
.LBB159_2490:
	s_delay_alu instid0(SALU_CYCLE_1)
	s_and_not1_b32 vcc_lo, exec_lo, s2
	s_cbranch_vccnz .LBB159_2492
; %bb.2491:
	global_load_b32 v12, v[6:7], off
.LBB159_2492:
	s_mov_b32 s2, 0
.LBB159_2493:
	s_delay_alu instid0(SALU_CYCLE_1)
	s_and_not1_b32 vcc_lo, exec_lo, s2
	s_cbranch_vccnz .LBB159_2495
; %bb.2494:
	global_load_b32 v10, v[6:7], off
	s_waitcnt vmcnt(0)
	v_cvt_f32_f16_e32 v12, v10
.LBB159_2495:
	s_mov_b32 s2, 0
.LBB159_2496:
	s_delay_alu instid0(SALU_CYCLE_1)
	s_and_not1_b32 vcc_lo, exec_lo, s2
	s_cbranch_vccnz .LBB159_2507
; %bb.2497:
	v_cmp_gt_i16_e32 vcc_lo, 6, v16
	s_cbranch_vccnz .LBB159_2500
; %bb.2498:
	v_cmp_lt_i16_e32 vcc_lo, 6, v16
	s_cbranch_vccz .LBB159_2501
; %bb.2499:
	global_load_b64 v[10:11], v[6:7], off
	s_mov_b32 s2, 0
	s_waitcnt vmcnt(0)
	v_cvt_f32_f64_e32 v12, v[10:11]
	s_branch .LBB159_2502
.LBB159_2500:
	s_mov_b32 s2, -1
                                        ; implicit-def: $vgpr12
	s_branch .LBB159_2505
.LBB159_2501:
	s_mov_b32 s2, -1
                                        ; implicit-def: $vgpr12
.LBB159_2502:
	s_delay_alu instid0(SALU_CYCLE_1)
	s_and_not1_b32 vcc_lo, exec_lo, s2
	s_cbranch_vccnz .LBB159_2504
; %bb.2503:
	global_load_b32 v12, v[6:7], off
.LBB159_2504:
	s_mov_b32 s2, 0
.LBB159_2505:
	s_delay_alu instid0(SALU_CYCLE_1)
	s_and_not1_b32 vcc_lo, exec_lo, s2
	s_cbranch_vccnz .LBB159_2507
; %bb.2506:
	global_load_u16 v10, v[6:7], off
	s_waitcnt vmcnt(0)
	v_cvt_f32_f16_e32 v12, v10
.LBB159_2507:
	s_mov_b32 s2, 0
.LBB159_2508:
	s_delay_alu instid0(SALU_CYCLE_1)
	s_and_not1_b32 vcc_lo, exec_lo, s2
	s_cbranch_vccnz .LBB159_2528
; %bb.2509:
	v_cmp_gt_i16_e32 vcc_lo, 2, v16
	s_cbranch_vccnz .LBB159_2513
; %bb.2510:
	v_cmp_gt_i16_e32 vcc_lo, 3, v16
	s_cbranch_vccnz .LBB159_2514
; %bb.2511:
	v_cmp_lt_i16_e32 vcc_lo, 3, v16
	s_cbranch_vccz .LBB159_2515
; %bb.2512:
	global_load_b64 v[10:11], v[6:7], off
	s_mov_b32 s2, 0
	s_waitcnt vmcnt(0)
	v_xor_b32_e32 v12, v10, v11
	v_cls_i32_e32 v18, v11
	s_delay_alu instid0(VALU_DEP_2) | instskip(NEXT) | instid1(VALU_DEP_2)
	v_ashrrev_i32_e32 v12, 31, v12
	v_add_nc_u32_e32 v18, -1, v18
	s_delay_alu instid0(VALU_DEP_2) | instskip(NEXT) | instid1(VALU_DEP_1)
	v_add_nc_u32_e32 v12, 32, v12
	v_min_u32_e32 v12, v18, v12
	s_delay_alu instid0(VALU_DEP_1) | instskip(NEXT) | instid1(VALU_DEP_1)
	v_lshlrev_b64 v[10:11], v12, v[10:11]
	v_min_u32_e32 v10, 1, v10
	s_delay_alu instid0(VALU_DEP_1) | instskip(SKIP_1) | instid1(VALU_DEP_2)
	v_or_b32_e32 v10, v11, v10
	v_sub_nc_u32_e32 v11, 32, v12
	v_cvt_f32_i32_e32 v10, v10
	s_delay_alu instid0(VALU_DEP_1)
	v_ldexp_f32 v12, v10, v11
	s_branch .LBB159_2516
.LBB159_2513:
	s_mov_b32 s2, -1
                                        ; implicit-def: $vgpr12
	s_branch .LBB159_2522
.LBB159_2514:
	s_mov_b32 s2, -1
                                        ; implicit-def: $vgpr12
	s_branch .LBB159_2519
.LBB159_2515:
	s_mov_b32 s2, -1
                                        ; implicit-def: $vgpr12
.LBB159_2516:
	s_delay_alu instid0(SALU_CYCLE_1)
	s_and_not1_b32 vcc_lo, exec_lo, s2
	s_cbranch_vccnz .LBB159_2518
; %bb.2517:
	global_load_b32 v10, v[6:7], off
	s_waitcnt vmcnt(0)
	v_cvt_f32_i32_e32 v12, v10
.LBB159_2518:
	s_mov_b32 s2, 0
.LBB159_2519:
	s_delay_alu instid0(SALU_CYCLE_1)
	s_and_not1_b32 vcc_lo, exec_lo, s2
	s_cbranch_vccnz .LBB159_2521
; %bb.2520:
	global_load_i16 v10, v[6:7], off
	s_waitcnt vmcnt(0)
	v_cvt_f32_i32_e32 v12, v10
.LBB159_2521:
	s_mov_b32 s2, 0
.LBB159_2522:
	s_delay_alu instid0(SALU_CYCLE_1)
	s_and_not1_b32 vcc_lo, exec_lo, s2
	s_cbranch_vccnz .LBB159_2528
; %bb.2523:
	v_cmp_lt_i16_e32 vcc_lo, 0, v16
	s_mov_b32 s2, 0
	s_cbranch_vccz .LBB159_2525
; %bb.2524:
	global_load_i8 v10, v[6:7], off
	s_waitcnt vmcnt(0)
	v_cvt_f32_i32_e32 v12, v10
	s_branch .LBB159_2526
.LBB159_2525:
	s_mov_b32 s2, -1
                                        ; implicit-def: $vgpr12
.LBB159_2526:
	s_delay_alu instid0(SALU_CYCLE_1)
	s_and_not1_b32 vcc_lo, exec_lo, s2
	s_cbranch_vccnz .LBB159_2528
; %bb.2527:
	global_load_u8 v6, v[6:7], off
	s_waitcnt vmcnt(0)
	v_cvt_f32_ubyte0_e32 v12, v6
.LBB159_2528:
	s_mov_b32 s6, -1
.LBB159_2529:
	s_delay_alu instid0(SALU_CYCLE_1)
	s_and_not1_b32 vcc_lo, exec_lo, s6
	s_cbranch_vccnz .LBB159_3049
; %bb.2530:
	v_cmp_gt_i16_e32 vcc_lo, 11, v15
	v_add_co_u32 v10, s0, s0, v4
	s_delay_alu instid0(VALU_DEP_1)
	v_add_co_ci_u32_e64 v11, null, s1, 0, s0
	s_mov_b32 s2, 0
	s_cbranch_vccnz .LBB159_2537
; %bb.2531:
	v_cmp_lt_i16_e32 vcc_lo, 25, v15
	s_mov_b32 s1, 0
	s_cbranch_vccz .LBB159_2538
; %bb.2532:
	v_cmp_lt_i16_e32 vcc_lo, 28, v15
	s_cbranch_vccz .LBB159_2539
; %bb.2533:
	v_cmp_lt_i16_e32 vcc_lo, 43, v15
	;; [unrolled: 3-line block ×3, first 2 shown]
	s_cbranch_vccz .LBB159_2543
; %bb.2535:
	v_cmp_eq_u16_e32 vcc_lo, 46, v15
	s_mov_b32 s3, 0
	s_cbranch_vccz .LBB159_2546
; %bb.2536:
	global_load_b32 v4, v[10:11], off
	s_mov_b32 s0, 0
	s_mov_b32 s2, -1
	s_waitcnt vmcnt(0)
	v_lshlrev_b32_e32 v4, 16, v4
	s_delay_alu instid0(VALU_DEP_1) | instskip(NEXT) | instid1(VALU_DEP_1)
	v_trunc_f32_e32 v4, v4
	v_mul_f32_e64 v6, 0x2f800000, |v4|
	s_delay_alu instid0(VALU_DEP_1) | instskip(NEXT) | instid1(VALU_DEP_1)
	v_floor_f32_e32 v6, v6
	v_fma_f32 v6, 0xcf800000, v6, |v4|
	v_ashrrev_i32_e32 v4, 31, v4
	s_delay_alu instid0(VALU_DEP_2) | instskip(NEXT) | instid1(VALU_DEP_1)
	v_cvt_u32_f32_e32 v6, v6
	v_xor_b32_e32 v6, v6, v4
	s_delay_alu instid0(VALU_DEP_1)
	v_sub_nc_u32_e32 v6, v6, v4
	s_branch .LBB159_2548
.LBB159_2537:
	s_mov_b32 s0, -1
                                        ; implicit-def: $vgpr6
	s_branch .LBB159_2610
.LBB159_2538:
	s_mov_b32 s3, -1
	s_mov_b32 s0, 0
                                        ; implicit-def: $vgpr6
	s_branch .LBB159_2575
.LBB159_2539:
	s_mov_b32 s3, -1
	s_mov_b32 s0, 0
                                        ; implicit-def: $vgpr6
	s_branch .LBB159_2558
.LBB159_2540:
	s_mov_b32 s3, -1
	s_mov_b32 s0, 0
                                        ; implicit-def: $vgpr6
	s_branch .LBB159_2553
.LBB159_2541:
	s_cbranch_execnz .LBB159_2544
; %bb.2542:
	s_or_b32 s10, s10, exec_lo
                                        ; implicit-def: $vgpr12
	s_cbranch_execz .LBB159_2478
	s_branch .LBB159_2479
.LBB159_2543:
	s_mov_b32 s3, -1
	s_mov_b32 s0, 0
	s_branch .LBB159_2547
.LBB159_2544:
	s_trap 2
	s_sendmsg_rtn_b32 s0, sendmsg(MSG_RTN_GET_DOORBELL)
	s_mov_b32 ttmp2, m0
	s_waitcnt lgkmcnt(0)
	s_and_b32 s0, s0, 0x3ff
	s_delay_alu instid0(SALU_CYCLE_1) | instskip(NEXT) | instid1(SALU_CYCLE_1)
	s_bitset1_b32 s0, 10
	s_mov_b32 m0, s0
	s_sendmsg sendmsg(MSG_INTERRUPT)
	s_mov_b32 m0, ttmp2
.LBB159_2545:                           ; =>This Inner Loop Header: Depth=1
	s_sethalt 5
	s_branch .LBB159_2545
.LBB159_2546:
	s_mov_b32 s0, -1
.LBB159_2547:
                                        ; implicit-def: $vgpr6
.LBB159_2548:
	s_and_b32 vcc_lo, exec_lo, s3
	s_cbranch_vccz .LBB159_2552
; %bb.2549:
	v_cmp_eq_u16_e32 vcc_lo, 44, v15
	s_cbranch_vccz .LBB159_2551
; %bb.2550:
	global_load_u8 v4, v[10:11], off
	s_mov_b32 s0, 0
	s_mov_b32 s2, -1
	s_waitcnt vmcnt(0)
	v_lshlrev_b32_e32 v6, 23, v4
	v_cmp_ne_u32_e32 vcc_lo, 0, v4
	s_delay_alu instid0(VALU_DEP_2) | instskip(NEXT) | instid1(VALU_DEP_1)
	v_trunc_f32_e32 v6, v6
	v_mul_f32_e64 v7, 0x2f800000, |v6|
	s_delay_alu instid0(VALU_DEP_1) | instskip(NEXT) | instid1(VALU_DEP_1)
	v_floor_f32_e32 v7, v7
	v_fma_f32 v7, 0xcf800000, v7, |v6|
	v_ashrrev_i32_e32 v6, 31, v6
	s_delay_alu instid0(VALU_DEP_2) | instskip(NEXT) | instid1(VALU_DEP_1)
	v_cvt_u32_f32_e32 v7, v7
	v_xor_b32_e32 v7, v7, v6
	s_delay_alu instid0(VALU_DEP_1) | instskip(NEXT) | instid1(VALU_DEP_1)
	v_sub_nc_u32_e32 v6, v7, v6
	v_cndmask_b32_e32 v6, 0, v6, vcc_lo
	s_branch .LBB159_2552
.LBB159_2551:
	s_mov_b32 s0, -1
                                        ; implicit-def: $vgpr6
.LBB159_2552:
	s_mov_b32 s3, 0
.LBB159_2553:
	s_delay_alu instid0(SALU_CYCLE_1)
	s_and_b32 vcc_lo, exec_lo, s3
	s_cbranch_vccz .LBB159_2557
; %bb.2554:
	v_cmp_eq_u16_e32 vcc_lo, 29, v15
	s_cbranch_vccz .LBB159_2556
; %bb.2555:
	global_load_b64 v[6:7], v[10:11], off
	s_mov_b32 s0, 0
	s_mov_b32 s2, -1
	s_branch .LBB159_2557
.LBB159_2556:
	s_mov_b32 s0, -1
                                        ; implicit-def: $vgpr6
.LBB159_2557:
	s_mov_b32 s3, 0
.LBB159_2558:
	s_delay_alu instid0(SALU_CYCLE_1)
	s_and_b32 vcc_lo, exec_lo, s3
	s_cbranch_vccz .LBB159_2574
; %bb.2559:
	v_cmp_gt_i16_e32 vcc_lo, 27, v15
	s_cbranch_vccnz .LBB159_2562
; %bb.2560:
	v_cmp_lt_i16_e32 vcc_lo, 27, v15
	s_cbranch_vccz .LBB159_2563
; %bb.2561:
	global_load_b32 v6, v[10:11], off
	s_mov_b32 s2, 0
	s_branch .LBB159_2564
.LBB159_2562:
	s_mov_b32 s2, -1
                                        ; implicit-def: $vgpr6
	s_branch .LBB159_2567
.LBB159_2563:
	s_mov_b32 s2, -1
                                        ; implicit-def: $vgpr6
.LBB159_2564:
	s_delay_alu instid0(SALU_CYCLE_1)
	s_and_not1_b32 vcc_lo, exec_lo, s2
	s_cbranch_vccnz .LBB159_2566
; %bb.2565:
	global_load_u16 v6, v[10:11], off
.LBB159_2566:
	s_mov_b32 s2, 0
.LBB159_2567:
	s_delay_alu instid0(SALU_CYCLE_1)
	s_and_not1_b32 vcc_lo, exec_lo, s2
	s_cbranch_vccnz .LBB159_2573
; %bb.2568:
	global_load_u8 v4, v[10:11], off
	s_mov_b32 s3, 0
	s_mov_b32 s2, exec_lo
                                        ; implicit-def: $sgpr6
	s_waitcnt vmcnt(0)
	v_cmpx_lt_i16_e32 0x7f, v4
	s_xor_b32 s2, exec_lo, s2
	s_cbranch_execz .LBB159_2585
; %bb.2569:
	v_cmp_ne_u16_e32 vcc_lo, 0x80, v4
	s_mov_b32 s6, 0
	s_and_b32 s3, vcc_lo, exec_lo
	s_or_saveexec_b32 s2, s2
	v_mov_b32_e32 v6, s6
	s_xor_b32 exec_lo, exec_lo, s2
	s_cbranch_execnz .LBB159_2586
.LBB159_2570:
	s_or_b32 exec_lo, exec_lo, s2
	s_and_saveexec_b32 s2, s3
	s_cbranch_execz .LBB159_2572
.LBB159_2571:
	v_and_b32_e32 v6, 0xffff, v4
	v_lshlrev_b32_e32 v4, 24, v4
	s_delay_alu instid0(VALU_DEP_2) | instskip(NEXT) | instid1(VALU_DEP_2)
	v_and_b32_e32 v7, 7, v6
	v_and_b32_e32 v4, 0x80000000, v4
	s_delay_alu instid0(VALU_DEP_2) | instskip(NEXT) | instid1(VALU_DEP_1)
	v_clz_i32_u32_e32 v16, v7
	v_min_u32_e32 v16, 32, v16
	s_delay_alu instid0(VALU_DEP_1) | instskip(SKIP_1) | instid1(VALU_DEP_2)
	v_subrev_nc_u32_e32 v18, 28, v16
	v_sub_nc_u32_e32 v16, 29, v16
	v_lshlrev_b32_e32 v18, v18, v6
	v_bfe_u32 v6, v6, 3, 4
	s_delay_alu instid0(VALU_DEP_2) | instskip(NEXT) | instid1(VALU_DEP_2)
	v_and_b32_e32 v18, 7, v18
	v_cmp_eq_u32_e32 vcc_lo, 0, v6
	s_delay_alu instid0(VALU_DEP_2) | instskip(NEXT) | instid1(VALU_DEP_1)
	v_dual_cndmask_b32 v6, v6, v16 :: v_dual_cndmask_b32 v7, v7, v18
	v_lshl_add_u32 v6, v6, 23, 0x3b800000
	s_delay_alu instid0(VALU_DEP_2) | instskip(NEXT) | instid1(VALU_DEP_1)
	v_lshlrev_b32_e32 v7, 20, v7
	v_or3_b32 v4, v4, v6, v7
	s_delay_alu instid0(VALU_DEP_1) | instskip(NEXT) | instid1(VALU_DEP_1)
	v_trunc_f32_e32 v4, v4
	v_mul_f32_e64 v6, 0x2f800000, |v4|
	s_delay_alu instid0(VALU_DEP_1) | instskip(NEXT) | instid1(VALU_DEP_1)
	v_floor_f32_e32 v6, v6
	v_fma_f32 v6, 0xcf800000, v6, |v4|
	v_ashrrev_i32_e32 v4, 31, v4
	s_delay_alu instid0(VALU_DEP_2) | instskip(NEXT) | instid1(VALU_DEP_1)
	v_cvt_u32_f32_e32 v6, v6
	v_xor_b32_e32 v6, v6, v4
	s_delay_alu instid0(VALU_DEP_1)
	v_sub_nc_u32_e32 v6, v6, v4
.LBB159_2572:
	s_or_b32 exec_lo, exec_lo, s2
.LBB159_2573:
	s_mov_b32 s2, -1
.LBB159_2574:
	s_mov_b32 s3, 0
.LBB159_2575:
	s_delay_alu instid0(SALU_CYCLE_1)
	s_and_b32 vcc_lo, exec_lo, s3
	s_cbranch_vccz .LBB159_2606
; %bb.2576:
	v_cmp_lt_i16_e32 vcc_lo, 22, v15
	s_cbranch_vccz .LBB159_2584
; %bb.2577:
	v_cmp_gt_i16_e32 vcc_lo, 24, v15
	s_cbranch_vccnz .LBB159_2587
; %bb.2578:
	v_cmp_lt_i16_e32 vcc_lo, 24, v15
	s_cbranch_vccz .LBB159_2588
; %bb.2579:
	global_load_u8 v4, v[10:11], off
	s_mov_b32 s2, 0
	s_mov_b32 s1, exec_lo
                                        ; implicit-def: $sgpr3
	s_waitcnt vmcnt(0)
	v_cmpx_lt_i16_e32 0x7f, v4
	s_xor_b32 s1, exec_lo, s1
	s_cbranch_execz .LBB159_2600
; %bb.2580:
	v_cmp_ne_u16_e32 vcc_lo, 0x80, v4
	s_mov_b32 s3, 0
	s_and_b32 s2, vcc_lo, exec_lo
	s_or_saveexec_b32 s1, s1
	v_mov_b32_e32 v6, s3
	s_xor_b32 exec_lo, exec_lo, s1
	s_cbranch_execnz .LBB159_2601
.LBB159_2581:
	s_or_b32 exec_lo, exec_lo, s1
	s_and_saveexec_b32 s1, s2
	s_cbranch_execz .LBB159_2583
.LBB159_2582:
	v_and_b32_e32 v6, 0xffff, v4
	v_lshlrev_b32_e32 v4, 24, v4
	s_delay_alu instid0(VALU_DEP_2) | instskip(NEXT) | instid1(VALU_DEP_2)
	v_and_b32_e32 v7, 3, v6
	v_and_b32_e32 v4, 0x80000000, v4
	s_delay_alu instid0(VALU_DEP_2) | instskip(NEXT) | instid1(VALU_DEP_1)
	v_clz_i32_u32_e32 v16, v7
	v_min_u32_e32 v16, 32, v16
	s_delay_alu instid0(VALU_DEP_1) | instskip(SKIP_1) | instid1(VALU_DEP_2)
	v_subrev_nc_u32_e32 v18, 29, v16
	v_sub_nc_u32_e32 v16, 30, v16
	v_lshlrev_b32_e32 v18, v18, v6
	v_bfe_u32 v6, v6, 2, 5
	s_delay_alu instid0(VALU_DEP_2) | instskip(NEXT) | instid1(VALU_DEP_2)
	v_and_b32_e32 v18, 3, v18
	v_cmp_eq_u32_e32 vcc_lo, 0, v6
	s_delay_alu instid0(VALU_DEP_2) | instskip(NEXT) | instid1(VALU_DEP_1)
	v_dual_cndmask_b32 v6, v6, v16 :: v_dual_cndmask_b32 v7, v7, v18
	v_lshl_add_u32 v6, v6, 23, 0x37800000
	s_delay_alu instid0(VALU_DEP_2) | instskip(NEXT) | instid1(VALU_DEP_1)
	v_lshlrev_b32_e32 v7, 21, v7
	v_or3_b32 v4, v4, v6, v7
	s_delay_alu instid0(VALU_DEP_1) | instskip(NEXT) | instid1(VALU_DEP_1)
	v_trunc_f32_e32 v4, v4
	v_mul_f32_e64 v6, 0x2f800000, |v4|
	s_delay_alu instid0(VALU_DEP_1) | instskip(NEXT) | instid1(VALU_DEP_1)
	v_floor_f32_e32 v6, v6
	v_fma_f32 v6, 0xcf800000, v6, |v4|
	v_ashrrev_i32_e32 v4, 31, v4
	s_delay_alu instid0(VALU_DEP_2) | instskip(NEXT) | instid1(VALU_DEP_1)
	v_cvt_u32_f32_e32 v6, v6
	v_xor_b32_e32 v6, v6, v4
	s_delay_alu instid0(VALU_DEP_1)
	v_sub_nc_u32_e32 v6, v6, v4
.LBB159_2583:
	s_or_b32 exec_lo, exec_lo, s1
	s_mov_b32 s1, 0
	s_branch .LBB159_2589
.LBB159_2584:
	s_mov_b32 s1, -1
                                        ; implicit-def: $vgpr6
	s_branch .LBB159_2595
.LBB159_2585:
	s_or_saveexec_b32 s2, s2
	v_mov_b32_e32 v6, s6
	s_xor_b32 exec_lo, exec_lo, s2
	s_cbranch_execz .LBB159_2570
.LBB159_2586:
	v_cmp_ne_u16_e32 vcc_lo, 0, v4
	v_mov_b32_e32 v6, 0
	s_and_not1_b32 s3, s3, exec_lo
	s_and_b32 s6, vcc_lo, exec_lo
	s_delay_alu instid0(SALU_CYCLE_1)
	s_or_b32 s3, s3, s6
	s_or_b32 exec_lo, exec_lo, s2
	s_and_saveexec_b32 s2, s3
	s_cbranch_execnz .LBB159_2571
	s_branch .LBB159_2572
.LBB159_2587:
	s_mov_b32 s1, -1
                                        ; implicit-def: $vgpr6
	s_branch .LBB159_2592
.LBB159_2588:
	s_mov_b32 s1, -1
                                        ; implicit-def: $vgpr6
.LBB159_2589:
	s_delay_alu instid0(SALU_CYCLE_1)
	s_and_b32 vcc_lo, exec_lo, s1
	s_cbranch_vccz .LBB159_2591
; %bb.2590:
	global_load_u8 v4, v[10:11], off
	s_waitcnt vmcnt(0)
	v_lshlrev_b32_e32 v4, 24, v4
	s_delay_alu instid0(VALU_DEP_1) | instskip(NEXT) | instid1(VALU_DEP_1)
	v_and_b32_e32 v6, 0x7f000000, v4
	v_clz_i32_u32_e32 v7, v6
	v_add_nc_u32_e32 v18, 0x1000000, v6
	v_cmp_ne_u32_e32 vcc_lo, 0, v6
	s_delay_alu instid0(VALU_DEP_3) | instskip(NEXT) | instid1(VALU_DEP_1)
	v_min_u32_e32 v7, 32, v7
	v_sub_nc_u32_e64 v7, v7, 4 clamp
	s_delay_alu instid0(VALU_DEP_1) | instskip(SKIP_1) | instid1(VALU_DEP_2)
	v_lshlrev_b32_e32 v16, v7, v6
	v_lshlrev_b32_e32 v7, 23, v7
	v_lshrrev_b32_e32 v16, 4, v16
	s_delay_alu instid0(VALU_DEP_1) | instskip(SKIP_1) | instid1(VALU_DEP_2)
	v_sub_nc_u32_e32 v7, v16, v7
	v_ashrrev_i32_e32 v16, 8, v18
	v_add_nc_u32_e32 v7, 0x3c000000, v7
	s_delay_alu instid0(VALU_DEP_1) | instskip(NEXT) | instid1(VALU_DEP_1)
	v_and_or_b32 v7, 0x7f800000, v16, v7
	v_cndmask_b32_e32 v6, 0, v7, vcc_lo
	s_delay_alu instid0(VALU_DEP_1) | instskip(NEXT) | instid1(VALU_DEP_1)
	v_and_or_b32 v4, 0x80000000, v4, v6
	v_trunc_f32_e32 v4, v4
	s_delay_alu instid0(VALU_DEP_1) | instskip(NEXT) | instid1(VALU_DEP_1)
	v_mul_f32_e64 v6, 0x2f800000, |v4|
	v_floor_f32_e32 v6, v6
	s_delay_alu instid0(VALU_DEP_1) | instskip(SKIP_1) | instid1(VALU_DEP_2)
	v_fma_f32 v6, 0xcf800000, v6, |v4|
	v_ashrrev_i32_e32 v4, 31, v4
	v_cvt_u32_f32_e32 v6, v6
	s_delay_alu instid0(VALU_DEP_1) | instskip(NEXT) | instid1(VALU_DEP_1)
	v_xor_b32_e32 v6, v6, v4
	v_sub_nc_u32_e32 v6, v6, v4
.LBB159_2591:
	s_mov_b32 s1, 0
.LBB159_2592:
	s_delay_alu instid0(SALU_CYCLE_1)
	s_and_not1_b32 vcc_lo, exec_lo, s1
	s_cbranch_vccnz .LBB159_2594
; %bb.2593:
	global_load_u8 v4, v[10:11], off
	s_waitcnt vmcnt(0)
	v_lshlrev_b32_e32 v6, 25, v4
	v_lshlrev_b16 v4, 8, v4
	s_delay_alu instid0(VALU_DEP_2) | instskip(NEXT) | instid1(VALU_DEP_2)
	v_lshrrev_b32_e32 v7, 4, v6
	v_and_or_b32 v16, 0x7f00, v4, 0.5
	v_bfe_i32 v4, v4, 0, 16
	s_delay_alu instid0(VALU_DEP_3) | instskip(NEXT) | instid1(VALU_DEP_1)
	v_or_b32_e32 v7, 0x70000000, v7
	v_dual_add_f32 v16, -0.5, v16 :: v_dual_mul_f32 v7, 0x7800000, v7
	v_cmp_gt_u32_e32 vcc_lo, 0x8000000, v6
	s_delay_alu instid0(VALU_DEP_2) | instskip(NEXT) | instid1(VALU_DEP_1)
	v_cndmask_b32_e32 v6, v7, v16, vcc_lo
	v_and_or_b32 v4, 0x80000000, v4, v6
	s_delay_alu instid0(VALU_DEP_1) | instskip(NEXT) | instid1(VALU_DEP_1)
	v_trunc_f32_e32 v4, v4
	v_mul_f32_e64 v6, 0x2f800000, |v4|
	s_delay_alu instid0(VALU_DEP_1) | instskip(NEXT) | instid1(VALU_DEP_1)
	v_floor_f32_e32 v6, v6
	v_fma_f32 v6, 0xcf800000, v6, |v4|
	v_ashrrev_i32_e32 v4, 31, v4
	s_delay_alu instid0(VALU_DEP_2) | instskip(NEXT) | instid1(VALU_DEP_1)
	v_cvt_u32_f32_e32 v6, v6
	v_xor_b32_e32 v6, v6, v4
	s_delay_alu instid0(VALU_DEP_1)
	v_sub_nc_u32_e32 v6, v6, v4
.LBB159_2594:
	s_mov_b32 s1, 0
	s_mov_b32 s2, -1
.LBB159_2595:
	s_and_not1_b32 vcc_lo, exec_lo, s1
	s_mov_b32 s1, 0
	s_cbranch_vccnz .LBB159_2606
; %bb.2596:
	v_cmp_lt_i16_e32 vcc_lo, 14, v15
	s_cbranch_vccz .LBB159_2599
; %bb.2597:
	v_cmp_eq_u16_e32 vcc_lo, 15, v15
	s_cbranch_vccz .LBB159_2602
; %bb.2598:
	global_load_u16 v4, v[10:11], off
	s_mov_b32 s0, 0
	s_mov_b32 s2, -1
	s_waitcnt vmcnt(0)
	v_lshlrev_b32_e32 v4, 16, v4
	s_delay_alu instid0(VALU_DEP_1) | instskip(NEXT) | instid1(VALU_DEP_1)
	v_trunc_f32_e32 v4, v4
	v_mul_f32_e64 v6, 0x2f800000, |v4|
	s_delay_alu instid0(VALU_DEP_1) | instskip(NEXT) | instid1(VALU_DEP_1)
	v_floor_f32_e32 v6, v6
	v_fma_f32 v6, 0xcf800000, v6, |v4|
	v_ashrrev_i32_e32 v4, 31, v4
	s_delay_alu instid0(VALU_DEP_2) | instskip(NEXT) | instid1(VALU_DEP_1)
	v_cvt_u32_f32_e32 v6, v6
	v_xor_b32_e32 v6, v6, v4
	s_delay_alu instid0(VALU_DEP_1)
	v_sub_nc_u32_e32 v6, v6, v4
	s_branch .LBB159_2604
.LBB159_2599:
	s_mov_b32 s1, -1
	s_branch .LBB159_2603
.LBB159_2600:
	s_or_saveexec_b32 s1, s1
	v_mov_b32_e32 v6, s3
	s_xor_b32 exec_lo, exec_lo, s1
	s_cbranch_execz .LBB159_2581
.LBB159_2601:
	v_cmp_ne_u16_e32 vcc_lo, 0, v4
	v_mov_b32_e32 v6, 0
	s_and_not1_b32 s2, s2, exec_lo
	s_and_b32 s3, vcc_lo, exec_lo
	s_delay_alu instid0(SALU_CYCLE_1)
	s_or_b32 s2, s2, s3
	s_or_b32 exec_lo, exec_lo, s1
	s_and_saveexec_b32 s1, s2
	s_cbranch_execnz .LBB159_2582
	s_branch .LBB159_2583
.LBB159_2602:
	s_mov_b32 s0, -1
.LBB159_2603:
                                        ; implicit-def: $vgpr6
.LBB159_2604:
	s_and_b32 vcc_lo, exec_lo, s1
	s_mov_b32 s1, 0
	s_cbranch_vccz .LBB159_2606
; %bb.2605:
	v_cmp_ne_u16_e64 s0, 11, v15
	s_mov_b32 s1, -1
                                        ; implicit-def: $vgpr6
.LBB159_2606:
	s_delay_alu instid0(VALU_DEP_1)
	s_and_b32 vcc_lo, exec_lo, s0
	s_cbranch_vccnz .LBB159_2669
; %bb.2607:
	s_and_not1_b32 vcc_lo, exec_lo, s1
	s_cbranch_vccnz .LBB159_2609
.LBB159_2608:
	global_load_u8 v4, v[10:11], off
	s_mov_b32 s2, -1
	s_waitcnt vmcnt(0)
	v_cmp_ne_u16_e32 vcc_lo, 0, v4
	v_cndmask_b32_e64 v6, 0, 1, vcc_lo
.LBB159_2609:
	s_mov_b32 s0, 0
.LBB159_2610:
	s_delay_alu instid0(SALU_CYCLE_1)
	s_and_b32 vcc_lo, exec_lo, s0
	s_cbranch_vccz .LBB159_2659
; %bb.2611:
	v_cmp_gt_i16_e32 vcc_lo, 5, v15
	s_cbranch_vccnz .LBB159_2616
; %bb.2612:
	v_cmp_gt_i16_e32 vcc_lo, 8, v15
	s_cbranch_vccnz .LBB159_2617
	;; [unrolled: 3-line block ×3, first 2 shown]
; %bb.2614:
	v_cmp_lt_i16_e32 vcc_lo, 9, v15
	s_cbranch_vccz .LBB159_2619
; %bb.2615:
	global_load_b64 v[6:7], v[10:11], off
	s_mov_b32 s0, 0
	s_waitcnt vmcnt(0)
	v_trunc_f64_e32 v[6:7], v[6:7]
	s_delay_alu instid0(VALU_DEP_1) | instskip(NEXT) | instid1(VALU_DEP_1)
	v_ldexp_f64 v[18:19], v[6:7], 0xffffffe0
	v_floor_f64_e32 v[18:19], v[18:19]
	s_delay_alu instid0(VALU_DEP_1) | instskip(NEXT) | instid1(VALU_DEP_1)
	v_fma_f64 v[6:7], 0xc1f00000, v[18:19], v[6:7]
	v_cvt_u32_f64_e32 v6, v[6:7]
	s_branch .LBB159_2620
.LBB159_2616:
	s_mov_b32 s0, -1
                                        ; implicit-def: $vgpr6
	s_branch .LBB159_2638
.LBB159_2617:
	s_mov_b32 s0, -1
                                        ; implicit-def: $vgpr6
	s_branch .LBB159_2626
.LBB159_2618:
	s_mov_b32 s0, -1
                                        ; implicit-def: $vgpr6
	s_branch .LBB159_2623
.LBB159_2619:
	s_mov_b32 s0, -1
                                        ; implicit-def: $vgpr6
.LBB159_2620:
	s_delay_alu instid0(SALU_CYCLE_1)
	s_and_not1_b32 vcc_lo, exec_lo, s0
	s_cbranch_vccnz .LBB159_2622
; %bb.2621:
	global_load_b32 v4, v[10:11], off
	s_waitcnt vmcnt(0)
	v_trunc_f32_e32 v4, v4
	s_delay_alu instid0(VALU_DEP_1) | instskip(NEXT) | instid1(VALU_DEP_1)
	v_mul_f32_e64 v6, 0x2f800000, |v4|
	v_floor_f32_e32 v6, v6
	s_delay_alu instid0(VALU_DEP_1) | instskip(SKIP_1) | instid1(VALU_DEP_2)
	v_fma_f32 v6, 0xcf800000, v6, |v4|
	v_ashrrev_i32_e32 v4, 31, v4
	v_cvt_u32_f32_e32 v6, v6
	s_delay_alu instid0(VALU_DEP_1) | instskip(NEXT) | instid1(VALU_DEP_1)
	v_xor_b32_e32 v6, v6, v4
	v_sub_nc_u32_e32 v6, v6, v4
.LBB159_2622:
	s_mov_b32 s0, 0
.LBB159_2623:
	s_delay_alu instid0(SALU_CYCLE_1)
	s_and_not1_b32 vcc_lo, exec_lo, s0
	s_cbranch_vccnz .LBB159_2625
; %bb.2624:
	global_load_b32 v4, v[10:11], off
	s_waitcnt vmcnt(0)
	v_cvt_f32_f16_e32 v4, v4
	s_delay_alu instid0(VALU_DEP_1)
	v_cvt_i32_f32_e32 v6, v4
.LBB159_2625:
	s_mov_b32 s0, 0
.LBB159_2626:
	s_delay_alu instid0(SALU_CYCLE_1)
	s_and_not1_b32 vcc_lo, exec_lo, s0
	s_cbranch_vccnz .LBB159_2637
; %bb.2627:
	v_cmp_gt_i16_e32 vcc_lo, 6, v15
	s_cbranch_vccnz .LBB159_2630
; %bb.2628:
	v_cmp_lt_i16_e32 vcc_lo, 6, v15
	s_cbranch_vccz .LBB159_2631
; %bb.2629:
	global_load_b64 v[6:7], v[10:11], off
	s_mov_b32 s0, 0
	s_waitcnt vmcnt(0)
	v_trunc_f64_e32 v[6:7], v[6:7]
	s_delay_alu instid0(VALU_DEP_1) | instskip(NEXT) | instid1(VALU_DEP_1)
	v_ldexp_f64 v[18:19], v[6:7], 0xffffffe0
	v_floor_f64_e32 v[18:19], v[18:19]
	s_delay_alu instid0(VALU_DEP_1) | instskip(NEXT) | instid1(VALU_DEP_1)
	v_fma_f64 v[6:7], 0xc1f00000, v[18:19], v[6:7]
	v_cvt_u32_f64_e32 v6, v[6:7]
	s_branch .LBB159_2632
.LBB159_2630:
	s_mov_b32 s0, -1
                                        ; implicit-def: $vgpr6
	s_branch .LBB159_2635
.LBB159_2631:
	s_mov_b32 s0, -1
                                        ; implicit-def: $vgpr6
.LBB159_2632:
	s_delay_alu instid0(SALU_CYCLE_1)
	s_and_not1_b32 vcc_lo, exec_lo, s0
	s_cbranch_vccnz .LBB159_2634
; %bb.2633:
	global_load_b32 v4, v[10:11], off
	s_waitcnt vmcnt(0)
	v_trunc_f32_e32 v4, v4
	s_delay_alu instid0(VALU_DEP_1) | instskip(NEXT) | instid1(VALU_DEP_1)
	v_mul_f32_e64 v6, 0x2f800000, |v4|
	v_floor_f32_e32 v6, v6
	s_delay_alu instid0(VALU_DEP_1) | instskip(SKIP_1) | instid1(VALU_DEP_2)
	v_fma_f32 v6, 0xcf800000, v6, |v4|
	v_ashrrev_i32_e32 v4, 31, v4
	v_cvt_u32_f32_e32 v6, v6
	s_delay_alu instid0(VALU_DEP_1) | instskip(NEXT) | instid1(VALU_DEP_1)
	v_xor_b32_e32 v6, v6, v4
	v_sub_nc_u32_e32 v6, v6, v4
.LBB159_2634:
	s_mov_b32 s0, 0
.LBB159_2635:
	s_delay_alu instid0(SALU_CYCLE_1)
	s_and_not1_b32 vcc_lo, exec_lo, s0
	s_cbranch_vccnz .LBB159_2637
; %bb.2636:
	global_load_u16 v4, v[10:11], off
	s_waitcnt vmcnt(0)
	v_cvt_f32_f16_e32 v4, v4
	s_delay_alu instid0(VALU_DEP_1)
	v_cvt_i32_f32_e32 v6, v4
.LBB159_2637:
	s_mov_b32 s0, 0
.LBB159_2638:
	s_delay_alu instid0(SALU_CYCLE_1)
	s_and_not1_b32 vcc_lo, exec_lo, s0
	s_cbranch_vccnz .LBB159_2658
; %bb.2639:
	v_cmp_gt_i16_e32 vcc_lo, 2, v15
	s_cbranch_vccnz .LBB159_2643
; %bb.2640:
	v_cmp_gt_i16_e32 vcc_lo, 3, v15
	s_cbranch_vccnz .LBB159_2644
; %bb.2641:
	v_cmp_lt_i16_e32 vcc_lo, 3, v15
	s_cbranch_vccz .LBB159_2645
; %bb.2642:
	global_load_b64 v[6:7], v[10:11], off
	s_mov_b32 s0, 0
	s_branch .LBB159_2646
.LBB159_2643:
	s_mov_b32 s0, -1
                                        ; implicit-def: $vgpr6
	s_branch .LBB159_2652
.LBB159_2644:
	s_mov_b32 s0, -1
                                        ; implicit-def: $vgpr6
	s_branch .LBB159_2649
.LBB159_2645:
	s_mov_b32 s0, -1
                                        ; implicit-def: $vgpr6
.LBB159_2646:
	s_delay_alu instid0(SALU_CYCLE_1)
	s_and_not1_b32 vcc_lo, exec_lo, s0
	s_cbranch_vccnz .LBB159_2648
; %bb.2647:
	global_load_b32 v6, v[10:11], off
.LBB159_2648:
	s_mov_b32 s0, 0
.LBB159_2649:
	s_delay_alu instid0(SALU_CYCLE_1)
	s_and_not1_b32 vcc_lo, exec_lo, s0
	s_cbranch_vccnz .LBB159_2651
; %bb.2650:
	global_load_u16 v6, v[10:11], off
.LBB159_2651:
	s_mov_b32 s0, 0
.LBB159_2652:
	s_delay_alu instid0(SALU_CYCLE_1)
	s_and_not1_b32 vcc_lo, exec_lo, s0
	s_cbranch_vccnz .LBB159_2658
; %bb.2653:
	v_cmp_lt_i16_e32 vcc_lo, 0, v15
	s_mov_b32 s0, 0
	s_cbranch_vccz .LBB159_2655
; %bb.2654:
	global_load_u8 v6, v[10:11], off
	s_branch .LBB159_2656
.LBB159_2655:
	s_mov_b32 s0, -1
                                        ; implicit-def: $vgpr6
.LBB159_2656:
	s_delay_alu instid0(SALU_CYCLE_1)
	s_and_not1_b32 vcc_lo, exec_lo, s0
	s_cbranch_vccnz .LBB159_2658
; %bb.2657:
	global_load_u8 v6, v[10:11], off
.LBB159_2658:
	s_mov_b32 s2, -1
.LBB159_2659:
	s_delay_alu instid0(SALU_CYCLE_1)
	s_and_not1_b32 vcc_lo, exec_lo, s2
	s_cbranch_vccnz .LBB159_3049
; %bb.2660:
	s_load_b64 s[2:3], s[20:21], 0x1a0
	v_cvt_f32_ubyte0_e32 v4, v5
	v_add_co_u32 v10, s1, s4, v3
	s_delay_alu instid0(VALU_DEP_1) | instskip(NEXT) | instid1(VALU_DEP_3)
	v_add_co_ci_u32_e64 v11, null, s5, 0, s1
	v_mul_f32_e32 v4, v14, v4
	s_mov_b32 s6, 0
	s_waitcnt lgkmcnt(0)
	s_and_b32 s3, s3, 0xff
	s_delay_alu instid0(VALU_DEP_1) | instskip(SKIP_1) | instid1(VALU_DEP_1)
	v_mul_f32_e32 v4, s2, v4
	v_cmp_lt_i16_e64 s0, s3, 11
	s_and_b32 vcc_lo, exec_lo, s0
	s_mov_b32 s0, -1
	s_cbranch_vccnz .LBB159_2743
; %bb.2661:
	v_cmp_gt_i16_e64 s0, s3, 25
	s_mov_b32 s7, -1
	s_mov_b32 s1, 0
	s_delay_alu instid0(VALU_DEP_1)
	s_and_b32 vcc_lo, exec_lo, s0
	s_mov_b32 s0, 0
	s_cbranch_vccz .LBB159_2699
; %bb.2662:
	v_cmp_gt_i16_e64 s0, s3, 28
	s_delay_alu instid0(VALU_DEP_1)
	s_and_b32 vcc_lo, exec_lo, s0
	s_cbranch_vccz .LBB159_2667
; %bb.2663:
	v_cmp_gt_i16_e64 s0, s3, 43
	s_delay_alu instid0(VALU_DEP_1)
	s_and_b32 vcc_lo, exec_lo, s0
	;; [unrolled: 5-line block ×3, first 2 shown]
	s_cbranch_vccz .LBB159_2671
; %bb.2665:
	v_cmp_eq_u16_e64 s6, s3, 46
	s_mov_b32 s0, -1
	s_mov_b32 s7, 0
	s_delay_alu instid0(VALU_DEP_1)
	s_and_b32 vcc_lo, exec_lo, s6
	s_mov_b32 s6, 0
	s_cbranch_vccz .LBB159_2672
; %bb.2666:
	v_bfe_u32 v3, v4, 16, 1
	v_cmp_o_f32_e32 vcc_lo, v4, v4
	s_mov_b32 s0, 0
	s_mov_b32 s6, -1
	s_delay_alu instid0(VALU_DEP_2) | instskip(NEXT) | instid1(VALU_DEP_1)
	v_add3_u32 v3, v4, v3, 0x7fff
	v_lshrrev_b32_e32 v3, 16, v3
	s_delay_alu instid0(VALU_DEP_1)
	v_cndmask_b32_e32 v3, 0x7fc0, v3, vcc_lo
	global_store_b32 v[10:11], v3, off
	s_branch .LBB159_2672
.LBB159_2667:
	s_mov_b32 s0, 0
	s_branch .LBB159_2682
.LBB159_2668:
	s_mov_b32 s0, 0
	s_branch .LBB159_2678
.LBB159_2669:
	s_cbranch_execnz .LBB159_2794
; %bb.2670:
	s_or_b32 s10, s10, exec_lo
                                        ; implicit-def: $vgpr6
	s_cbranch_execz .LBB159_2608
	s_branch .LBB159_2609
.LBB159_2671:
	s_mov_b32 s0, 0
.LBB159_2672:
	s_and_b32 vcc_lo, exec_lo, s7
	s_cbranch_vccz .LBB159_2677
; %bb.2673:
	v_cmp_eq_u16_e64 s0, s3, 44
	s_delay_alu instid0(VALU_DEP_1)
	s_and_b32 vcc_lo, exec_lo, s0
	s_mov_b32 s0, -1
	s_cbranch_vccz .LBB159_2677
; %bb.2674:
	v_bfe_u32 v5, v4, 23, 8
	v_mov_b32_e32 v3, 0xff
	s_mov_b32 s6, exec_lo
	s_delay_alu instid0(VALU_DEP_2)
	v_cmpx_ne_u32_e32 0xff, v5
; %bb.2675:
	v_and_b32_e32 v3, 0x400000, v4
	v_and_or_b32 v5, 0x3fffff, v4, v5
	s_delay_alu instid0(VALU_DEP_2) | instskip(NEXT) | instid1(VALU_DEP_2)
	v_cmp_ne_u32_e32 vcc_lo, 0, v3
	v_cmp_ne_u32_e64 s0, 0, v5
	v_lshrrev_b32_e32 v3, 23, v4
	s_delay_alu instid0(VALU_DEP_2) | instskip(NEXT) | instid1(SALU_CYCLE_1)
	s_and_b32 s0, vcc_lo, s0
	v_cndmask_b32_e64 v5, 0, 1, s0
	s_delay_alu instid0(VALU_DEP_1)
	v_add_nc_u32_e32 v3, v3, v5
; %bb.2676:
	s_or_b32 exec_lo, exec_lo, s6
	s_mov_b32 s0, 0
	s_mov_b32 s6, -1
	global_store_b8 v[10:11], v3, off
.LBB159_2677:
	s_mov_b32 s7, 0
.LBB159_2678:
	s_delay_alu instid0(SALU_CYCLE_1)
	s_and_b32 vcc_lo, exec_lo, s7
	s_cbranch_vccz .LBB159_2681
; %bb.2679:
	v_cmp_eq_u16_e64 s0, s3, 29
	s_delay_alu instid0(VALU_DEP_1)
	s_and_b32 vcc_lo, exec_lo, s0
	s_mov_b32 s0, -1
	s_cbranch_vccz .LBB159_2681
; %bb.2680:
	v_trunc_f32_e32 v3, v4
	s_mov_b32 s0, 0
	s_mov_b32 s6, -1
	s_mov_b32 s7, 0
	s_delay_alu instid0(VALU_DEP_1) | instskip(NEXT) | instid1(VALU_DEP_1)
	v_mul_f32_e32 v5, 0x2f800000, v3
	v_floor_f32_e32 v5, v5
	s_delay_alu instid0(VALU_DEP_1) | instskip(SKIP_1) | instid1(VALU_DEP_2)
	v_fmamk_f32 v3, v5, 0xcf800000, v3
	v_cvt_u32_f32_e32 v15, v5
	v_cvt_u32_f32_e32 v14, v3
	global_store_b64 v[10:11], v[14:15], off
	s_branch .LBB159_2682
.LBB159_2681:
	s_mov_b32 s7, 0
.LBB159_2682:
	s_delay_alu instid0(SALU_CYCLE_1)
	s_and_b32 vcc_lo, exec_lo, s7
	s_cbranch_vccz .LBB159_2698
; %bb.2683:
	v_cmp_lt_i16_e64 s6, s3, 27
	s_delay_alu instid0(VALU_DEP_1)
	s_and_b32 vcc_lo, exec_lo, s6
	s_mov_b32 s6, -1
	s_cbranch_vccnz .LBB159_2689
; %bb.2684:
	v_cmp_gt_i16_e64 s6, s3, 27
	v_cvt_u32_f32_e32 v3, v4
	s_delay_alu instid0(VALU_DEP_2)
	s_and_b32 vcc_lo, exec_lo, s6
	s_mov_b32 s6, -1
	s_cbranch_vccz .LBB159_2686
; %bb.2685:
	s_mov_b32 s6, 0
	global_store_b32 v[10:11], v3, off
.LBB159_2686:
	s_and_not1_b32 vcc_lo, exec_lo, s6
	s_cbranch_vccnz .LBB159_2688
; %bb.2687:
	global_store_b16 v[10:11], v3, off
.LBB159_2688:
	s_mov_b32 s6, 0
.LBB159_2689:
	s_delay_alu instid0(SALU_CYCLE_1)
	s_and_not1_b32 vcc_lo, exec_lo, s6
	s_cbranch_vccnz .LBB159_2697
; %bb.2690:
	v_and_b32_e32 v3, 0x7fffffff, v4
	v_mov_b32_e32 v5, 0x80
	s_mov_b32 s6, exec_lo
	s_delay_alu instid0(VALU_DEP_2)
	v_cmpx_gt_u32_e32 0x43800000, v3
	s_cbranch_execz .LBB159_2696
; %bb.2691:
	v_cmp_lt_u32_e32 vcc_lo, 0x3bffffff, v3
	s_mov_b32 s7, 0
                                        ; implicit-def: $vgpr3
	s_and_saveexec_b32 s11, vcc_lo
	s_delay_alu instid0(SALU_CYCLE_1)
	s_xor_b32 s11, exec_lo, s11
	s_cbranch_execz .LBB159_2791
; %bb.2692:
	v_bfe_u32 v3, v4, 20, 1
	s_mov_b32 s7, exec_lo
	s_delay_alu instid0(VALU_DEP_1) | instskip(NEXT) | instid1(VALU_DEP_1)
	v_add3_u32 v3, v4, v3, 0x487ffff
	v_lshrrev_b32_e32 v3, 20, v3
	s_or_saveexec_b32 s11, s11
                                        ; implicit-def: $sgpr12
	s_delay_alu instid0(SALU_CYCLE_1)
	s_xor_b32 exec_lo, exec_lo, s11
	s_cbranch_execnz .LBB159_2792
.LBB159_2693:
	s_or_b32 exec_lo, exec_lo, s11
	v_mov_b32_e32 v5, s12
	s_and_saveexec_b32 s11, s7
.LBB159_2694:
	v_lshrrev_b32_e32 v5, 24, v4
	s_delay_alu instid0(VALU_DEP_1)
	v_and_or_b32 v5, 0x80, v5, v3
.LBB159_2695:
	s_or_b32 exec_lo, exec_lo, s11
.LBB159_2696:
	s_delay_alu instid0(SALU_CYCLE_1)
	s_or_b32 exec_lo, exec_lo, s6
	global_store_b8 v[10:11], v5, off
.LBB159_2697:
	s_mov_b32 s6, -1
.LBB159_2698:
	s_mov_b32 s7, 0
.LBB159_2699:
	s_delay_alu instid0(SALU_CYCLE_1)
	s_and_b32 vcc_lo, exec_lo, s7
	s_cbranch_vccz .LBB159_2739
; %bb.2700:
	v_cmp_gt_i16_e64 s1, s3, 22
	s_delay_alu instid0(VALU_DEP_1)
	s_and_b32 vcc_lo, exec_lo, s1
	s_mov_b32 s1, -1
	s_cbranch_vccz .LBB159_2732
; %bb.2701:
	v_cmp_lt_i16_e64 s1, s3, 24
	s_delay_alu instid0(VALU_DEP_1)
	s_and_b32 vcc_lo, exec_lo, s1
	s_mov_b32 s1, -1
	s_cbranch_vccnz .LBB159_2721
; %bb.2702:
	v_cmp_gt_i16_e64 s1, s3, 24
	s_delay_alu instid0(VALU_DEP_1)
	s_and_b32 vcc_lo, exec_lo, s1
	s_mov_b32 s1, -1
	s_cbranch_vccz .LBB159_2710
; %bb.2703:
	v_and_b32_e32 v3, 0x7fffffff, v4
	v_mov_b32_e32 v5, 0x80
	s_mov_b32 s1, exec_lo
	s_delay_alu instid0(VALU_DEP_2)
	v_cmpx_gt_u32_e32 0x47800000, v3
	s_cbranch_execz .LBB159_2709
; %bb.2704:
	v_cmp_lt_u32_e32 vcc_lo, 0x37ffffff, v3
	s_mov_b32 s6, 0
                                        ; implicit-def: $vgpr3
	s_and_saveexec_b32 s7, vcc_lo
	s_delay_alu instid0(SALU_CYCLE_1)
	s_xor_b32 s7, exec_lo, s7
	s_cbranch_execz .LBB159_2798
; %bb.2705:
	v_bfe_u32 v3, v4, 21, 1
	s_mov_b32 s6, exec_lo
	s_delay_alu instid0(VALU_DEP_1) | instskip(NEXT) | instid1(VALU_DEP_1)
	v_add3_u32 v3, v4, v3, 0x88fffff
	v_lshrrev_b32_e32 v3, 21, v3
	s_or_saveexec_b32 s7, s7
                                        ; implicit-def: $sgpr11
	s_delay_alu instid0(SALU_CYCLE_1)
	s_xor_b32 exec_lo, exec_lo, s7
	s_cbranch_execnz .LBB159_2799
.LBB159_2706:
	s_or_b32 exec_lo, exec_lo, s7
	v_mov_b32_e32 v5, s11
	s_and_saveexec_b32 s7, s6
.LBB159_2707:
	v_lshrrev_b32_e32 v5, 24, v4
	s_delay_alu instid0(VALU_DEP_1)
	v_and_or_b32 v5, 0x80, v5, v3
.LBB159_2708:
	s_or_b32 exec_lo, exec_lo, s7
.LBB159_2709:
	s_delay_alu instid0(SALU_CYCLE_1)
	s_or_b32 exec_lo, exec_lo, s1
	s_mov_b32 s1, 0
	global_store_b8 v[10:11], v5, off
.LBB159_2710:
	s_and_b32 vcc_lo, exec_lo, s1
	s_cbranch_vccz .LBB159_2720
; %bb.2711:
	v_and_b32_e32 v5, 0x7fffffff, v4
	s_mov_b32 s1, exec_lo
                                        ; implicit-def: $vgpr3
	s_delay_alu instid0(VALU_DEP_1)
	v_cmpx_gt_u32_e32 0x43f00000, v5
	s_xor_b32 s1, exec_lo, s1
	s_cbranch_execz .LBB159_2717
; %bb.2712:
	s_mov_b32 s6, exec_lo
                                        ; implicit-def: $vgpr3
	v_cmpx_lt_u32_e32 0x3c7fffff, v5
	s_xor_b32 s6, exec_lo, s6
; %bb.2713:
	v_bfe_u32 v3, v4, 20, 1
	s_delay_alu instid0(VALU_DEP_1) | instskip(NEXT) | instid1(VALU_DEP_1)
	v_add3_u32 v3, v4, v3, 0x407ffff
	v_and_b32_e32 v5, 0xff00000, v3
	v_lshrrev_b32_e32 v3, 20, v3
	s_delay_alu instid0(VALU_DEP_2) | instskip(NEXT) | instid1(VALU_DEP_2)
	v_cmp_ne_u32_e32 vcc_lo, 0x7f00000, v5
	v_cndmask_b32_e32 v3, 0x7e, v3, vcc_lo
; %bb.2714:
	s_and_not1_saveexec_b32 s6, s6
; %bb.2715:
	v_add_f32_e64 v3, 0x46800000, |v4|
; %bb.2716:
	s_or_b32 exec_lo, exec_lo, s6
                                        ; implicit-def: $vgpr5
.LBB159_2717:
	s_and_not1_saveexec_b32 s1, s1
; %bb.2718:
	v_mov_b32_e32 v3, 0x7f
	v_cmp_lt_u32_e32 vcc_lo, 0x7f800000, v5
	s_delay_alu instid0(VALU_DEP_2)
	v_cndmask_b32_e32 v3, 0x7e, v3, vcc_lo
; %bb.2719:
	s_or_b32 exec_lo, exec_lo, s1
	v_lshrrev_b32_e32 v5, 24, v4
	s_delay_alu instid0(VALU_DEP_1)
	v_and_or_b32 v3, 0x80, v5, v3
	global_store_b8 v[10:11], v3, off
.LBB159_2720:
	s_mov_b32 s1, 0
.LBB159_2721:
	s_delay_alu instid0(SALU_CYCLE_1)
	s_and_not1_b32 vcc_lo, exec_lo, s1
	s_cbranch_vccnz .LBB159_2731
; %bb.2722:
	v_and_b32_e32 v5, 0x7fffffff, v4
	s_mov_b32 s1, exec_lo
                                        ; implicit-def: $vgpr3
	s_delay_alu instid0(VALU_DEP_1)
	v_cmpx_gt_u32_e32 0x47800000, v5
	s_xor_b32 s1, exec_lo, s1
	s_cbranch_execz .LBB159_2728
; %bb.2723:
	s_mov_b32 s6, exec_lo
                                        ; implicit-def: $vgpr3
	v_cmpx_lt_u32_e32 0x387fffff, v5
	s_xor_b32 s6, exec_lo, s6
; %bb.2724:
	v_bfe_u32 v3, v4, 21, 1
	s_delay_alu instid0(VALU_DEP_1) | instskip(NEXT) | instid1(VALU_DEP_1)
	v_add3_u32 v3, v4, v3, 0x80fffff
	v_lshrrev_b32_e32 v3, 21, v3
; %bb.2725:
	s_and_not1_saveexec_b32 s6, s6
; %bb.2726:
	v_add_f32_e64 v3, 0x43000000, |v4|
; %bb.2727:
	s_or_b32 exec_lo, exec_lo, s6
                                        ; implicit-def: $vgpr5
.LBB159_2728:
	s_and_not1_saveexec_b32 s1, s1
; %bb.2729:
	v_mov_b32_e32 v3, 0x7f
	v_cmp_lt_u32_e32 vcc_lo, 0x7f800000, v5
	s_delay_alu instid0(VALU_DEP_2)
	v_cndmask_b32_e32 v3, 0x7c, v3, vcc_lo
; %bb.2730:
	s_or_b32 exec_lo, exec_lo, s1
	v_lshrrev_b32_e32 v5, 24, v4
	s_delay_alu instid0(VALU_DEP_1)
	v_and_or_b32 v3, 0x80, v5, v3
	global_store_b8 v[10:11], v3, off
.LBB159_2731:
	s_mov_b32 s1, 0
	s_mov_b32 s6, -1
.LBB159_2732:
	s_and_not1_b32 vcc_lo, exec_lo, s1
	s_mov_b32 s1, 0
	s_cbranch_vccnz .LBB159_2739
; %bb.2733:
	v_cmp_gt_i16_e64 s1, s3, 14
	s_delay_alu instid0(VALU_DEP_1)
	s_and_b32 vcc_lo, exec_lo, s1
	s_mov_b32 s1, -1
	s_cbranch_vccz .LBB159_2737
; %bb.2734:
	v_cmp_eq_u16_e64 s0, s3, 15
	s_delay_alu instid0(VALU_DEP_1)
	s_and_b32 vcc_lo, exec_lo, s0
	s_mov_b32 s0, -1
	s_cbranch_vccz .LBB159_2736
; %bb.2735:
	v_bfe_u32 v3, v4, 16, 1
	v_cmp_o_f32_e32 vcc_lo, v4, v4
	s_mov_b32 s0, 0
	s_mov_b32 s6, -1
	s_delay_alu instid0(VALU_DEP_2) | instskip(NEXT) | instid1(VALU_DEP_1)
	v_add3_u32 v3, v4, v3, 0x7fff
	v_lshrrev_b32_e32 v3, 16, v3
	s_delay_alu instid0(VALU_DEP_1)
	v_cndmask_b32_e32 v3, 0x7fc0, v3, vcc_lo
	global_store_b16 v[10:11], v3, off
.LBB159_2736:
	s_mov_b32 s1, 0
.LBB159_2737:
	s_delay_alu instid0(SALU_CYCLE_1)
	s_and_b32 vcc_lo, exec_lo, s1
	s_mov_b32 s1, 0
	s_cbranch_vccz .LBB159_2739
; %bb.2738:
	v_cmp_ne_u16_e64 s0, s3, 11
	s_mov_b32 s1, -1
.LBB159_2739:
	s_delay_alu instid0(VALU_DEP_1)
	s_and_b32 vcc_lo, exec_lo, s0
	s_cbranch_vccnz .LBB159_2796
; %bb.2740:
	s_and_not1_b32 vcc_lo, exec_lo, s1
	s_cbranch_vccnz .LBB159_2742
.LBB159_2741:
	v_cmp_neq_f32_e32 vcc_lo, 0, v4
	s_mov_b32 s6, -1
	v_cndmask_b32_e64 v3, 0, 1, vcc_lo
	global_store_b8 v[10:11], v3, off
.LBB159_2742:
	s_mov_b32 s0, 0
.LBB159_2743:
	s_delay_alu instid0(SALU_CYCLE_1)
	s_and_b32 vcc_lo, exec_lo, s0
	s_cbranch_vccz .LBB159_2782
; %bb.2744:
	v_cmp_lt_i16_e64 s0, s3, 5
	s_delay_alu instid0(VALU_DEP_1)
	s_and_b32 vcc_lo, exec_lo, s0
	s_mov_b32 s0, -1
	s_cbranch_vccnz .LBB159_2765
; %bb.2745:
	v_cmp_lt_i16_e64 s0, s3, 8
	s_delay_alu instid0(VALU_DEP_1)
	s_and_b32 vcc_lo, exec_lo, s0
	s_mov_b32 s0, -1
	s_cbranch_vccnz .LBB159_2755
	;; [unrolled: 6-line block ×3, first 2 shown]
; %bb.2747:
	v_cmp_gt_i16_e64 s0, s3, 9
	s_delay_alu instid0(VALU_DEP_1)
	s_and_b32 vcc_lo, exec_lo, s0
	s_mov_b32 s0, -1
	s_cbranch_vccz .LBB159_2749
; %bb.2748:
	v_cvt_f64_f32_e32 v[18:19], v4
	v_mov_b32_e32 v20, 0
	s_mov_b32 s0, 0
	s_delay_alu instid0(VALU_DEP_1)
	v_mov_b32_e32 v21, v20
	global_store_b128 v[10:11], v[18:21], off
.LBB159_2749:
	s_and_not1_b32 vcc_lo, exec_lo, s0
	s_cbranch_vccnz .LBB159_2751
; %bb.2750:
	v_mov_b32_e32 v5, 0
	global_store_b64 v[10:11], v[4:5], off
.LBB159_2751:
	s_mov_b32 s0, 0
.LBB159_2752:
	s_delay_alu instid0(SALU_CYCLE_1)
	s_and_not1_b32 vcc_lo, exec_lo, s0
	s_cbranch_vccnz .LBB159_2754
; %bb.2753:
	v_cvt_f16_f32_e32 v3, v4
	s_delay_alu instid0(VALU_DEP_1)
	v_and_b32_e32 v3, 0xffff, v3
	global_store_b32 v[10:11], v3, off
.LBB159_2754:
	s_mov_b32 s0, 0
.LBB159_2755:
	s_delay_alu instid0(SALU_CYCLE_1)
	s_and_not1_b32 vcc_lo, exec_lo, s0
	s_cbranch_vccnz .LBB159_2764
; %bb.2756:
	v_cmp_lt_i16_e64 s0, s3, 6
	s_delay_alu instid0(VALU_DEP_1)
	s_and_b32 vcc_lo, exec_lo, s0
	s_mov_b32 s0, -1
	s_cbranch_vccnz .LBB159_2762
; %bb.2757:
	v_cmp_gt_i16_e64 s0, s3, 6
	s_delay_alu instid0(VALU_DEP_1)
	s_and_b32 vcc_lo, exec_lo, s0
	s_mov_b32 s0, -1
	s_cbranch_vccz .LBB159_2759
; %bb.2758:
	v_cvt_f64_f32_e32 v[14:15], v4
	s_mov_b32 s0, 0
	global_store_b64 v[10:11], v[14:15], off
.LBB159_2759:
	s_and_not1_b32 vcc_lo, exec_lo, s0
	s_cbranch_vccnz .LBB159_2761
; %bb.2760:
	global_store_b32 v[10:11], v4, off
.LBB159_2761:
	s_mov_b32 s0, 0
.LBB159_2762:
	s_delay_alu instid0(SALU_CYCLE_1)
	s_and_not1_b32 vcc_lo, exec_lo, s0
	s_cbranch_vccnz .LBB159_2764
; %bb.2763:
	v_cvt_f16_f32_e32 v3, v4
	global_store_b16 v[10:11], v3, off
.LBB159_2764:
	s_mov_b32 s0, 0
.LBB159_2765:
	s_delay_alu instid0(SALU_CYCLE_1)
	s_and_not1_b32 vcc_lo, exec_lo, s0
	s_cbranch_vccnz .LBB159_2781
; %bb.2766:
	v_cmp_lt_i16_e64 s0, s3, 2
	s_delay_alu instid0(VALU_DEP_1)
	s_and_b32 vcc_lo, exec_lo, s0
	s_mov_b32 s0, -1
	s_cbranch_vccnz .LBB159_2776
; %bb.2767:
	v_cmp_lt_i16_e64 s0, s3, 3
	s_delay_alu instid0(VALU_DEP_1)
	s_and_b32 vcc_lo, exec_lo, s0
	s_mov_b32 s0, -1
	s_cbranch_vccnz .LBB159_2773
; %bb.2768:
	v_cmp_gt_i16_e64 s0, s3, 3
	s_delay_alu instid0(VALU_DEP_1)
	s_and_b32 vcc_lo, exec_lo, s0
	s_mov_b32 s0, -1
	s_cbranch_vccz .LBB159_2770
; %bb.2769:
	v_trunc_f32_e32 v3, v4
	s_mov_b32 s0, 0
	s_delay_alu instid0(VALU_DEP_1) | instskip(NEXT) | instid1(VALU_DEP_1)
	v_mul_f32_e64 v5, 0x2f800000, |v3|
	v_floor_f32_e32 v5, v5
	s_waitcnt vmcnt(0)
	s_delay_alu instid0(VALU_DEP_1) | instskip(SKIP_2) | instid1(VALU_DEP_3)
	v_fma_f32 v7, 0xcf800000, v5, |v3|
	v_ashrrev_i32_e32 v3, 31, v3
	v_cvt_u32_f32_e32 v5, v5
	v_cvt_u32_f32_e32 v7, v7
	s_delay_alu instid0(VALU_DEP_2) | instskip(NEXT) | instid1(VALU_DEP_2)
	v_xor_b32_e32 v5, v5, v3
	v_xor_b32_e32 v7, v7, v3
	s_delay_alu instid0(VALU_DEP_1) | instskip(NEXT) | instid1(VALU_DEP_3)
	v_sub_co_u32 v14, vcc_lo, v7, v3
	v_sub_co_ci_u32_e32 v15, vcc_lo, v5, v3, vcc_lo
	global_store_b64 v[10:11], v[14:15], off
.LBB159_2770:
	s_and_not1_b32 vcc_lo, exec_lo, s0
	s_cbranch_vccnz .LBB159_2772
; %bb.2771:
	v_cvt_i32_f32_e32 v3, v4
	global_store_b32 v[10:11], v3, off
.LBB159_2772:
	s_mov_b32 s0, 0
.LBB159_2773:
	s_delay_alu instid0(SALU_CYCLE_1)
	s_and_not1_b32 vcc_lo, exec_lo, s0
	s_cbranch_vccnz .LBB159_2775
; %bb.2774:
	v_cvt_i32_f32_e32 v3, v4
	global_store_b16 v[10:11], v3, off
.LBB159_2775:
	s_mov_b32 s0, 0
.LBB159_2776:
	s_delay_alu instid0(SALU_CYCLE_1)
	s_and_not1_b32 vcc_lo, exec_lo, s0
	s_cbranch_vccnz .LBB159_2781
; %bb.2777:
	v_cmp_gt_i16_e64 s0, s3, 0
	s_delay_alu instid0(VALU_DEP_1)
	s_and_b32 vcc_lo, exec_lo, s0
	s_mov_b32 s0, -1
	s_cbranch_vccz .LBB159_2779
; %bb.2778:
	v_cvt_i32_f32_e32 v3, v4
	s_mov_b32 s0, 0
	global_store_b8 v[10:11], v3, off
.LBB159_2779:
	s_and_not1_b32 vcc_lo, exec_lo, s0
	s_cbranch_vccnz .LBB159_2781
; %bb.2780:
	v_trunc_f32_e32 v3, v4
	s_delay_alu instid0(VALU_DEP_1) | instskip(NEXT) | instid1(VALU_DEP_1)
	v_mul_f32_e64 v4, 0x2f800000, |v3|
	v_floor_f32_e32 v4, v4
	s_delay_alu instid0(VALU_DEP_1) | instskip(SKIP_1) | instid1(VALU_DEP_2)
	v_fma_f32 v4, 0xcf800000, v4, |v3|
	v_ashrrev_i32_e32 v3, 31, v3
	v_cvt_u32_f32_e32 v4, v4
	s_delay_alu instid0(VALU_DEP_1) | instskip(NEXT) | instid1(VALU_DEP_1)
	v_xor_b32_e32 v4, v4, v3
	v_sub_nc_u32_e32 v3, v4, v3
	global_store_b8 v[10:11], v3, off
.LBB159_2781:
	s_mov_b32 s6, -1
.LBB159_2782:
	s_delay_alu instid0(SALU_CYCLE_1)
	s_and_not1_b32 vcc_lo, exec_lo, s6
	s_cbranch_vccnz .LBB159_3049
; %bb.2783:
	v_cvt_f32_ubyte0_e32 v3, v8
	v_cmp_lt_i16_e64 s0, s3, 11
	v_add_co_u32 v2, s1, s4, v2
	s_mov_b32 s6, 0
	s_delay_alu instid0(VALU_DEP_3) | instskip(SKIP_3) | instid1(VALU_DEP_2)
	v_mul_f32_e32 v4, v17, v3
	v_add_co_ci_u32_e64 v3, null, s5, 0, s1
	s_and_b32 vcc_lo, exec_lo, s0
	s_mov_b32 s0, -1
	v_mul_f32_e32 v4, s2, v4
	s_cbranch_vccnz .LBB159_2872
; %bb.2784:
	v_cmp_gt_i16_e64 s0, s3, 25
	s_mov_b32 s7, -1
	s_mov_b32 s1, 0
	s_delay_alu instid0(VALU_DEP_1)
	s_and_b32 vcc_lo, exec_lo, s0
	s_mov_b32 s0, 0
	s_cbranch_vccz .LBB159_2828
; %bb.2785:
	v_cmp_gt_i16_e64 s0, s3, 28
	s_delay_alu instid0(VALU_DEP_1)
	s_and_b32 vcc_lo, exec_lo, s0
	s_cbranch_vccz .LBB159_2790
; %bb.2786:
	v_cmp_gt_i16_e64 s0, s3, 43
	s_delay_alu instid0(VALU_DEP_1)
	s_and_b32 vcc_lo, exec_lo, s0
	;; [unrolled: 5-line block ×3, first 2 shown]
	s_cbranch_vccz .LBB159_2800
; %bb.2788:
	v_cmp_eq_u16_e64 s6, s3, 46
	s_mov_b32 s0, -1
	s_mov_b32 s7, 0
	s_delay_alu instid0(VALU_DEP_1)
	s_and_b32 vcc_lo, exec_lo, s6
	s_mov_b32 s6, 0
	s_cbranch_vccz .LBB159_2801
; %bb.2789:
	v_bfe_u32 v5, v4, 16, 1
	v_cmp_o_f32_e32 vcc_lo, v4, v4
	s_mov_b32 s0, 0
	s_mov_b32 s6, -1
	s_delay_alu instid0(VALU_DEP_2) | instskip(NEXT) | instid1(VALU_DEP_1)
	v_add3_u32 v5, v4, v5, 0x7fff
	v_lshrrev_b32_e32 v5, 16, v5
	s_delay_alu instid0(VALU_DEP_1)
	v_cndmask_b32_e32 v5, 0x7fc0, v5, vcc_lo
	global_store_b32 v[2:3], v5, off
	s_branch .LBB159_2801
.LBB159_2790:
	s_mov_b32 s0, 0
	s_branch .LBB159_2811
.LBB159_2791:
	s_or_saveexec_b32 s11, s11
                                        ; implicit-def: $sgpr12
	s_delay_alu instid0(SALU_CYCLE_1)
	s_xor_b32 exec_lo, exec_lo, s11
	s_cbranch_execz .LBB159_2693
.LBB159_2792:
	v_add_f32_e64 v3, 0x46000000, |v4|
	s_and_not1_b32 s7, s7, exec_lo
	s_mov_b32 s12, 0
	s_delay_alu instid0(VALU_DEP_1) | instskip(NEXT) | instid1(VALU_DEP_1)
	v_and_b32_e32 v3, 0xff, v3
	v_cmp_ne_u32_e32 vcc_lo, 0, v3
	s_and_b32 s13, vcc_lo, exec_lo
	s_delay_alu instid0(SALU_CYCLE_1)
	s_or_b32 s7, s7, s13
	s_or_b32 exec_lo, exec_lo, s11
	v_mov_b32_e32 v5, s12
	s_and_saveexec_b32 s11, s7
	s_cbranch_execnz .LBB159_2694
	s_branch .LBB159_2695
.LBB159_2793:
	s_mov_b32 s0, 0
	s_branch .LBB159_2807
.LBB159_2794:
	s_trap 2
	s_sendmsg_rtn_b32 s0, sendmsg(MSG_RTN_GET_DOORBELL)
	s_mov_b32 ttmp2, m0
	s_waitcnt lgkmcnt(0)
	s_and_b32 s0, s0, 0x3ff
	s_delay_alu instid0(SALU_CYCLE_1) | instskip(NEXT) | instid1(SALU_CYCLE_1)
	s_bitset1_b32 s0, 10
	s_mov_b32 m0, s0
	s_sendmsg sendmsg(MSG_INTERRUPT)
	s_mov_b32 m0, ttmp2
.LBB159_2795:                           ; =>This Inner Loop Header: Depth=1
	s_sethalt 5
	s_branch .LBB159_2795
.LBB159_2796:
	s_cbranch_execnz .LBB159_2923
; %bb.2797:
	s_or_b32 s10, s10, exec_lo
	s_cbranch_execz .LBB159_2741
	s_branch .LBB159_2742
.LBB159_2798:
	s_or_saveexec_b32 s7, s7
                                        ; implicit-def: $sgpr11
	s_delay_alu instid0(SALU_CYCLE_1)
	s_xor_b32 exec_lo, exec_lo, s7
	s_cbranch_execz .LBB159_2706
.LBB159_2799:
	v_add_f32_e64 v3, 0x42800000, |v4|
	s_and_not1_b32 s6, s6, exec_lo
	s_mov_b32 s11, 0
	s_delay_alu instid0(VALU_DEP_1) | instskip(NEXT) | instid1(VALU_DEP_1)
	v_and_b32_e32 v3, 0xff, v3
	v_cmp_ne_u32_e32 vcc_lo, 0, v3
	s_and_b32 s12, vcc_lo, exec_lo
	s_delay_alu instid0(SALU_CYCLE_1)
	s_or_b32 s6, s6, s12
	s_or_b32 exec_lo, exec_lo, s7
	v_mov_b32_e32 v5, s11
	s_and_saveexec_b32 s7, s6
	s_cbranch_execnz .LBB159_2707
	s_branch .LBB159_2708
.LBB159_2800:
	s_mov_b32 s0, 0
.LBB159_2801:
	s_and_b32 vcc_lo, exec_lo, s7
	s_cbranch_vccz .LBB159_2806
; %bb.2802:
	v_cmp_eq_u16_e64 s0, s3, 44
	s_delay_alu instid0(VALU_DEP_1)
	s_and_b32 vcc_lo, exec_lo, s0
	s_mov_b32 s0, -1
	s_cbranch_vccz .LBB159_2806
; %bb.2803:
	s_waitcnt vmcnt(0)
	v_bfe_u32 v7, v4, 23, 8
	v_mov_b32_e32 v5, 0xff
	s_mov_b32 s6, exec_lo
	s_delay_alu instid0(VALU_DEP_2)
	v_cmpx_ne_u32_e32 0xff, v7
; %bb.2804:
	v_and_b32_e32 v5, 0x400000, v4
	v_and_or_b32 v7, 0x3fffff, v4, v7
	s_delay_alu instid0(VALU_DEP_2) | instskip(NEXT) | instid1(VALU_DEP_2)
	v_cmp_ne_u32_e32 vcc_lo, 0, v5
	v_cmp_ne_u32_e64 s0, 0, v7
	v_lshrrev_b32_e32 v5, 23, v4
	s_delay_alu instid0(VALU_DEP_2) | instskip(NEXT) | instid1(SALU_CYCLE_1)
	s_and_b32 s0, vcc_lo, s0
	v_cndmask_b32_e64 v7, 0, 1, s0
	s_delay_alu instid0(VALU_DEP_1)
	v_add_nc_u32_e32 v5, v5, v7
; %bb.2805:
	s_or_b32 exec_lo, exec_lo, s6
	s_mov_b32 s0, 0
	s_mov_b32 s6, -1
	global_store_b8 v[2:3], v5, off
.LBB159_2806:
	s_mov_b32 s7, 0
.LBB159_2807:
	s_delay_alu instid0(SALU_CYCLE_1)
	s_and_b32 vcc_lo, exec_lo, s7
	s_cbranch_vccz .LBB159_2810
; %bb.2808:
	v_cmp_eq_u16_e64 s0, s3, 29
	s_delay_alu instid0(VALU_DEP_1)
	s_and_b32 vcc_lo, exec_lo, s0
	s_mov_b32 s0, -1
	s_cbranch_vccz .LBB159_2810
; %bb.2809:
	v_trunc_f32_e32 v5, v4
	s_mov_b32 s0, 0
	s_mov_b32 s6, -1
	s_mov_b32 s7, 0
	s_waitcnt vmcnt(0)
	v_mul_f32_e32 v7, 0x2f800000, v5
	s_delay_alu instid0(VALU_DEP_1) | instskip(NEXT) | instid1(VALU_DEP_1)
	v_floor_f32_e32 v7, v7
	v_fmamk_f32 v5, v7, 0xcf800000, v5
	v_cvt_u32_f32_e32 v8, v7
	s_delay_alu instid0(VALU_DEP_2)
	v_cvt_u32_f32_e32 v7, v5
	global_store_b64 v[2:3], v[7:8], off
	s_branch .LBB159_2811
.LBB159_2810:
	s_mov_b32 s7, 0
.LBB159_2811:
	s_delay_alu instid0(SALU_CYCLE_1)
	s_and_b32 vcc_lo, exec_lo, s7
	s_cbranch_vccz .LBB159_2827
; %bb.2812:
	v_cmp_lt_i16_e64 s6, s3, 27
	s_delay_alu instid0(VALU_DEP_1)
	s_and_b32 vcc_lo, exec_lo, s6
	s_mov_b32 s6, -1
	s_cbranch_vccnz .LBB159_2818
; %bb.2813:
	v_cmp_gt_i16_e64 s6, s3, 27
	v_cvt_u32_f32_e32 v5, v4
	s_delay_alu instid0(VALU_DEP_2)
	s_and_b32 vcc_lo, exec_lo, s6
	s_mov_b32 s6, -1
	s_cbranch_vccz .LBB159_2815
; %bb.2814:
	s_mov_b32 s6, 0
	global_store_b32 v[2:3], v5, off
.LBB159_2815:
	s_and_not1_b32 vcc_lo, exec_lo, s6
	s_cbranch_vccnz .LBB159_2817
; %bb.2816:
	global_store_b16 v[2:3], v5, off
.LBB159_2817:
	s_mov_b32 s6, 0
.LBB159_2818:
	s_delay_alu instid0(SALU_CYCLE_1)
	s_and_not1_b32 vcc_lo, exec_lo, s6
	s_cbranch_vccnz .LBB159_2826
; %bb.2819:
	v_and_b32_e32 v5, 0x7fffffff, v4
	s_waitcnt vmcnt(0)
	v_mov_b32_e32 v7, 0x80
	s_mov_b32 s6, exec_lo
	s_delay_alu instid0(VALU_DEP_2)
	v_cmpx_gt_u32_e32 0x43800000, v5
	s_cbranch_execz .LBB159_2825
; %bb.2820:
	v_cmp_lt_u32_e32 vcc_lo, 0x3bffffff, v5
	s_mov_b32 s7, 0
                                        ; implicit-def: $vgpr5
	s_and_saveexec_b32 s11, vcc_lo
	s_delay_alu instid0(SALU_CYCLE_1)
	s_xor_b32 s11, exec_lo, s11
	s_cbranch_execz .LBB159_2920
; %bb.2821:
	v_bfe_u32 v5, v4, 20, 1
	s_mov_b32 s7, exec_lo
	s_delay_alu instid0(VALU_DEP_1) | instskip(NEXT) | instid1(VALU_DEP_1)
	v_add3_u32 v5, v4, v5, 0x487ffff
	v_lshrrev_b32_e32 v5, 20, v5
	s_or_saveexec_b32 s11, s11
                                        ; implicit-def: $sgpr12
	s_delay_alu instid0(SALU_CYCLE_1)
	s_xor_b32 exec_lo, exec_lo, s11
	s_cbranch_execnz .LBB159_2921
.LBB159_2822:
	s_or_b32 exec_lo, exec_lo, s11
	v_mov_b32_e32 v7, s12
	s_and_saveexec_b32 s11, s7
.LBB159_2823:
	v_lshrrev_b32_e32 v7, 24, v4
	s_delay_alu instid0(VALU_DEP_1)
	v_and_or_b32 v7, 0x80, v7, v5
.LBB159_2824:
	s_or_b32 exec_lo, exec_lo, s11
.LBB159_2825:
	s_delay_alu instid0(SALU_CYCLE_1)
	s_or_b32 exec_lo, exec_lo, s6
	global_store_b8 v[2:3], v7, off
.LBB159_2826:
	s_mov_b32 s6, -1
.LBB159_2827:
	s_mov_b32 s7, 0
.LBB159_2828:
	s_delay_alu instid0(SALU_CYCLE_1)
	s_and_b32 vcc_lo, exec_lo, s7
	s_cbranch_vccz .LBB159_2868
; %bb.2829:
	v_cmp_gt_i16_e64 s1, s3, 22
	s_delay_alu instid0(VALU_DEP_1)
	s_and_b32 vcc_lo, exec_lo, s1
	s_mov_b32 s1, -1
	s_cbranch_vccz .LBB159_2861
; %bb.2830:
	v_cmp_lt_i16_e64 s1, s3, 24
	s_delay_alu instid0(VALU_DEP_1)
	s_and_b32 vcc_lo, exec_lo, s1
	s_mov_b32 s1, -1
	s_cbranch_vccnz .LBB159_2850
; %bb.2831:
	v_cmp_gt_i16_e64 s1, s3, 24
	s_delay_alu instid0(VALU_DEP_1)
	s_and_b32 vcc_lo, exec_lo, s1
	s_mov_b32 s1, -1
	s_cbranch_vccz .LBB159_2839
; %bb.2832:
	v_and_b32_e32 v5, 0x7fffffff, v4
	s_waitcnt vmcnt(0)
	v_mov_b32_e32 v7, 0x80
	s_mov_b32 s1, exec_lo
	s_delay_alu instid0(VALU_DEP_2)
	v_cmpx_gt_u32_e32 0x47800000, v5
	s_cbranch_execz .LBB159_2838
; %bb.2833:
	v_cmp_lt_u32_e32 vcc_lo, 0x37ffffff, v5
	s_mov_b32 s6, 0
                                        ; implicit-def: $vgpr5
	s_and_saveexec_b32 s7, vcc_lo
	s_delay_alu instid0(SALU_CYCLE_1)
	s_xor_b32 s7, exec_lo, s7
	s_cbranch_execz .LBB159_2927
; %bb.2834:
	v_bfe_u32 v5, v4, 21, 1
	s_mov_b32 s6, exec_lo
	s_delay_alu instid0(VALU_DEP_1) | instskip(NEXT) | instid1(VALU_DEP_1)
	v_add3_u32 v5, v4, v5, 0x88fffff
	v_lshrrev_b32_e32 v5, 21, v5
	s_or_saveexec_b32 s7, s7
                                        ; implicit-def: $sgpr11
	s_delay_alu instid0(SALU_CYCLE_1)
	s_xor_b32 exec_lo, exec_lo, s7
	s_cbranch_execnz .LBB159_2928
.LBB159_2835:
	s_or_b32 exec_lo, exec_lo, s7
	v_mov_b32_e32 v7, s11
	s_and_saveexec_b32 s7, s6
.LBB159_2836:
	v_lshrrev_b32_e32 v7, 24, v4
	s_delay_alu instid0(VALU_DEP_1)
	v_and_or_b32 v7, 0x80, v7, v5
.LBB159_2837:
	s_or_b32 exec_lo, exec_lo, s7
.LBB159_2838:
	s_delay_alu instid0(SALU_CYCLE_1)
	s_or_b32 exec_lo, exec_lo, s1
	s_mov_b32 s1, 0
	global_store_b8 v[2:3], v7, off
.LBB159_2839:
	s_and_b32 vcc_lo, exec_lo, s1
	s_cbranch_vccz .LBB159_2849
; %bb.2840:
	s_waitcnt vmcnt(0)
	v_and_b32_e32 v7, 0x7fffffff, v4
	s_mov_b32 s1, exec_lo
                                        ; implicit-def: $vgpr5
	s_delay_alu instid0(VALU_DEP_1)
	v_cmpx_gt_u32_e32 0x43f00000, v7
	s_xor_b32 s1, exec_lo, s1
	s_cbranch_execz .LBB159_2846
; %bb.2841:
	s_mov_b32 s6, exec_lo
                                        ; implicit-def: $vgpr5
	v_cmpx_lt_u32_e32 0x3c7fffff, v7
	s_xor_b32 s6, exec_lo, s6
; %bb.2842:
	v_bfe_u32 v5, v4, 20, 1
	s_delay_alu instid0(VALU_DEP_1) | instskip(NEXT) | instid1(VALU_DEP_1)
	v_add3_u32 v5, v4, v5, 0x407ffff
	v_and_b32_e32 v7, 0xff00000, v5
	v_lshrrev_b32_e32 v5, 20, v5
	s_delay_alu instid0(VALU_DEP_2) | instskip(NEXT) | instid1(VALU_DEP_2)
	v_cmp_ne_u32_e32 vcc_lo, 0x7f00000, v7
	v_cndmask_b32_e32 v5, 0x7e, v5, vcc_lo
; %bb.2843:
	s_and_not1_saveexec_b32 s6, s6
; %bb.2844:
	v_add_f32_e64 v5, 0x46800000, |v4|
; %bb.2845:
	s_or_b32 exec_lo, exec_lo, s6
                                        ; implicit-def: $vgpr7
.LBB159_2846:
	s_and_not1_saveexec_b32 s1, s1
; %bb.2847:
	v_mov_b32_e32 v5, 0x7f
	v_cmp_lt_u32_e32 vcc_lo, 0x7f800000, v7
	s_delay_alu instid0(VALU_DEP_2)
	v_cndmask_b32_e32 v5, 0x7e, v5, vcc_lo
; %bb.2848:
	s_or_b32 exec_lo, exec_lo, s1
	v_lshrrev_b32_e32 v7, 24, v4
	s_delay_alu instid0(VALU_DEP_1)
	v_and_or_b32 v5, 0x80, v7, v5
	global_store_b8 v[2:3], v5, off
.LBB159_2849:
	s_mov_b32 s1, 0
.LBB159_2850:
	s_delay_alu instid0(SALU_CYCLE_1)
	s_and_not1_b32 vcc_lo, exec_lo, s1
	s_cbranch_vccnz .LBB159_2860
; %bb.2851:
	s_waitcnt vmcnt(0)
	v_and_b32_e32 v7, 0x7fffffff, v4
	s_mov_b32 s1, exec_lo
                                        ; implicit-def: $vgpr5
	s_delay_alu instid0(VALU_DEP_1)
	v_cmpx_gt_u32_e32 0x47800000, v7
	s_xor_b32 s1, exec_lo, s1
	s_cbranch_execz .LBB159_2857
; %bb.2852:
	s_mov_b32 s6, exec_lo
                                        ; implicit-def: $vgpr5
	v_cmpx_lt_u32_e32 0x387fffff, v7
	s_xor_b32 s6, exec_lo, s6
; %bb.2853:
	v_bfe_u32 v5, v4, 21, 1
	s_delay_alu instid0(VALU_DEP_1) | instskip(NEXT) | instid1(VALU_DEP_1)
	v_add3_u32 v5, v4, v5, 0x80fffff
	v_lshrrev_b32_e32 v5, 21, v5
; %bb.2854:
	s_and_not1_saveexec_b32 s6, s6
; %bb.2855:
	v_add_f32_e64 v5, 0x43000000, |v4|
; %bb.2856:
	s_or_b32 exec_lo, exec_lo, s6
                                        ; implicit-def: $vgpr7
.LBB159_2857:
	s_and_not1_saveexec_b32 s1, s1
; %bb.2858:
	v_mov_b32_e32 v5, 0x7f
	v_cmp_lt_u32_e32 vcc_lo, 0x7f800000, v7
	s_delay_alu instid0(VALU_DEP_2)
	v_cndmask_b32_e32 v5, 0x7c, v5, vcc_lo
; %bb.2859:
	s_or_b32 exec_lo, exec_lo, s1
	v_lshrrev_b32_e32 v7, 24, v4
	s_delay_alu instid0(VALU_DEP_1)
	v_and_or_b32 v5, 0x80, v7, v5
	global_store_b8 v[2:3], v5, off
.LBB159_2860:
	s_mov_b32 s1, 0
	s_mov_b32 s6, -1
.LBB159_2861:
	s_and_not1_b32 vcc_lo, exec_lo, s1
	s_mov_b32 s1, 0
	s_cbranch_vccnz .LBB159_2868
; %bb.2862:
	v_cmp_gt_i16_e64 s1, s3, 14
	s_delay_alu instid0(VALU_DEP_1)
	s_and_b32 vcc_lo, exec_lo, s1
	s_mov_b32 s1, -1
	s_cbranch_vccz .LBB159_2866
; %bb.2863:
	v_cmp_eq_u16_e64 s0, s3, 15
	s_delay_alu instid0(VALU_DEP_1)
	s_and_b32 vcc_lo, exec_lo, s0
	s_mov_b32 s0, -1
	s_cbranch_vccz .LBB159_2865
; %bb.2864:
	v_bfe_u32 v5, v4, 16, 1
	v_cmp_o_f32_e32 vcc_lo, v4, v4
	s_mov_b32 s0, 0
	s_mov_b32 s6, -1
	s_delay_alu instid0(VALU_DEP_2) | instskip(NEXT) | instid1(VALU_DEP_1)
	v_add3_u32 v5, v4, v5, 0x7fff
	v_lshrrev_b32_e32 v5, 16, v5
	s_delay_alu instid0(VALU_DEP_1)
	v_cndmask_b32_e32 v5, 0x7fc0, v5, vcc_lo
	global_store_b16 v[2:3], v5, off
.LBB159_2865:
	s_mov_b32 s1, 0
.LBB159_2866:
	s_delay_alu instid0(SALU_CYCLE_1)
	s_and_b32 vcc_lo, exec_lo, s1
	s_mov_b32 s1, 0
	s_cbranch_vccz .LBB159_2868
; %bb.2867:
	v_cmp_ne_u16_e64 s0, s3, 11
	s_mov_b32 s1, -1
.LBB159_2868:
	s_delay_alu instid0(VALU_DEP_1)
	s_and_b32 vcc_lo, exec_lo, s0
	s_cbranch_vccnz .LBB159_2925
; %bb.2869:
	s_and_not1_b32 vcc_lo, exec_lo, s1
	s_cbranch_vccnz .LBB159_2871
.LBB159_2870:
	v_cmp_neq_f32_e32 vcc_lo, 0, v4
	s_mov_b32 s6, -1
	v_cndmask_b32_e64 v5, 0, 1, vcc_lo
	global_store_b8 v[2:3], v5, off
.LBB159_2871:
	s_mov_b32 s0, 0
.LBB159_2872:
	s_delay_alu instid0(SALU_CYCLE_1)
	s_and_b32 vcc_lo, exec_lo, s0
	s_cbranch_vccz .LBB159_2911
; %bb.2873:
	v_cmp_lt_i16_e64 s0, s3, 5
	s_delay_alu instid0(VALU_DEP_1)
	s_and_b32 vcc_lo, exec_lo, s0
	s_mov_b32 s0, -1
	s_cbranch_vccnz .LBB159_2894
; %bb.2874:
	v_cmp_lt_i16_e64 s0, s3, 8
	s_delay_alu instid0(VALU_DEP_1)
	s_and_b32 vcc_lo, exec_lo, s0
	s_mov_b32 s0, -1
	s_cbranch_vccnz .LBB159_2884
; %bb.2875:
	v_cmp_lt_i16_e64 s0, s3, 9
	s_delay_alu instid0(VALU_DEP_1)
	s_and_b32 vcc_lo, exec_lo, s0
	s_mov_b32 s0, -1
	s_cbranch_vccnz .LBB159_2881
; %bb.2876:
	v_cmp_gt_i16_e64 s0, s3, 9
	s_delay_alu instid0(VALU_DEP_1)
	s_and_b32 vcc_lo, exec_lo, s0
	s_mov_b32 s0, -1
	s_cbranch_vccz .LBB159_2878
; %bb.2877:
	v_cvt_f64_f32_e32 v[14:15], v4
	v_mov_b32_e32 v16, 0
	s_mov_b32 s0, 0
	s_delay_alu instid0(VALU_DEP_1)
	v_mov_b32_e32 v17, v16
	global_store_b128 v[2:3], v[14:17], off
.LBB159_2878:
	s_and_not1_b32 vcc_lo, exec_lo, s0
	s_cbranch_vccnz .LBB159_2880
; %bb.2879:
	v_mov_b32_e32 v5, 0
	global_store_b64 v[2:3], v[4:5], off
.LBB159_2880:
	s_mov_b32 s0, 0
.LBB159_2881:
	s_delay_alu instid0(SALU_CYCLE_1)
	s_and_not1_b32 vcc_lo, exec_lo, s0
	s_cbranch_vccnz .LBB159_2883
; %bb.2882:
	v_cvt_f16_f32_e32 v5, v4
	s_delay_alu instid0(VALU_DEP_1)
	v_and_b32_e32 v5, 0xffff, v5
	global_store_b32 v[2:3], v5, off
.LBB159_2883:
	s_mov_b32 s0, 0
.LBB159_2884:
	s_delay_alu instid0(SALU_CYCLE_1)
	s_and_not1_b32 vcc_lo, exec_lo, s0
	s_cbranch_vccnz .LBB159_2893
; %bb.2885:
	v_cmp_lt_i16_e64 s0, s3, 6
	s_delay_alu instid0(VALU_DEP_1)
	s_and_b32 vcc_lo, exec_lo, s0
	s_mov_b32 s0, -1
	s_cbranch_vccnz .LBB159_2891
; %bb.2886:
	v_cmp_gt_i16_e64 s0, s3, 6
	s_delay_alu instid0(VALU_DEP_1)
	s_and_b32 vcc_lo, exec_lo, s0
	s_mov_b32 s0, -1
	s_cbranch_vccz .LBB159_2888
; %bb.2887:
	s_waitcnt vmcnt(0)
	v_cvt_f64_f32_e32 v[7:8], v4
	s_mov_b32 s0, 0
	global_store_b64 v[2:3], v[7:8], off
.LBB159_2888:
	s_and_not1_b32 vcc_lo, exec_lo, s0
	s_cbranch_vccnz .LBB159_2890
; %bb.2889:
	global_store_b32 v[2:3], v4, off
.LBB159_2890:
	s_mov_b32 s0, 0
.LBB159_2891:
	s_delay_alu instid0(SALU_CYCLE_1)
	s_and_not1_b32 vcc_lo, exec_lo, s0
	s_cbranch_vccnz .LBB159_2893
; %bb.2892:
	v_cvt_f16_f32_e32 v5, v4
	global_store_b16 v[2:3], v5, off
.LBB159_2893:
	s_mov_b32 s0, 0
.LBB159_2894:
	s_delay_alu instid0(SALU_CYCLE_1)
	s_and_not1_b32 vcc_lo, exec_lo, s0
	s_cbranch_vccnz .LBB159_2910
; %bb.2895:
	v_cmp_lt_i16_e64 s0, s3, 2
	s_delay_alu instid0(VALU_DEP_1)
	s_and_b32 vcc_lo, exec_lo, s0
	s_mov_b32 s0, -1
	s_cbranch_vccnz .LBB159_2905
; %bb.2896:
	v_cmp_lt_i16_e64 s0, s3, 3
	s_delay_alu instid0(VALU_DEP_1)
	s_and_b32 vcc_lo, exec_lo, s0
	s_mov_b32 s0, -1
	s_cbranch_vccnz .LBB159_2902
; %bb.2897:
	v_cmp_gt_i16_e64 s0, s3, 3
	s_delay_alu instid0(VALU_DEP_1)
	s_and_b32 vcc_lo, exec_lo, s0
	s_mov_b32 s0, -1
	s_cbranch_vccz .LBB159_2899
; %bb.2898:
	v_trunc_f32_e32 v5, v4
	s_mov_b32 s0, 0
	s_waitcnt vmcnt(0)
	s_delay_alu instid0(VALU_DEP_1) | instskip(NEXT) | instid1(VALU_DEP_1)
	v_mul_f32_e64 v7, 0x2f800000, |v5|
	v_floor_f32_e32 v7, v7
	s_delay_alu instid0(VALU_DEP_1) | instskip(SKIP_2) | instid1(VALU_DEP_3)
	v_fma_f32 v8, 0xcf800000, v7, |v5|
	v_ashrrev_i32_e32 v5, 31, v5
	v_cvt_u32_f32_e32 v7, v7
	v_cvt_u32_f32_e32 v8, v8
	s_delay_alu instid0(VALU_DEP_2) | instskip(NEXT) | instid1(VALU_DEP_2)
	v_xor_b32_e32 v10, v7, v5
	v_xor_b32_e32 v8, v8, v5
	s_delay_alu instid0(VALU_DEP_1) | instskip(NEXT) | instid1(VALU_DEP_3)
	v_sub_co_u32 v7, vcc_lo, v8, v5
	v_sub_co_ci_u32_e32 v8, vcc_lo, v10, v5, vcc_lo
	global_store_b64 v[2:3], v[7:8], off
.LBB159_2899:
	s_and_not1_b32 vcc_lo, exec_lo, s0
	s_cbranch_vccnz .LBB159_2901
; %bb.2900:
	v_cvt_i32_f32_e32 v5, v4
	global_store_b32 v[2:3], v5, off
.LBB159_2901:
	s_mov_b32 s0, 0
.LBB159_2902:
	s_delay_alu instid0(SALU_CYCLE_1)
	s_and_not1_b32 vcc_lo, exec_lo, s0
	s_cbranch_vccnz .LBB159_2904
; %bb.2903:
	v_cvt_i32_f32_e32 v5, v4
	global_store_b16 v[2:3], v5, off
.LBB159_2904:
	s_mov_b32 s0, 0
.LBB159_2905:
	s_delay_alu instid0(SALU_CYCLE_1)
	s_and_not1_b32 vcc_lo, exec_lo, s0
	s_cbranch_vccnz .LBB159_2910
; %bb.2906:
	v_cmp_gt_i16_e64 s0, s3, 0
	s_delay_alu instid0(VALU_DEP_1)
	s_and_b32 vcc_lo, exec_lo, s0
	s_mov_b32 s0, -1
	s_cbranch_vccz .LBB159_2908
; %bb.2907:
	v_cvt_i32_f32_e32 v5, v4
	s_mov_b32 s0, 0
	global_store_b8 v[2:3], v5, off
.LBB159_2908:
	s_and_not1_b32 vcc_lo, exec_lo, s0
	s_cbranch_vccnz .LBB159_2910
; %bb.2909:
	v_trunc_f32_e32 v4, v4
	s_delay_alu instid0(VALU_DEP_1) | instskip(NEXT) | instid1(VALU_DEP_1)
	v_mul_f32_e64 v5, 0x2f800000, |v4|
	v_floor_f32_e32 v5, v5
	s_delay_alu instid0(VALU_DEP_1) | instskip(SKIP_1) | instid1(VALU_DEP_2)
	v_fma_f32 v5, 0xcf800000, v5, |v4|
	v_ashrrev_i32_e32 v4, 31, v4
	v_cvt_u32_f32_e32 v5, v5
	s_delay_alu instid0(VALU_DEP_1) | instskip(NEXT) | instid1(VALU_DEP_1)
	v_xor_b32_e32 v5, v5, v4
	v_sub_nc_u32_e32 v4, v5, v4
	global_store_b8 v[2:3], v4, off
.LBB159_2910:
	s_mov_b32 s6, -1
.LBB159_2911:
	s_delay_alu instid0(SALU_CYCLE_1)
	s_and_not1_b32 vcc_lo, exec_lo, s6
	s_cbranch_vccnz .LBB159_3049
; %bb.2912:
	v_cvt_f32_ubyte0_e32 v2, v9
	v_cmp_lt_i16_e64 s0, s3, 11
	v_add_co_u32 v1, s1, s4, v1
	s_mov_b32 s6, 0
	s_delay_alu instid0(VALU_DEP_3) | instskip(SKIP_3) | instid1(VALU_DEP_2)
	v_mul_f32_e32 v3, v13, v2
	v_add_co_ci_u32_e64 v2, null, s5, 0, s1
	s_and_b32 vcc_lo, exec_lo, s0
	s_mov_b32 s0, -1
	v_mul_f32_e32 v3, s2, v3
	s_cbranch_vccnz .LBB159_3001
; %bb.2913:
	v_cmp_gt_i16_e64 s0, s3, 25
	s_mov_b32 s7, -1
	s_mov_b32 s1, 0
	s_delay_alu instid0(VALU_DEP_1)
	s_and_b32 vcc_lo, exec_lo, s0
	s_mov_b32 s0, 0
	s_cbranch_vccz .LBB159_2957
; %bb.2914:
	v_cmp_gt_i16_e64 s0, s3, 28
	s_delay_alu instid0(VALU_DEP_1)
	s_and_b32 vcc_lo, exec_lo, s0
	s_cbranch_vccz .LBB159_2919
; %bb.2915:
	v_cmp_gt_i16_e64 s0, s3, 43
	s_delay_alu instid0(VALU_DEP_1)
	s_and_b32 vcc_lo, exec_lo, s0
	;; [unrolled: 5-line block ×3, first 2 shown]
	s_cbranch_vccz .LBB159_2929
; %bb.2917:
	v_cmp_eq_u16_e64 s6, s3, 46
	s_mov_b32 s0, -1
	s_mov_b32 s7, 0
	s_delay_alu instid0(VALU_DEP_1)
	s_and_b32 vcc_lo, exec_lo, s6
	s_mov_b32 s6, 0
	s_cbranch_vccz .LBB159_2930
; %bb.2918:
	v_bfe_u32 v4, v3, 16, 1
	v_cmp_o_f32_e32 vcc_lo, v3, v3
	s_mov_b32 s0, 0
	s_mov_b32 s6, -1
	s_delay_alu instid0(VALU_DEP_2) | instskip(NEXT) | instid1(VALU_DEP_1)
	v_add3_u32 v4, v3, v4, 0x7fff
	v_lshrrev_b32_e32 v4, 16, v4
	s_delay_alu instid0(VALU_DEP_1)
	v_cndmask_b32_e32 v4, 0x7fc0, v4, vcc_lo
	global_store_b32 v[1:2], v4, off
	s_branch .LBB159_2930
.LBB159_2919:
	s_mov_b32 s0, 0
	s_branch .LBB159_2940
.LBB159_2920:
	s_or_saveexec_b32 s11, s11
                                        ; implicit-def: $sgpr12
	s_delay_alu instid0(SALU_CYCLE_1)
	s_xor_b32 exec_lo, exec_lo, s11
	s_cbranch_execz .LBB159_2822
.LBB159_2921:
	v_add_f32_e64 v5, 0x46000000, |v4|
	s_and_not1_b32 s7, s7, exec_lo
	s_mov_b32 s12, 0
	s_delay_alu instid0(VALU_DEP_1) | instskip(NEXT) | instid1(VALU_DEP_1)
	v_and_b32_e32 v5, 0xff, v5
	v_cmp_ne_u32_e32 vcc_lo, 0, v5
	s_and_b32 s13, vcc_lo, exec_lo
	s_delay_alu instid0(SALU_CYCLE_1)
	s_or_b32 s7, s7, s13
	s_or_b32 exec_lo, exec_lo, s11
	v_mov_b32_e32 v7, s12
	s_and_saveexec_b32 s11, s7
	s_cbranch_execnz .LBB159_2823
	s_branch .LBB159_2824
.LBB159_2922:
	s_mov_b32 s0, 0
	s_branch .LBB159_2936
.LBB159_2923:
	s_trap 2
	s_sendmsg_rtn_b32 s0, sendmsg(MSG_RTN_GET_DOORBELL)
	s_mov_b32 ttmp2, m0
	s_waitcnt lgkmcnt(0)
	s_and_b32 s0, s0, 0x3ff
	s_delay_alu instid0(SALU_CYCLE_1) | instskip(NEXT) | instid1(SALU_CYCLE_1)
	s_bitset1_b32 s0, 10
	s_mov_b32 m0, s0
	s_sendmsg sendmsg(MSG_INTERRUPT)
	s_mov_b32 m0, ttmp2
.LBB159_2924:                           ; =>This Inner Loop Header: Depth=1
	s_sethalt 5
	s_branch .LBB159_2924
.LBB159_2925:
	s_cbranch_execnz .LBB159_3098
; %bb.2926:
	s_or_b32 s10, s10, exec_lo
	s_cbranch_execz .LBB159_2870
	s_branch .LBB159_2871
.LBB159_2927:
	s_or_saveexec_b32 s7, s7
                                        ; implicit-def: $sgpr11
	s_delay_alu instid0(SALU_CYCLE_1)
	s_xor_b32 exec_lo, exec_lo, s7
	s_cbranch_execz .LBB159_2835
.LBB159_2928:
	v_add_f32_e64 v5, 0x42800000, |v4|
	s_and_not1_b32 s6, s6, exec_lo
	s_mov_b32 s11, 0
	s_delay_alu instid0(VALU_DEP_1) | instskip(NEXT) | instid1(VALU_DEP_1)
	v_and_b32_e32 v5, 0xff, v5
	v_cmp_ne_u32_e32 vcc_lo, 0, v5
	s_and_b32 s12, vcc_lo, exec_lo
	s_delay_alu instid0(SALU_CYCLE_1)
	s_or_b32 s6, s6, s12
	s_or_b32 exec_lo, exec_lo, s7
	v_mov_b32_e32 v7, s11
	s_and_saveexec_b32 s7, s6
	s_cbranch_execnz .LBB159_2836
	s_branch .LBB159_2837
.LBB159_2929:
	s_mov_b32 s0, 0
.LBB159_2930:
	s_and_b32 vcc_lo, exec_lo, s7
	s_cbranch_vccz .LBB159_2935
; %bb.2931:
	v_cmp_eq_u16_e64 s0, s3, 44
	s_delay_alu instid0(VALU_DEP_1)
	s_and_b32 vcc_lo, exec_lo, s0
	s_mov_b32 s0, -1
	s_cbranch_vccz .LBB159_2935
; %bb.2932:
	v_bfe_u32 v5, v3, 23, 8
	v_mov_b32_e32 v4, 0xff
	s_mov_b32 s6, exec_lo
	s_delay_alu instid0(VALU_DEP_2)
	v_cmpx_ne_u32_e32 0xff, v5
; %bb.2933:
	v_and_b32_e32 v4, 0x400000, v3
	v_and_or_b32 v5, 0x3fffff, v3, v5
	s_delay_alu instid0(VALU_DEP_2) | instskip(NEXT) | instid1(VALU_DEP_2)
	v_cmp_ne_u32_e32 vcc_lo, 0, v4
	v_cmp_ne_u32_e64 s0, 0, v5
	v_lshrrev_b32_e32 v4, 23, v3
	s_delay_alu instid0(VALU_DEP_2) | instskip(NEXT) | instid1(SALU_CYCLE_1)
	s_and_b32 s0, vcc_lo, s0
	v_cndmask_b32_e64 v5, 0, 1, s0
	s_delay_alu instid0(VALU_DEP_1)
	v_add_nc_u32_e32 v4, v4, v5
; %bb.2934:
	s_or_b32 exec_lo, exec_lo, s6
	s_mov_b32 s0, 0
	s_mov_b32 s6, -1
	global_store_b8 v[1:2], v4, off
.LBB159_2935:
	s_mov_b32 s7, 0
.LBB159_2936:
	s_delay_alu instid0(SALU_CYCLE_1)
	s_and_b32 vcc_lo, exec_lo, s7
	s_cbranch_vccz .LBB159_2939
; %bb.2937:
	v_cmp_eq_u16_e64 s0, s3, 29
	s_delay_alu instid0(VALU_DEP_1)
	s_and_b32 vcc_lo, exec_lo, s0
	s_mov_b32 s0, -1
	s_cbranch_vccz .LBB159_2939
; %bb.2938:
	v_trunc_f32_e32 v4, v3
	s_mov_b32 s0, 0
	s_mov_b32 s6, -1
	s_mov_b32 s7, 0
	s_delay_alu instid0(VALU_DEP_1) | instskip(NEXT) | instid1(VALU_DEP_1)
	v_mul_f32_e32 v5, 0x2f800000, v4
	v_floor_f32_e32 v5, v5
	s_delay_alu instid0(VALU_DEP_1) | instskip(SKIP_1) | instid1(VALU_DEP_2)
	v_fmamk_f32 v4, v5, 0xcf800000, v4
	v_cvt_u32_f32_e32 v5, v5
	v_cvt_u32_f32_e32 v4, v4
	global_store_b64 v[1:2], v[4:5], off
	s_branch .LBB159_2940
.LBB159_2939:
	s_mov_b32 s7, 0
.LBB159_2940:
	s_delay_alu instid0(SALU_CYCLE_1)
	s_and_b32 vcc_lo, exec_lo, s7
	s_cbranch_vccz .LBB159_2956
; %bb.2941:
	v_cmp_lt_i16_e64 s6, s3, 27
	s_delay_alu instid0(VALU_DEP_1)
	s_and_b32 vcc_lo, exec_lo, s6
	s_mov_b32 s6, -1
	s_cbranch_vccnz .LBB159_2947
; %bb.2942:
	v_cmp_gt_i16_e64 s6, s3, 27
	s_delay_alu instid0(VALU_DEP_1)
	s_and_b32 vcc_lo, exec_lo, s6
	s_mov_b32 s6, -1
	s_cbranch_vccz .LBB159_2944
; %bb.2943:
	v_cvt_u32_f32_e32 v4, v3
	s_mov_b32 s6, 0
	global_store_b32 v[1:2], v4, off
.LBB159_2944:
	s_and_not1_b32 vcc_lo, exec_lo, s6
	s_cbranch_vccnz .LBB159_2946
; %bb.2945:
	v_cvt_u32_f32_e32 v4, v3
	global_store_b16 v[1:2], v4, off
.LBB159_2946:
	s_mov_b32 s6, 0
.LBB159_2947:
	s_delay_alu instid0(SALU_CYCLE_1)
	s_and_not1_b32 vcc_lo, exec_lo, s6
	s_cbranch_vccnz .LBB159_2955
; %bb.2948:
	v_and_b32_e32 v4, 0x7fffffff, v3
	v_mov_b32_e32 v5, 0x80
	s_mov_b32 s6, exec_lo
	s_delay_alu instid0(VALU_DEP_2)
	v_cmpx_gt_u32_e32 0x43800000, v4
	s_cbranch_execz .LBB159_2954
; %bb.2949:
	v_cmp_lt_u32_e32 vcc_lo, 0x3bffffff, v4
	s_mov_b32 s7, 0
                                        ; implicit-def: $vgpr4
	s_and_saveexec_b32 s11, vcc_lo
	s_delay_alu instid0(SALU_CYCLE_1)
	s_xor_b32 s11, exec_lo, s11
	s_cbranch_execz .LBB159_3095
; %bb.2950:
	v_bfe_u32 v4, v3, 20, 1
	s_mov_b32 s7, exec_lo
	s_delay_alu instid0(VALU_DEP_1) | instskip(NEXT) | instid1(VALU_DEP_1)
	v_add3_u32 v4, v3, v4, 0x487ffff
	v_lshrrev_b32_e32 v4, 20, v4
	s_or_saveexec_b32 s11, s11
                                        ; implicit-def: $sgpr12
	s_delay_alu instid0(SALU_CYCLE_1)
	s_xor_b32 exec_lo, exec_lo, s11
	s_cbranch_execnz .LBB159_3096
.LBB159_2951:
	s_or_b32 exec_lo, exec_lo, s11
	v_mov_b32_e32 v5, s12
	s_and_saveexec_b32 s11, s7
.LBB159_2952:
	v_lshrrev_b32_e32 v5, 24, v3
	s_delay_alu instid0(VALU_DEP_1)
	v_and_or_b32 v5, 0x80, v5, v4
.LBB159_2953:
	s_or_b32 exec_lo, exec_lo, s11
.LBB159_2954:
	s_delay_alu instid0(SALU_CYCLE_1)
	s_or_b32 exec_lo, exec_lo, s6
	global_store_b8 v[1:2], v5, off
.LBB159_2955:
	s_mov_b32 s6, -1
.LBB159_2956:
	s_mov_b32 s7, 0
.LBB159_2957:
	s_delay_alu instid0(SALU_CYCLE_1)
	s_and_b32 vcc_lo, exec_lo, s7
	s_cbranch_vccz .LBB159_2997
; %bb.2958:
	v_cmp_gt_i16_e64 s1, s3, 22
	s_delay_alu instid0(VALU_DEP_1)
	s_and_b32 vcc_lo, exec_lo, s1
	s_mov_b32 s1, -1
	s_cbranch_vccz .LBB159_2990
; %bb.2959:
	v_cmp_lt_i16_e64 s1, s3, 24
	s_delay_alu instid0(VALU_DEP_1)
	s_and_b32 vcc_lo, exec_lo, s1
	s_mov_b32 s1, -1
	s_cbranch_vccnz .LBB159_2979
; %bb.2960:
	v_cmp_gt_i16_e64 s1, s3, 24
	s_delay_alu instid0(VALU_DEP_1)
	s_and_b32 vcc_lo, exec_lo, s1
	s_mov_b32 s1, -1
	s_cbranch_vccz .LBB159_2968
; %bb.2961:
	v_and_b32_e32 v4, 0x7fffffff, v3
	v_mov_b32_e32 v5, 0x80
	s_mov_b32 s1, exec_lo
	s_delay_alu instid0(VALU_DEP_2)
	v_cmpx_gt_u32_e32 0x47800000, v4
	s_cbranch_execz .LBB159_2967
; %bb.2962:
	v_cmp_lt_u32_e32 vcc_lo, 0x37ffffff, v4
	s_mov_b32 s6, 0
                                        ; implicit-def: $vgpr4
	s_and_saveexec_b32 s7, vcc_lo
	s_delay_alu instid0(SALU_CYCLE_1)
	s_xor_b32 s7, exec_lo, s7
	s_cbranch_execz .LBB159_3102
; %bb.2963:
	v_bfe_u32 v4, v3, 21, 1
	s_mov_b32 s6, exec_lo
	s_delay_alu instid0(VALU_DEP_1) | instskip(NEXT) | instid1(VALU_DEP_1)
	v_add3_u32 v4, v3, v4, 0x88fffff
	v_lshrrev_b32_e32 v4, 21, v4
	s_or_saveexec_b32 s7, s7
                                        ; implicit-def: $sgpr11
	s_delay_alu instid0(SALU_CYCLE_1)
	s_xor_b32 exec_lo, exec_lo, s7
	s_cbranch_execnz .LBB159_3103
.LBB159_2964:
	s_or_b32 exec_lo, exec_lo, s7
	v_mov_b32_e32 v5, s11
	s_and_saveexec_b32 s7, s6
.LBB159_2965:
	v_lshrrev_b32_e32 v5, 24, v3
	s_delay_alu instid0(VALU_DEP_1)
	v_and_or_b32 v5, 0x80, v5, v4
.LBB159_2966:
	s_or_b32 exec_lo, exec_lo, s7
.LBB159_2967:
	s_delay_alu instid0(SALU_CYCLE_1)
	s_or_b32 exec_lo, exec_lo, s1
	s_mov_b32 s1, 0
	global_store_b8 v[1:2], v5, off
.LBB159_2968:
	s_and_b32 vcc_lo, exec_lo, s1
	s_cbranch_vccz .LBB159_2978
; %bb.2969:
	v_and_b32_e32 v5, 0x7fffffff, v3
	s_mov_b32 s1, exec_lo
                                        ; implicit-def: $vgpr4
	s_delay_alu instid0(VALU_DEP_1)
	v_cmpx_gt_u32_e32 0x43f00000, v5
	s_xor_b32 s1, exec_lo, s1
	s_cbranch_execz .LBB159_2975
; %bb.2970:
	s_mov_b32 s6, exec_lo
                                        ; implicit-def: $vgpr4
	v_cmpx_lt_u32_e32 0x3c7fffff, v5
	s_xor_b32 s6, exec_lo, s6
; %bb.2971:
	v_bfe_u32 v4, v3, 20, 1
	s_delay_alu instid0(VALU_DEP_1) | instskip(NEXT) | instid1(VALU_DEP_1)
	v_add3_u32 v4, v3, v4, 0x407ffff
	v_and_b32_e32 v5, 0xff00000, v4
	v_lshrrev_b32_e32 v4, 20, v4
	s_delay_alu instid0(VALU_DEP_2) | instskip(NEXT) | instid1(VALU_DEP_2)
	v_cmp_ne_u32_e32 vcc_lo, 0x7f00000, v5
	v_cndmask_b32_e32 v4, 0x7e, v4, vcc_lo
; %bb.2972:
	s_and_not1_saveexec_b32 s6, s6
; %bb.2973:
	v_add_f32_e64 v4, 0x46800000, |v3|
; %bb.2974:
	s_or_b32 exec_lo, exec_lo, s6
                                        ; implicit-def: $vgpr5
.LBB159_2975:
	s_and_not1_saveexec_b32 s1, s1
; %bb.2976:
	v_mov_b32_e32 v4, 0x7f
	v_cmp_lt_u32_e32 vcc_lo, 0x7f800000, v5
	s_delay_alu instid0(VALU_DEP_2)
	v_cndmask_b32_e32 v4, 0x7e, v4, vcc_lo
; %bb.2977:
	s_or_b32 exec_lo, exec_lo, s1
	v_lshrrev_b32_e32 v5, 24, v3
	s_delay_alu instid0(VALU_DEP_1)
	v_and_or_b32 v4, 0x80, v5, v4
	global_store_b8 v[1:2], v4, off
.LBB159_2978:
	s_mov_b32 s1, 0
.LBB159_2979:
	s_delay_alu instid0(SALU_CYCLE_1)
	s_and_not1_b32 vcc_lo, exec_lo, s1
	s_cbranch_vccnz .LBB159_2989
; %bb.2980:
	v_and_b32_e32 v5, 0x7fffffff, v3
	s_mov_b32 s1, exec_lo
                                        ; implicit-def: $vgpr4
	s_delay_alu instid0(VALU_DEP_1)
	v_cmpx_gt_u32_e32 0x47800000, v5
	s_xor_b32 s1, exec_lo, s1
	s_cbranch_execz .LBB159_2986
; %bb.2981:
	s_mov_b32 s6, exec_lo
                                        ; implicit-def: $vgpr4
	v_cmpx_lt_u32_e32 0x387fffff, v5
	s_xor_b32 s6, exec_lo, s6
; %bb.2982:
	v_bfe_u32 v4, v3, 21, 1
	s_delay_alu instid0(VALU_DEP_1) | instskip(NEXT) | instid1(VALU_DEP_1)
	v_add3_u32 v4, v3, v4, 0x80fffff
	v_lshrrev_b32_e32 v4, 21, v4
; %bb.2983:
	s_and_not1_saveexec_b32 s6, s6
; %bb.2984:
	v_add_f32_e64 v4, 0x43000000, |v3|
; %bb.2985:
	s_or_b32 exec_lo, exec_lo, s6
                                        ; implicit-def: $vgpr5
.LBB159_2986:
	s_and_not1_saveexec_b32 s1, s1
; %bb.2987:
	v_mov_b32_e32 v4, 0x7f
	v_cmp_lt_u32_e32 vcc_lo, 0x7f800000, v5
	s_delay_alu instid0(VALU_DEP_2)
	v_cndmask_b32_e32 v4, 0x7c, v4, vcc_lo
; %bb.2988:
	s_or_b32 exec_lo, exec_lo, s1
	v_lshrrev_b32_e32 v5, 24, v3
	s_delay_alu instid0(VALU_DEP_1)
	v_and_or_b32 v4, 0x80, v5, v4
	global_store_b8 v[1:2], v4, off
.LBB159_2989:
	s_mov_b32 s1, 0
	s_mov_b32 s6, -1
.LBB159_2990:
	s_and_not1_b32 vcc_lo, exec_lo, s1
	s_mov_b32 s1, 0
	s_cbranch_vccnz .LBB159_2997
; %bb.2991:
	v_cmp_gt_i16_e64 s1, s3, 14
	s_delay_alu instid0(VALU_DEP_1)
	s_and_b32 vcc_lo, exec_lo, s1
	s_mov_b32 s1, -1
	s_cbranch_vccz .LBB159_2995
; %bb.2992:
	v_cmp_eq_u16_e64 s0, s3, 15
	s_delay_alu instid0(VALU_DEP_1)
	s_and_b32 vcc_lo, exec_lo, s0
	s_mov_b32 s0, -1
	s_cbranch_vccz .LBB159_2994
; %bb.2993:
	v_bfe_u32 v4, v3, 16, 1
	v_cmp_o_f32_e32 vcc_lo, v3, v3
	s_mov_b32 s0, 0
	s_mov_b32 s6, -1
	s_delay_alu instid0(VALU_DEP_2) | instskip(NEXT) | instid1(VALU_DEP_1)
	v_add3_u32 v4, v3, v4, 0x7fff
	v_lshrrev_b32_e32 v4, 16, v4
	s_delay_alu instid0(VALU_DEP_1)
	v_cndmask_b32_e32 v4, 0x7fc0, v4, vcc_lo
	global_store_b16 v[1:2], v4, off
.LBB159_2994:
	s_mov_b32 s1, 0
.LBB159_2995:
	s_delay_alu instid0(SALU_CYCLE_1)
	s_and_b32 vcc_lo, exec_lo, s1
	s_mov_b32 s1, 0
	s_cbranch_vccz .LBB159_2997
; %bb.2996:
	v_cmp_ne_u16_e64 s0, s3, 11
	s_mov_b32 s1, -1
.LBB159_2997:
	s_delay_alu instid0(VALU_DEP_1)
	s_and_b32 vcc_lo, exec_lo, s0
	s_cbranch_vccnz .LBB159_3100
; %bb.2998:
	s_and_not1_b32 vcc_lo, exec_lo, s1
	s_cbranch_vccnz .LBB159_3000
.LBB159_2999:
	v_cmp_neq_f32_e32 vcc_lo, 0, v3
	s_mov_b32 s6, -1
	v_cndmask_b32_e64 v4, 0, 1, vcc_lo
	global_store_b8 v[1:2], v4, off
.LBB159_3000:
	s_mov_b32 s0, 0
.LBB159_3001:
	s_delay_alu instid0(SALU_CYCLE_1)
	s_and_b32 vcc_lo, exec_lo, s0
	s_cbranch_vccz .LBB159_3040
; %bb.3002:
	v_cmp_lt_i16_e64 s0, s3, 5
	s_delay_alu instid0(VALU_DEP_1)
	s_and_b32 vcc_lo, exec_lo, s0
	s_mov_b32 s0, -1
	s_cbranch_vccnz .LBB159_3023
; %bb.3003:
	v_cmp_lt_i16_e64 s0, s3, 8
	s_delay_alu instid0(VALU_DEP_1)
	s_and_b32 vcc_lo, exec_lo, s0
	s_mov_b32 s0, -1
	s_cbranch_vccnz .LBB159_3013
	;; [unrolled: 6-line block ×3, first 2 shown]
; %bb.3005:
	v_cmp_gt_i16_e64 s0, s3, 9
	s_delay_alu instid0(VALU_DEP_1)
	s_and_b32 vcc_lo, exec_lo, s0
	s_mov_b32 s0, -1
	s_cbranch_vccz .LBB159_3007
; %bb.3006:
	s_waitcnt vmcnt(0)
	v_cvt_f64_f32_e32 v[7:8], v3
	v_mov_b32_e32 v9, 0
	s_mov_b32 s0, 0
	s_delay_alu instid0(VALU_DEP_1)
	v_mov_b32_e32 v10, v9
	global_store_b128 v[1:2], v[7:10], off
.LBB159_3007:
	s_and_not1_b32 vcc_lo, exec_lo, s0
	s_cbranch_vccnz .LBB159_3009
; %bb.3008:
	v_mov_b32_e32 v4, 0
	global_store_b64 v[1:2], v[3:4], off
.LBB159_3009:
	s_mov_b32 s0, 0
.LBB159_3010:
	s_delay_alu instid0(SALU_CYCLE_1)
	s_and_not1_b32 vcc_lo, exec_lo, s0
	s_cbranch_vccnz .LBB159_3012
; %bb.3011:
	v_cvt_f16_f32_e32 v4, v3
	s_delay_alu instid0(VALU_DEP_1)
	v_and_b32_e32 v4, 0xffff, v4
	global_store_b32 v[1:2], v4, off
.LBB159_3012:
	s_mov_b32 s0, 0
.LBB159_3013:
	s_delay_alu instid0(SALU_CYCLE_1)
	s_and_not1_b32 vcc_lo, exec_lo, s0
	s_cbranch_vccnz .LBB159_3022
; %bb.3014:
	v_cmp_lt_i16_e64 s0, s3, 6
	s_delay_alu instid0(VALU_DEP_1)
	s_and_b32 vcc_lo, exec_lo, s0
	s_mov_b32 s0, -1
	s_cbranch_vccnz .LBB159_3020
; %bb.3015:
	v_cmp_gt_i16_e64 s0, s3, 6
	s_delay_alu instid0(VALU_DEP_1)
	s_and_b32 vcc_lo, exec_lo, s0
	s_mov_b32 s0, -1
	s_cbranch_vccz .LBB159_3017
; %bb.3016:
	v_cvt_f64_f32_e32 v[4:5], v3
	s_mov_b32 s0, 0
	global_store_b64 v[1:2], v[4:5], off
.LBB159_3017:
	s_and_not1_b32 vcc_lo, exec_lo, s0
	s_cbranch_vccnz .LBB159_3019
; %bb.3018:
	global_store_b32 v[1:2], v3, off
.LBB159_3019:
	s_mov_b32 s0, 0
.LBB159_3020:
	s_delay_alu instid0(SALU_CYCLE_1)
	s_and_not1_b32 vcc_lo, exec_lo, s0
	s_cbranch_vccnz .LBB159_3022
; %bb.3021:
	v_cvt_f16_f32_e32 v4, v3
	global_store_b16 v[1:2], v4, off
.LBB159_3022:
	s_mov_b32 s0, 0
.LBB159_3023:
	s_delay_alu instid0(SALU_CYCLE_1)
	s_and_not1_b32 vcc_lo, exec_lo, s0
	s_cbranch_vccnz .LBB159_3039
; %bb.3024:
	v_cmp_lt_i16_e64 s0, s3, 2
	s_delay_alu instid0(VALU_DEP_1)
	s_and_b32 vcc_lo, exec_lo, s0
	s_mov_b32 s0, -1
	s_cbranch_vccnz .LBB159_3034
; %bb.3025:
	v_cmp_lt_i16_e64 s0, s3, 3
	s_delay_alu instid0(VALU_DEP_1)
	s_and_b32 vcc_lo, exec_lo, s0
	s_mov_b32 s0, -1
	s_cbranch_vccnz .LBB159_3031
; %bb.3026:
	v_cmp_gt_i16_e64 s0, s3, 3
	s_delay_alu instid0(VALU_DEP_1)
	s_and_b32 vcc_lo, exec_lo, s0
	s_mov_b32 s0, -1
	s_cbranch_vccz .LBB159_3028
; %bb.3027:
	v_trunc_f32_e32 v4, v3
	s_mov_b32 s0, 0
	s_delay_alu instid0(VALU_DEP_1) | instskip(SKIP_1) | instid1(VALU_DEP_2)
	v_mul_f32_e64 v5, 0x2f800000, |v4|
	v_ashrrev_i32_e32 v8, 31, v4
	v_floor_f32_e32 v5, v5
	s_waitcnt vmcnt(0)
	s_delay_alu instid0(VALU_DEP_1) | instskip(SKIP_1) | instid1(VALU_DEP_2)
	v_fma_f32 v7, 0xcf800000, v5, |v4|
	v_cvt_u32_f32_e32 v5, v5
	v_cvt_u32_f32_e32 v4, v7
	s_delay_alu instid0(VALU_DEP_2) | instskip(NEXT) | instid1(VALU_DEP_2)
	v_xor_b32_e32 v5, v5, v8
	v_xor_b32_e32 v4, v4, v8
	s_delay_alu instid0(VALU_DEP_1) | instskip(NEXT) | instid1(VALU_DEP_3)
	v_sub_co_u32 v4, vcc_lo, v4, v8
	v_sub_co_ci_u32_e32 v5, vcc_lo, v5, v8, vcc_lo
	global_store_b64 v[1:2], v[4:5], off
.LBB159_3028:
	s_and_not1_b32 vcc_lo, exec_lo, s0
	s_cbranch_vccnz .LBB159_3030
; %bb.3029:
	v_cvt_i32_f32_e32 v4, v3
	global_store_b32 v[1:2], v4, off
.LBB159_3030:
	s_mov_b32 s0, 0
.LBB159_3031:
	s_delay_alu instid0(SALU_CYCLE_1)
	s_and_not1_b32 vcc_lo, exec_lo, s0
	s_cbranch_vccnz .LBB159_3033
; %bb.3032:
	v_cvt_i32_f32_e32 v4, v3
	global_store_b16 v[1:2], v4, off
.LBB159_3033:
	s_mov_b32 s0, 0
.LBB159_3034:
	s_delay_alu instid0(SALU_CYCLE_1)
	s_and_not1_b32 vcc_lo, exec_lo, s0
	s_cbranch_vccnz .LBB159_3039
; %bb.3035:
	v_cmp_gt_i16_e64 s0, s3, 0
	s_delay_alu instid0(VALU_DEP_1)
	s_and_b32 vcc_lo, exec_lo, s0
	s_mov_b32 s0, -1
	s_cbranch_vccz .LBB159_3037
; %bb.3036:
	v_cvt_i32_f32_e32 v4, v3
	s_mov_b32 s0, 0
	global_store_b8 v[1:2], v4, off
.LBB159_3037:
	s_and_not1_b32 vcc_lo, exec_lo, s0
	s_cbranch_vccnz .LBB159_3039
; %bb.3038:
	v_trunc_f32_e32 v3, v3
	s_delay_alu instid0(VALU_DEP_1) | instskip(NEXT) | instid1(VALU_DEP_1)
	v_mul_f32_e64 v4, 0x2f800000, |v3|
	v_floor_f32_e32 v4, v4
	s_delay_alu instid0(VALU_DEP_1) | instskip(SKIP_1) | instid1(VALU_DEP_2)
	v_fma_f32 v4, 0xcf800000, v4, |v3|
	v_ashrrev_i32_e32 v3, 31, v3
	v_cvt_u32_f32_e32 v4, v4
	s_delay_alu instid0(VALU_DEP_1) | instskip(NEXT) | instid1(VALU_DEP_1)
	v_xor_b32_e32 v4, v4, v3
	v_sub_nc_u32_e32 v3, v4, v3
	global_store_b8 v[1:2], v3, off
.LBB159_3039:
	s_mov_b32 s6, -1
.LBB159_3040:
	s_delay_alu instid0(SALU_CYCLE_1)
	s_and_not1_b32 vcc_lo, exec_lo, s6
	s_cbranch_vccnz .LBB159_3049
; %bb.3041:
	s_waitcnt vmcnt(0)
	v_cvt_f32_ubyte0_e32 v1, v6
	v_cmp_lt_i16_e64 s0, s3, 11
	v_add_co_u32 v0, s4, s4, v0
	s_mov_b32 s1, 0
	s_delay_alu instid0(VALU_DEP_3) | instskip(SKIP_3) | instid1(VALU_DEP_2)
	v_mul_f32_e32 v2, v12, v1
	v_add_co_ci_u32_e64 v1, null, s5, 0, s4
	s_and_b32 vcc_lo, exec_lo, s0
	s_mov_b32 s0, -1
	v_mul_f32_e32 v2, s2, v2
	s_cbranch_vccnz .LBB159_3050
; %bb.3042:
	v_cmp_gt_i16_e64 s0, s3, 25
	s_mov_b32 s2, -1
	s_delay_alu instid0(VALU_DEP_1)
	s_and_b32 vcc_lo, exec_lo, s0
	s_mov_b32 s0, 0
	s_cbranch_vccz .LBB159_3131
; %bb.3043:
	v_cmp_gt_i16_e64 s0, s3, 28
	s_delay_alu instid0(VALU_DEP_1)
	s_and_b32 vcc_lo, exec_lo, s0
	s_cbranch_vccz .LBB159_3094
; %bb.3044:
	v_cmp_gt_i16_e64 s0, s3, 43
	s_delay_alu instid0(VALU_DEP_1)
	s_and_b32 vcc_lo, exec_lo, s0
	;; [unrolled: 5-line block ×3, first 2 shown]
	s_cbranch_vccz .LBB159_3104
; %bb.3046:
	v_cmp_eq_u16_e64 s0, s3, 46
	s_delay_alu instid0(VALU_DEP_1)
	s_and_b32 vcc_lo, exec_lo, s0
	s_mov_b32 s0, -1
	s_cbranch_vccz .LBB159_3048
; %bb.3047:
	v_bfe_u32 v3, v2, 16, 1
	v_cmp_o_f32_e32 vcc_lo, v2, v2
	s_mov_b32 s0, 0
	s_delay_alu instid0(VALU_DEP_2) | instskip(NEXT) | instid1(VALU_DEP_1)
	v_add3_u32 v3, v2, v3, 0x7fff
	v_lshrrev_b32_e32 v3, 16, v3
	s_delay_alu instid0(VALU_DEP_1)
	v_cndmask_b32_e32 v3, 0x7fc0, v3, vcc_lo
	global_store_b32 v[0:1], v3, off
.LBB159_3048:
	s_mov_b32 s2, 0
	s_branch .LBB159_3105
.LBB159_3049:
	s_mov_b32 s0, 0
	s_mov_b32 s1, 0
                                        ; implicit-def: $vgpr0_vgpr1
                                        ; implicit-def: $sgpr3
                                        ; implicit-def: $vgpr2
.LBB159_3050:
	s_and_b32 s2, s0, exec_lo
	s_and_not1_b32 s0, s8, exec_lo
	s_and_b32 s4, s10, exec_lo
	s_and_b32 s28, s1, exec_lo
	s_or_b32 s8, s0, s4
.LBB159_3051:
	s_or_b32 exec_lo, exec_lo, s9
	s_and_saveexec_b32 s0, s8
	s_cbranch_execz .LBB159_3054
; %bb.3052:
	; divergent unreachable
	s_or_b32 exec_lo, exec_lo, s0
	s_and_saveexec_b32 s0, s28
	s_delay_alu instid0(SALU_CYCLE_1)
	s_xor_b32 s0, exec_lo, s0
	s_cbranch_execnz .LBB159_3055
.LBB159_3053:
	s_or_b32 exec_lo, exec_lo, s0
	s_and_saveexec_b32 s0, s2
	s_cbranch_execnz .LBB159_3056
	s_branch .LBB159_3093
.LBB159_3054:
	s_or_b32 exec_lo, exec_lo, s0
	s_and_saveexec_b32 s0, s28
	s_delay_alu instid0(SALU_CYCLE_1)
	s_xor_b32 s0, exec_lo, s0
	s_cbranch_execz .LBB159_3053
.LBB159_3055:
	v_cmp_neq_f32_e32 vcc_lo, 0, v2
	s_waitcnt vmcnt(0)
	v_cndmask_b32_e64 v3, 0, 1, vcc_lo
	global_store_b8 v[0:1], v3, off
	s_or_b32 exec_lo, exec_lo, s0
	s_and_saveexec_b32 s0, s2
	s_cbranch_execz .LBB159_3093
.LBB159_3056:
	v_cmp_lt_i16_e64 s0, s3, 5
	s_delay_alu instid0(VALU_DEP_1)
	s_and_b32 vcc_lo, exec_lo, s0
	s_mov_b32 s0, -1
	s_cbranch_vccnz .LBB159_3077
; %bb.3057:
	v_cmp_lt_i16_e64 s0, s3, 8
	s_delay_alu instid0(VALU_DEP_1)
	s_and_b32 vcc_lo, exec_lo, s0
	s_mov_b32 s0, -1
	s_cbranch_vccnz .LBB159_3067
; %bb.3058:
	;; [unrolled: 6-line block ×3, first 2 shown]
	v_cmp_gt_i16_e64 s0, s3, 9
	s_delay_alu instid0(VALU_DEP_1)
	s_and_b32 vcc_lo, exec_lo, s0
	s_mov_b32 s0, -1
	s_cbranch_vccz .LBB159_3061
; %bb.3060:
	s_waitcnt vmcnt(0)
	v_cvt_f64_f32_e32 v[3:4], v2
	v_mov_b32_e32 v5, 0
	s_mov_b32 s0, 0
	s_delay_alu instid0(VALU_DEP_1)
	v_mov_b32_e32 v6, v5
	global_store_b128 v[0:1], v[3:6], off
.LBB159_3061:
	s_and_not1_b32 vcc_lo, exec_lo, s0
	s_cbranch_vccnz .LBB159_3063
; %bb.3062:
	s_waitcnt vmcnt(0)
	v_mov_b32_e32 v3, 0
	global_store_b64 v[0:1], v[2:3], off
.LBB159_3063:
	s_mov_b32 s0, 0
.LBB159_3064:
	s_delay_alu instid0(SALU_CYCLE_1)
	s_and_not1_b32 vcc_lo, exec_lo, s0
	s_cbranch_vccnz .LBB159_3066
; %bb.3065:
	s_waitcnt vmcnt(0)
	v_cvt_f16_f32_e32 v3, v2
	s_delay_alu instid0(VALU_DEP_1)
	v_and_b32_e32 v3, 0xffff, v3
	global_store_b32 v[0:1], v3, off
.LBB159_3066:
	s_mov_b32 s0, 0
.LBB159_3067:
	s_delay_alu instid0(SALU_CYCLE_1)
	s_and_not1_b32 vcc_lo, exec_lo, s0
	s_cbranch_vccnz .LBB159_3076
; %bb.3068:
	v_cmp_lt_i16_e64 s0, s3, 6
	s_delay_alu instid0(VALU_DEP_1)
	s_and_b32 vcc_lo, exec_lo, s0
	s_mov_b32 s0, -1
	s_cbranch_vccnz .LBB159_3074
; %bb.3069:
	v_cmp_gt_i16_e64 s0, s3, 6
	s_delay_alu instid0(VALU_DEP_1)
	s_and_b32 vcc_lo, exec_lo, s0
	s_mov_b32 s0, -1
	s_cbranch_vccz .LBB159_3071
; %bb.3070:
	s_waitcnt vmcnt(0)
	v_cvt_f64_f32_e32 v[3:4], v2
	s_mov_b32 s0, 0
	global_store_b64 v[0:1], v[3:4], off
.LBB159_3071:
	s_and_not1_b32 vcc_lo, exec_lo, s0
	s_cbranch_vccnz .LBB159_3073
; %bb.3072:
	global_store_b32 v[0:1], v2, off
.LBB159_3073:
	s_mov_b32 s0, 0
.LBB159_3074:
	s_delay_alu instid0(SALU_CYCLE_1)
	s_and_not1_b32 vcc_lo, exec_lo, s0
	s_cbranch_vccnz .LBB159_3076
; %bb.3075:
	s_waitcnt vmcnt(0)
	v_cvt_f16_f32_e32 v3, v2
	global_store_b16 v[0:1], v3, off
.LBB159_3076:
	s_mov_b32 s0, 0
.LBB159_3077:
	s_delay_alu instid0(SALU_CYCLE_1)
	s_and_not1_b32 vcc_lo, exec_lo, s0
	s_cbranch_vccnz .LBB159_3093
; %bb.3078:
	v_cmp_lt_i16_e64 s0, s3, 2
	s_delay_alu instid0(VALU_DEP_1)
	s_and_b32 vcc_lo, exec_lo, s0
	s_mov_b32 s0, -1
	s_cbranch_vccnz .LBB159_3088
; %bb.3079:
	v_cmp_lt_i16_e64 s0, s3, 3
	s_delay_alu instid0(VALU_DEP_1)
	s_and_b32 vcc_lo, exec_lo, s0
	s_mov_b32 s0, -1
	s_cbranch_vccnz .LBB159_3085
; %bb.3080:
	v_cmp_gt_i16_e64 s0, s3, 3
	s_delay_alu instid0(VALU_DEP_1)
	s_and_b32 vcc_lo, exec_lo, s0
	s_mov_b32 s0, -1
	s_cbranch_vccz .LBB159_3082
; %bb.3081:
	s_waitcnt vmcnt(0)
	v_trunc_f32_e32 v3, v2
	s_mov_b32 s0, 0
	s_delay_alu instid0(VALU_DEP_1) | instskip(SKIP_1) | instid1(VALU_DEP_2)
	v_mul_f32_e64 v4, 0x2f800000, |v3|
	v_ashrrev_i32_e32 v6, 31, v3
	v_floor_f32_e32 v4, v4
	s_delay_alu instid0(VALU_DEP_1) | instskip(SKIP_1) | instid1(VALU_DEP_2)
	v_fma_f32 v5, 0xcf800000, v4, |v3|
	v_cvt_u32_f32_e32 v4, v4
	v_cvt_u32_f32_e32 v3, v5
	s_delay_alu instid0(VALU_DEP_2) | instskip(NEXT) | instid1(VALU_DEP_2)
	v_xor_b32_e32 v4, v4, v6
	v_xor_b32_e32 v3, v3, v6
	s_delay_alu instid0(VALU_DEP_1) | instskip(NEXT) | instid1(VALU_DEP_3)
	v_sub_co_u32 v3, vcc_lo, v3, v6
	v_sub_co_ci_u32_e32 v4, vcc_lo, v4, v6, vcc_lo
	global_store_b64 v[0:1], v[3:4], off
.LBB159_3082:
	s_and_not1_b32 vcc_lo, exec_lo, s0
	s_cbranch_vccnz .LBB159_3084
; %bb.3083:
	s_waitcnt vmcnt(0)
	v_cvt_i32_f32_e32 v3, v2
	global_store_b32 v[0:1], v3, off
.LBB159_3084:
	s_mov_b32 s0, 0
.LBB159_3085:
	s_delay_alu instid0(SALU_CYCLE_1)
	s_and_not1_b32 vcc_lo, exec_lo, s0
	s_cbranch_vccnz .LBB159_3087
; %bb.3086:
	s_waitcnt vmcnt(0)
	v_cvt_i32_f32_e32 v3, v2
	global_store_b16 v[0:1], v3, off
.LBB159_3087:
	s_mov_b32 s0, 0
.LBB159_3088:
	s_delay_alu instid0(SALU_CYCLE_1)
	s_and_not1_b32 vcc_lo, exec_lo, s0
	s_cbranch_vccnz .LBB159_3093
; %bb.3089:
	v_cmp_gt_i16_e64 s0, s3, 0
	s_delay_alu instid0(VALU_DEP_1)
	s_and_b32 vcc_lo, exec_lo, s0
	s_mov_b32 s0, -1
	s_cbranch_vccz .LBB159_3091
; %bb.3090:
	s_waitcnt vmcnt(0)
	v_cvt_i32_f32_e32 v3, v2
	s_mov_b32 s0, 0
	global_store_b8 v[0:1], v3, off
.LBB159_3091:
	s_and_not1_b32 vcc_lo, exec_lo, s0
	s_cbranch_vccnz .LBB159_3093
; %bb.3092:
	v_trunc_f32_e32 v2, v2
	s_waitcnt vmcnt(0)
	s_delay_alu instid0(VALU_DEP_1) | instskip(NEXT) | instid1(VALU_DEP_1)
	v_mul_f32_e64 v3, 0x2f800000, |v2|
	v_floor_f32_e32 v3, v3
	s_delay_alu instid0(VALU_DEP_1) | instskip(SKIP_1) | instid1(VALU_DEP_2)
	v_fma_f32 v3, 0xcf800000, v3, |v2|
	v_ashrrev_i32_e32 v2, 31, v2
	v_cvt_u32_f32_e32 v3, v3
	s_delay_alu instid0(VALU_DEP_1) | instskip(NEXT) | instid1(VALU_DEP_1)
	v_xor_b32_e32 v3, v3, v2
	v_sub_nc_u32_e32 v2, v3, v2
	global_store_b8 v[0:1], v2, off
	s_nop 0
	s_sendmsg sendmsg(MSG_DEALLOC_VGPRS)
	s_endpgm
.LBB159_3093:
	s_nop 0
	s_sendmsg sendmsg(MSG_DEALLOC_VGPRS)
	s_endpgm
.LBB159_3094:
	s_mov_b32 s0, 0
	s_branch .LBB159_3115
.LBB159_3095:
	s_or_saveexec_b32 s11, s11
                                        ; implicit-def: $sgpr12
	s_delay_alu instid0(SALU_CYCLE_1)
	s_xor_b32 exec_lo, exec_lo, s11
	s_cbranch_execz .LBB159_2951
.LBB159_3096:
	v_add_f32_e64 v4, 0x46000000, |v3|
	s_and_not1_b32 s7, s7, exec_lo
	s_mov_b32 s12, 0
	s_delay_alu instid0(VALU_DEP_1) | instskip(NEXT) | instid1(VALU_DEP_1)
	v_and_b32_e32 v4, 0xff, v4
	v_cmp_ne_u32_e32 vcc_lo, 0, v4
	s_and_b32 s13, vcc_lo, exec_lo
	s_delay_alu instid0(SALU_CYCLE_1)
	s_or_b32 s7, s7, s13
	s_or_b32 exec_lo, exec_lo, s11
	v_mov_b32_e32 v5, s12
	s_and_saveexec_b32 s11, s7
	s_cbranch_execnz .LBB159_2952
	s_branch .LBB159_2953
.LBB159_3097:
	s_mov_b32 s0, 0
	s_branch .LBB159_3111
.LBB159_3098:
	s_trap 2
	s_sendmsg_rtn_b32 s0, sendmsg(MSG_RTN_GET_DOORBELL)
	s_mov_b32 ttmp2, m0
	s_waitcnt lgkmcnt(0)
	s_and_b32 s0, s0, 0x3ff
	s_delay_alu instid0(SALU_CYCLE_1) | instskip(NEXT) | instid1(SALU_CYCLE_1)
	s_bitset1_b32 s0, 10
	s_mov_b32 m0, s0
	s_sendmsg sendmsg(MSG_INTERRUPT)
	s_mov_b32 m0, ttmp2
.LBB159_3099:                           ; =>This Inner Loop Header: Depth=1
	s_sethalt 5
	s_branch .LBB159_3099
.LBB159_3100:
	s_cbranch_execnz .LBB159_3175
; %bb.3101:
	s_or_b32 s10, s10, exec_lo
	s_cbranch_execz .LBB159_2999
	s_branch .LBB159_3000
.LBB159_3102:
	s_or_saveexec_b32 s7, s7
                                        ; implicit-def: $sgpr11
	s_delay_alu instid0(SALU_CYCLE_1)
	s_xor_b32 exec_lo, exec_lo, s7
	s_cbranch_execz .LBB159_2964
.LBB159_3103:
	v_add_f32_e64 v4, 0x42800000, |v3|
	s_and_not1_b32 s6, s6, exec_lo
	s_mov_b32 s11, 0
	s_delay_alu instid0(VALU_DEP_1) | instskip(NEXT) | instid1(VALU_DEP_1)
	v_and_b32_e32 v4, 0xff, v4
	v_cmp_ne_u32_e32 vcc_lo, 0, v4
	s_and_b32 s12, vcc_lo, exec_lo
	s_delay_alu instid0(SALU_CYCLE_1)
	s_or_b32 s6, s6, s12
	s_or_b32 exec_lo, exec_lo, s7
	v_mov_b32_e32 v5, s11
	s_and_saveexec_b32 s7, s6
	s_cbranch_execnz .LBB159_2965
	s_branch .LBB159_2966
.LBB159_3104:
	s_mov_b32 s0, 0
.LBB159_3105:
	s_and_b32 vcc_lo, exec_lo, s2
	s_cbranch_vccz .LBB159_3110
; %bb.3106:
	v_cmp_eq_u16_e64 s0, s3, 44
	s_delay_alu instid0(VALU_DEP_1)
	s_and_b32 vcc_lo, exec_lo, s0
	s_mov_b32 s0, -1
	s_cbranch_vccz .LBB159_3110
; %bb.3107:
	v_bfe_u32 v4, v2, 23, 8
	v_mov_b32_e32 v3, 0xff
	s_mov_b32 s2, exec_lo
	s_delay_alu instid0(VALU_DEP_2)
	v_cmpx_ne_u32_e32 0xff, v4
; %bb.3108:
	v_and_b32_e32 v3, 0x400000, v2
	v_and_or_b32 v4, 0x3fffff, v2, v4
	s_delay_alu instid0(VALU_DEP_2) | instskip(NEXT) | instid1(VALU_DEP_2)
	v_cmp_ne_u32_e32 vcc_lo, 0, v3
	v_cmp_ne_u32_e64 s0, 0, v4
	v_lshrrev_b32_e32 v3, 23, v2
	s_delay_alu instid0(VALU_DEP_2) | instskip(NEXT) | instid1(SALU_CYCLE_1)
	s_and_b32 s0, vcc_lo, s0
	v_cndmask_b32_e64 v4, 0, 1, s0
	s_delay_alu instid0(VALU_DEP_1)
	v_add_nc_u32_e32 v3, v3, v4
; %bb.3109:
	s_or_b32 exec_lo, exec_lo, s2
	s_mov_b32 s0, 0
	global_store_b8 v[0:1], v3, off
.LBB159_3110:
	s_mov_b32 s2, 0
.LBB159_3111:
	s_delay_alu instid0(SALU_CYCLE_1)
	s_and_b32 vcc_lo, exec_lo, s2
	s_cbranch_vccz .LBB159_3114
; %bb.3112:
	v_cmp_eq_u16_e64 s0, s3, 29
	s_delay_alu instid0(VALU_DEP_1)
	s_and_b32 vcc_lo, exec_lo, s0
	s_mov_b32 s0, -1
	s_cbranch_vccz .LBB159_3114
; %bb.3113:
	v_trunc_f32_e32 v3, v2
	s_mov_b32 s0, 0
	s_delay_alu instid0(VALU_DEP_1) | instskip(NEXT) | instid1(VALU_DEP_1)
	v_mul_f32_e32 v4, 0x2f800000, v3
	v_floor_f32_e32 v4, v4
	s_delay_alu instid0(VALU_DEP_1) | instskip(SKIP_1) | instid1(VALU_DEP_2)
	v_fmamk_f32 v3, v4, 0xcf800000, v3
	v_cvt_u32_f32_e32 v4, v4
	v_cvt_u32_f32_e32 v3, v3
	global_store_b64 v[0:1], v[3:4], off
.LBB159_3114:
	s_mov_b32 s2, 0
.LBB159_3115:
	s_delay_alu instid0(SALU_CYCLE_1)
	s_and_b32 vcc_lo, exec_lo, s2
	s_cbranch_vccz .LBB159_3130
; %bb.3116:
	v_cmp_lt_i16_e64 s2, s3, 27
	s_delay_alu instid0(VALU_DEP_1)
	s_and_b32 vcc_lo, exec_lo, s2
	s_mov_b32 s2, -1
	s_cbranch_vccnz .LBB159_3122
; %bb.3117:
	v_cmp_gt_i16_e64 s2, s3, 27
	s_delay_alu instid0(VALU_DEP_1)
	s_and_b32 vcc_lo, exec_lo, s2
	s_mov_b32 s2, -1
	s_cbranch_vccz .LBB159_3119
; %bb.3118:
	v_cvt_u32_f32_e32 v3, v2
	s_mov_b32 s2, 0
	global_store_b32 v[0:1], v3, off
.LBB159_3119:
	s_and_not1_b32 vcc_lo, exec_lo, s2
	s_cbranch_vccnz .LBB159_3121
; %bb.3120:
	v_cvt_u32_f32_e32 v3, v2
	global_store_b16 v[0:1], v3, off
.LBB159_3121:
	s_mov_b32 s2, 0
.LBB159_3122:
	s_delay_alu instid0(SALU_CYCLE_1)
	s_and_not1_b32 vcc_lo, exec_lo, s2
	s_cbranch_vccnz .LBB159_3130
; %bb.3123:
	v_and_b32_e32 v3, 0x7fffffff, v2
	v_mov_b32_e32 v4, 0x80
	s_mov_b32 s2, exec_lo
	s_delay_alu instid0(VALU_DEP_2)
	v_cmpx_gt_u32_e32 0x43800000, v3
	s_cbranch_execz .LBB159_3129
; %bb.3124:
	v_cmp_lt_u32_e32 vcc_lo, 0x3bffffff, v3
	s_mov_b32 s4, 0
                                        ; implicit-def: $vgpr3
	s_and_saveexec_b32 s5, vcc_lo
	s_delay_alu instid0(SALU_CYCLE_1)
	s_xor_b32 s5, exec_lo, s5
	s_cbranch_execz .LBB159_3173
; %bb.3125:
	v_bfe_u32 v3, v2, 20, 1
	s_mov_b32 s4, exec_lo
	s_delay_alu instid0(VALU_DEP_1) | instskip(NEXT) | instid1(VALU_DEP_1)
	v_add3_u32 v3, v2, v3, 0x487ffff
	v_lshrrev_b32_e32 v3, 20, v3
	s_or_saveexec_b32 s5, s5
                                        ; implicit-def: $sgpr6
	s_delay_alu instid0(SALU_CYCLE_1)
	s_xor_b32 exec_lo, exec_lo, s5
	s_cbranch_execnz .LBB159_3174
.LBB159_3126:
	s_or_b32 exec_lo, exec_lo, s5
	v_mov_b32_e32 v4, s6
	s_and_saveexec_b32 s5, s4
.LBB159_3127:
	v_lshrrev_b32_e32 v4, 24, v2
	s_delay_alu instid0(VALU_DEP_1)
	v_and_or_b32 v4, 0x80, v4, v3
.LBB159_3128:
	s_or_b32 exec_lo, exec_lo, s5
.LBB159_3129:
	s_delay_alu instid0(SALU_CYCLE_1)
	s_or_b32 exec_lo, exec_lo, s2
	global_store_b8 v[0:1], v4, off
.LBB159_3130:
	s_mov_b32 s2, 0
.LBB159_3131:
	s_delay_alu instid0(SALU_CYCLE_1)
	s_and_b32 vcc_lo, exec_lo, s2
	s_cbranch_vccz .LBB159_3171
; %bb.3132:
	v_cmp_gt_i16_e64 s1, s3, 22
	s_delay_alu instid0(VALU_DEP_1)
	s_and_b32 vcc_lo, exec_lo, s1
	s_mov_b32 s1, -1
	s_cbranch_vccz .LBB159_3164
; %bb.3133:
	v_cmp_lt_i16_e64 s1, s3, 24
	s_delay_alu instid0(VALU_DEP_1)
	s_and_b32 vcc_lo, exec_lo, s1
	s_mov_b32 s1, -1
	s_cbranch_vccnz .LBB159_3153
; %bb.3134:
	v_cmp_gt_i16_e64 s1, s3, 24
	s_delay_alu instid0(VALU_DEP_1)
	s_and_b32 vcc_lo, exec_lo, s1
	s_mov_b32 s1, -1
	s_cbranch_vccz .LBB159_3142
; %bb.3135:
	v_and_b32_e32 v3, 0x7fffffff, v2
	v_mov_b32_e32 v4, 0x80
	s_mov_b32 s1, exec_lo
	s_delay_alu instid0(VALU_DEP_2)
	v_cmpx_gt_u32_e32 0x47800000, v3
	s_cbranch_execz .LBB159_3141
; %bb.3136:
	v_cmp_lt_u32_e32 vcc_lo, 0x37ffffff, v3
	s_mov_b32 s2, 0
                                        ; implicit-def: $vgpr3
	s_and_saveexec_b32 s4, vcc_lo
	s_delay_alu instid0(SALU_CYCLE_1)
	s_xor_b32 s4, exec_lo, s4
	s_cbranch_execz .LBB159_3179
; %bb.3137:
	v_bfe_u32 v3, v2, 21, 1
	s_mov_b32 s2, exec_lo
	s_delay_alu instid0(VALU_DEP_1) | instskip(NEXT) | instid1(VALU_DEP_1)
	v_add3_u32 v3, v2, v3, 0x88fffff
	v_lshrrev_b32_e32 v3, 21, v3
	s_or_saveexec_b32 s4, s4
                                        ; implicit-def: $sgpr5
	s_delay_alu instid0(SALU_CYCLE_1)
	s_xor_b32 exec_lo, exec_lo, s4
	s_cbranch_execnz .LBB159_3180
.LBB159_3138:
	s_or_b32 exec_lo, exec_lo, s4
	v_mov_b32_e32 v4, s5
	s_and_saveexec_b32 s4, s2
.LBB159_3139:
	v_lshrrev_b32_e32 v4, 24, v2
	s_delay_alu instid0(VALU_DEP_1)
	v_and_or_b32 v4, 0x80, v4, v3
.LBB159_3140:
	s_or_b32 exec_lo, exec_lo, s4
.LBB159_3141:
	s_delay_alu instid0(SALU_CYCLE_1)
	s_or_b32 exec_lo, exec_lo, s1
	s_mov_b32 s1, 0
	global_store_b8 v[0:1], v4, off
.LBB159_3142:
	s_and_b32 vcc_lo, exec_lo, s1
	s_cbranch_vccz .LBB159_3152
; %bb.3143:
	v_and_b32_e32 v4, 0x7fffffff, v2
	s_mov_b32 s1, exec_lo
                                        ; implicit-def: $vgpr3
	s_delay_alu instid0(VALU_DEP_1)
	v_cmpx_gt_u32_e32 0x43f00000, v4
	s_xor_b32 s1, exec_lo, s1
	s_cbranch_execz .LBB159_3149
; %bb.3144:
	s_mov_b32 s2, exec_lo
                                        ; implicit-def: $vgpr3
	v_cmpx_lt_u32_e32 0x3c7fffff, v4
	s_xor_b32 s2, exec_lo, s2
; %bb.3145:
	v_bfe_u32 v3, v2, 20, 1
	s_delay_alu instid0(VALU_DEP_1) | instskip(NEXT) | instid1(VALU_DEP_1)
	v_add3_u32 v3, v2, v3, 0x407ffff
	v_and_b32_e32 v4, 0xff00000, v3
	v_lshrrev_b32_e32 v3, 20, v3
	s_delay_alu instid0(VALU_DEP_2) | instskip(NEXT) | instid1(VALU_DEP_2)
	v_cmp_ne_u32_e32 vcc_lo, 0x7f00000, v4
	v_cndmask_b32_e32 v3, 0x7e, v3, vcc_lo
; %bb.3146:
	s_and_not1_saveexec_b32 s2, s2
; %bb.3147:
	v_add_f32_e64 v3, 0x46800000, |v2|
; %bb.3148:
	s_or_b32 exec_lo, exec_lo, s2
                                        ; implicit-def: $vgpr4
.LBB159_3149:
	s_and_not1_saveexec_b32 s1, s1
; %bb.3150:
	v_mov_b32_e32 v3, 0x7f
	v_cmp_lt_u32_e32 vcc_lo, 0x7f800000, v4
	s_delay_alu instid0(VALU_DEP_2)
	v_cndmask_b32_e32 v3, 0x7e, v3, vcc_lo
; %bb.3151:
	s_or_b32 exec_lo, exec_lo, s1
	v_lshrrev_b32_e32 v4, 24, v2
	s_delay_alu instid0(VALU_DEP_1)
	v_and_or_b32 v3, 0x80, v4, v3
	global_store_b8 v[0:1], v3, off
.LBB159_3152:
	s_mov_b32 s1, 0
.LBB159_3153:
	s_delay_alu instid0(SALU_CYCLE_1)
	s_and_not1_b32 vcc_lo, exec_lo, s1
	s_cbranch_vccnz .LBB159_3163
; %bb.3154:
	v_and_b32_e32 v4, 0x7fffffff, v2
	s_mov_b32 s1, exec_lo
                                        ; implicit-def: $vgpr3
	s_delay_alu instid0(VALU_DEP_1)
	v_cmpx_gt_u32_e32 0x47800000, v4
	s_xor_b32 s1, exec_lo, s1
	s_cbranch_execz .LBB159_3160
; %bb.3155:
	s_mov_b32 s2, exec_lo
                                        ; implicit-def: $vgpr3
	v_cmpx_lt_u32_e32 0x387fffff, v4
	s_xor_b32 s2, exec_lo, s2
; %bb.3156:
	v_bfe_u32 v3, v2, 21, 1
	s_delay_alu instid0(VALU_DEP_1) | instskip(NEXT) | instid1(VALU_DEP_1)
	v_add3_u32 v3, v2, v3, 0x80fffff
	v_lshrrev_b32_e32 v3, 21, v3
; %bb.3157:
	s_and_not1_saveexec_b32 s2, s2
; %bb.3158:
	v_add_f32_e64 v3, 0x43000000, |v2|
; %bb.3159:
	s_or_b32 exec_lo, exec_lo, s2
                                        ; implicit-def: $vgpr4
.LBB159_3160:
	s_and_not1_saveexec_b32 s1, s1
; %bb.3161:
	v_mov_b32_e32 v3, 0x7f
	v_cmp_lt_u32_e32 vcc_lo, 0x7f800000, v4
	s_delay_alu instid0(VALU_DEP_2)
	v_cndmask_b32_e32 v3, 0x7c, v3, vcc_lo
; %bb.3162:
	s_or_b32 exec_lo, exec_lo, s1
	v_lshrrev_b32_e32 v4, 24, v2
	s_delay_alu instid0(VALU_DEP_1)
	v_and_or_b32 v3, 0x80, v4, v3
	global_store_b8 v[0:1], v3, off
.LBB159_3163:
	s_mov_b32 s1, 0
.LBB159_3164:
	s_delay_alu instid0(SALU_CYCLE_1)
	s_and_not1_b32 vcc_lo, exec_lo, s1
	s_mov_b32 s1, 0
	s_cbranch_vccnz .LBB159_3171
; %bb.3165:
	v_cmp_gt_i16_e64 s1, s3, 14
	s_delay_alu instid0(VALU_DEP_1)
	s_and_b32 vcc_lo, exec_lo, s1
	s_mov_b32 s1, -1
	s_cbranch_vccz .LBB159_3169
; %bb.3166:
	v_cmp_eq_u16_e64 s0, s3, 15
	s_delay_alu instid0(VALU_DEP_1)
	s_and_b32 vcc_lo, exec_lo, s0
	s_mov_b32 s0, -1
	s_cbranch_vccz .LBB159_3168
; %bb.3167:
	v_bfe_u32 v3, v2, 16, 1
	v_cmp_o_f32_e32 vcc_lo, v2, v2
	s_mov_b32 s0, 0
	s_delay_alu instid0(VALU_DEP_2) | instskip(NEXT) | instid1(VALU_DEP_1)
	v_add3_u32 v3, v2, v3, 0x7fff
	v_lshrrev_b32_e32 v3, 16, v3
	s_delay_alu instid0(VALU_DEP_1)
	v_cndmask_b32_e32 v3, 0x7fc0, v3, vcc_lo
	global_store_b16 v[0:1], v3, off
.LBB159_3168:
	s_mov_b32 s1, 0
.LBB159_3169:
	s_delay_alu instid0(SALU_CYCLE_1)
	s_and_b32 vcc_lo, exec_lo, s1
	s_mov_b32 s1, 0
	s_cbranch_vccz .LBB159_3171
; %bb.3170:
	v_cmp_ne_u16_e64 s0, s3, 11
	s_mov_b32 s1, -1
.LBB159_3171:
	s_delay_alu instid0(VALU_DEP_1)
	s_and_b32 vcc_lo, exec_lo, s0
	s_cbranch_vccnz .LBB159_3177
.LBB159_3172:
	s_mov_b32 s0, 0
	s_branch .LBB159_3050
.LBB159_3173:
	s_or_saveexec_b32 s5, s5
                                        ; implicit-def: $sgpr6
	s_delay_alu instid0(SALU_CYCLE_1)
	s_xor_b32 exec_lo, exec_lo, s5
	s_cbranch_execz .LBB159_3126
.LBB159_3174:
	v_add_f32_e64 v3, 0x46000000, |v2|
	s_and_not1_b32 s4, s4, exec_lo
	s_mov_b32 s6, 0
	s_delay_alu instid0(VALU_DEP_1) | instskip(NEXT) | instid1(VALU_DEP_1)
	v_and_b32_e32 v3, 0xff, v3
	v_cmp_ne_u32_e32 vcc_lo, 0, v3
	s_and_b32 s7, vcc_lo, exec_lo
	s_delay_alu instid0(SALU_CYCLE_1)
	s_or_b32 s4, s4, s7
	s_or_b32 exec_lo, exec_lo, s5
	v_mov_b32_e32 v4, s6
	s_and_saveexec_b32 s5, s4
	s_cbranch_execnz .LBB159_3127
	s_branch .LBB159_3128
.LBB159_3175:
	s_trap 2
	s_sendmsg_rtn_b32 s0, sendmsg(MSG_RTN_GET_DOORBELL)
	s_mov_b32 ttmp2, m0
	s_waitcnt lgkmcnt(0)
	s_and_b32 s0, s0, 0x3ff
	s_delay_alu instid0(SALU_CYCLE_1) | instskip(NEXT) | instid1(SALU_CYCLE_1)
	s_bitset1_b32 s0, 10
	s_mov_b32 m0, s0
	s_sendmsg sendmsg(MSG_INTERRUPT)
	s_mov_b32 m0, ttmp2
.LBB159_3176:                           ; =>This Inner Loop Header: Depth=1
	s_sethalt 5
	s_branch .LBB159_3176
.LBB159_3177:
	s_cbranch_execnz .LBB159_3181
; %bb.3178:
	s_mov_b32 s1, 0
	s_or_b32 s10, s10, exec_lo
	s_branch .LBB159_3172
.LBB159_3179:
	s_or_saveexec_b32 s4, s4
                                        ; implicit-def: $sgpr5
	s_delay_alu instid0(SALU_CYCLE_1)
	s_xor_b32 exec_lo, exec_lo, s4
	s_cbranch_execz .LBB159_3138
.LBB159_3180:
	v_add_f32_e64 v3, 0x42800000, |v2|
	s_and_not1_b32 s2, s2, exec_lo
	s_mov_b32 s5, 0
	s_delay_alu instid0(VALU_DEP_1) | instskip(NEXT) | instid1(VALU_DEP_1)
	v_and_b32_e32 v3, 0xff, v3
	v_cmp_ne_u32_e32 vcc_lo, 0, v3
	s_and_b32 s6, vcc_lo, exec_lo
	s_delay_alu instid0(SALU_CYCLE_1)
	s_or_b32 s2, s2, s6
	s_or_b32 exec_lo, exec_lo, s4
	v_mov_b32_e32 v4, s5
	s_and_saveexec_b32 s4, s2
	s_cbranch_execnz .LBB159_3139
	s_branch .LBB159_3140
.LBB159_3181:
	s_trap 2
	s_sendmsg_rtn_b32 s0, sendmsg(MSG_RTN_GET_DOORBELL)
	s_mov_b32 ttmp2, m0
	s_waitcnt lgkmcnt(0)
	s_and_b32 s0, s0, 0x3ff
	s_delay_alu instid0(SALU_CYCLE_1) | instskip(NEXT) | instid1(SALU_CYCLE_1)
	s_bitset1_b32 s0, 10
	s_mov_b32 m0, s0
	s_sendmsg sendmsg(MSG_INTERRUPT)
	s_mov_b32 m0, ttmp2
.LBB159_3182:                           ; =>This Inner Loop Header: Depth=1
	s_sethalt 5
	s_branch .LBB159_3182
	.section	.rodata,"a",@progbits
	.p2align	6, 0x0
	.amdhsa_kernel _ZN2at6native32elementwise_kernel_manual_unrollILi128ELi4EZNS0_15gpu_kernel_implIZNS0_12_GLOBAL__N_119masked_scale_kernelIhffEEvRNS_6TensorERKS5_S8_T1_EUlfhE_EEvRNS_18TensorIteratorBaseERKT_EUlibE0_EEviS9_
		.amdhsa_group_segment_fixed_size 0
		.amdhsa_private_segment_fixed_size 0
		.amdhsa_kernarg_size 432
		.amdhsa_user_sgpr_count 15
		.amdhsa_user_sgpr_dispatch_ptr 0
		.amdhsa_user_sgpr_queue_ptr 0
		.amdhsa_user_sgpr_kernarg_segment_ptr 1
		.amdhsa_user_sgpr_dispatch_id 0
		.amdhsa_user_sgpr_private_segment_size 0
		.amdhsa_wavefront_size32 1
		.amdhsa_uses_dynamic_stack 0
		.amdhsa_enable_private_segment 0
		.amdhsa_system_sgpr_workgroup_id_x 1
		.amdhsa_system_sgpr_workgroup_id_y 0
		.amdhsa_system_sgpr_workgroup_id_z 0
		.amdhsa_system_sgpr_workgroup_info 0
		.amdhsa_system_vgpr_workitem_id 0
		.amdhsa_next_free_vgpr 22
		.amdhsa_next_free_sgpr 62
		.amdhsa_reserve_vcc 1
		.amdhsa_float_round_mode_32 0
		.amdhsa_float_round_mode_16_64 0
		.amdhsa_float_denorm_mode_32 3
		.amdhsa_float_denorm_mode_16_64 3
		.amdhsa_dx10_clamp 1
		.amdhsa_ieee_mode 1
		.amdhsa_fp16_overflow 0
		.amdhsa_workgroup_processor_mode 1
		.amdhsa_memory_ordered 1
		.amdhsa_forward_progress 0
		.amdhsa_shared_vgpr_count 0
		.amdhsa_exception_fp_ieee_invalid_op 0
		.amdhsa_exception_fp_denorm_src 0
		.amdhsa_exception_fp_ieee_div_zero 0
		.amdhsa_exception_fp_ieee_overflow 0
		.amdhsa_exception_fp_ieee_underflow 0
		.amdhsa_exception_fp_ieee_inexact 0
		.amdhsa_exception_int_div_zero 0
	.end_amdhsa_kernel
	.section	.text._ZN2at6native32elementwise_kernel_manual_unrollILi128ELi4EZNS0_15gpu_kernel_implIZNS0_12_GLOBAL__N_119masked_scale_kernelIhffEEvRNS_6TensorERKS5_S8_T1_EUlfhE_EEvRNS_18TensorIteratorBaseERKT_EUlibE0_EEviS9_,"axG",@progbits,_ZN2at6native32elementwise_kernel_manual_unrollILi128ELi4EZNS0_15gpu_kernel_implIZNS0_12_GLOBAL__N_119masked_scale_kernelIhffEEvRNS_6TensorERKS5_S8_T1_EUlfhE_EEvRNS_18TensorIteratorBaseERKT_EUlibE0_EEviS9_,comdat
.Lfunc_end159:
	.size	_ZN2at6native32elementwise_kernel_manual_unrollILi128ELi4EZNS0_15gpu_kernel_implIZNS0_12_GLOBAL__N_119masked_scale_kernelIhffEEvRNS_6TensorERKS5_S8_T1_EUlfhE_EEvRNS_18TensorIteratorBaseERKT_EUlibE0_EEviS9_, .Lfunc_end159-_ZN2at6native32elementwise_kernel_manual_unrollILi128ELi4EZNS0_15gpu_kernel_implIZNS0_12_GLOBAL__N_119masked_scale_kernelIhffEEvRNS_6TensorERKS5_S8_T1_EUlfhE_EEvRNS_18TensorIteratorBaseERKT_EUlibE0_EEviS9_
                                        ; -- End function
	.section	.AMDGPU.csdata,"",@progbits
; Kernel info:
; codeLenInByte = 62500
; NumSgprs: 64
; NumVgprs: 22
; ScratchSize: 0
; MemoryBound: 1
; FloatMode: 240
; IeeeMode: 1
; LDSByteSize: 0 bytes/workgroup (compile time only)
; SGPRBlocks: 7
; VGPRBlocks: 2
; NumSGPRsForWavesPerEU: 64
; NumVGPRsForWavesPerEU: 22
; Occupancy: 16
; WaveLimiterHint : 1
; COMPUTE_PGM_RSRC2:SCRATCH_EN: 0
; COMPUTE_PGM_RSRC2:USER_SGPR: 15
; COMPUTE_PGM_RSRC2:TRAP_HANDLER: 0
; COMPUTE_PGM_RSRC2:TGID_X_EN: 1
; COMPUTE_PGM_RSRC2:TGID_Y_EN: 0
; COMPUTE_PGM_RSRC2:TGID_Z_EN: 0
; COMPUTE_PGM_RSRC2:TIDIG_COMP_CNT: 0
	.section	.text._ZN2at6native29vectorized_elementwise_kernelILi16EZNS0_12_GLOBAL__N_119masked_scale_kernelIhN3c104HalfEfEEvRNS_6TensorERKS6_S9_T1_EUlS5_hE_St5arrayIPcLm3EEEEviT0_SA_,"axG",@progbits,_ZN2at6native29vectorized_elementwise_kernelILi16EZNS0_12_GLOBAL__N_119masked_scale_kernelIhN3c104HalfEfEEvRNS_6TensorERKS6_S9_T1_EUlS5_hE_St5arrayIPcLm3EEEEviT0_SA_,comdat
	.globl	_ZN2at6native29vectorized_elementwise_kernelILi16EZNS0_12_GLOBAL__N_119masked_scale_kernelIhN3c104HalfEfEEvRNS_6TensorERKS6_S9_T1_EUlS5_hE_St5arrayIPcLm3EEEEviT0_SA_ ; -- Begin function _ZN2at6native29vectorized_elementwise_kernelILi16EZNS0_12_GLOBAL__N_119masked_scale_kernelIhN3c104HalfEfEEvRNS_6TensorERKS6_S9_T1_EUlS5_hE_St5arrayIPcLm3EEEEviT0_SA_
	.p2align	8
	.type	_ZN2at6native29vectorized_elementwise_kernelILi16EZNS0_12_GLOBAL__N_119masked_scale_kernelIhN3c104HalfEfEEvRNS_6TensorERKS6_S9_T1_EUlS5_hE_St5arrayIPcLm3EEEEviT0_SA_,@function
_ZN2at6native29vectorized_elementwise_kernelILi16EZNS0_12_GLOBAL__N_119masked_scale_kernelIhN3c104HalfEfEEvRNS_6TensorERKS6_S9_T1_EUlS5_hE_St5arrayIPcLm3EEEEviT0_SA_: ; @_ZN2at6native29vectorized_elementwise_kernelILi16EZNS0_12_GLOBAL__N_119masked_scale_kernelIhN3c104HalfEfEEvRNS_6TensorERKS6_S9_T1_EUlS5_hE_St5arrayIPcLm3EEEEviT0_SA_
; %bb.0:
	s_clause 0x2
	s_load_b64 s[2:3], s[0:1], 0x0
	s_load_b128 s[4:7], s[0:1], 0x8
	s_load_b64 s[10:11], s[0:1], 0x18
	s_lshl_b32 s8, s15, 11
	s_mov_b32 s0, -1
	s_waitcnt lgkmcnt(0)
	s_sub_i32 s1, s2, s8
	s_delay_alu instid0(SALU_CYCLE_1)
	s_cmpk_gt_i32 s1, 0x7ff
	s_cbranch_scc0 .LBB160_2
; %bb.1:
	s_ashr_i32 s9, s8, 31
	v_lshlrev_b32_e32 v7, 4, v0
	s_lshl_b64 s[12:13], s[8:9], 1
	s_mov_b32 s0, 0
	s_add_u32 s14, s6, s12
	s_addc_u32 s15, s7, s13
	global_load_b128 v[1:4], v7, s[14:15]
	s_add_u32 s14, s10, s8
	s_addc_u32 s15, s11, s9
	s_add_u32 s12, s4, s12
	s_addc_u32 s13, s5, s13
	s_waitcnt vmcnt(0)
	v_cvt_f32_f16_e32 v9, v2
	v_lshrrev_b32_e32 v2, 16, v2
	v_cvt_f32_f16_e32 v8, v1
	v_lshrrev_b32_e32 v1, 16, v1
	v_cvt_f32_f16_e32 v10, v3
	v_cvt_f32_f16_e32 v11, v4
	;; [unrolled: 1-line block ×3, first 2 shown]
	v_lshlrev_b32_e32 v5, 3, v0
	v_lshrrev_b32_e32 v4, 16, v4
	v_lshrrev_b32_e32 v3, 16, v3
	v_cvt_f32_f16_e32 v1, v1
	global_load_b64 v[5:6], v5, s[14:15]
	v_cvt_f32_f16_e32 v4, v4
	v_cvt_f32_f16_e32 v3, v3
	s_waitcnt vmcnt(0)
	v_cvt_f32_ubyte0_e32 v12, v5
	v_cvt_f32_ubyte2_e32 v13, v5
	v_cvt_f32_ubyte0_e32 v15, v6
	v_cvt_f32_ubyte2_e32 v16, v6
	v_cvt_f32_ubyte3_e32 v14, v5
	v_cvt_f32_ubyte1_e32 v5, v5
	v_cvt_f32_ubyte3_e32 v17, v6
	v_cvt_f32_ubyte1_e32 v6, v6
	v_dual_mul_f32 v9, v9, v13 :: v_dual_mul_f32 v8, v8, v12
	v_dual_mul_f32 v11, v11, v16 :: v_dual_mul_f32 v10, v10, v15
	s_delay_alu instid0(VALU_DEP_3) | instskip(SKIP_1) | instid1(VALU_DEP_3)
	v_dual_mul_f32 v5, v1, v5 :: v_dual_mul_f32 v6, v3, v6
	v_dual_mul_f32 v12, v2, v14 :: v_dual_mul_f32 v13, v4, v17
	v_fma_mixlo_f16 v4, v11, s3, 0
	s_delay_alu instid0(VALU_DEP_4) | instskip(SKIP_2) | instid1(VALU_DEP_4)
	v_fma_mixlo_f16 v3, v10, s3, 0
	v_fma_mixlo_f16 v2, v9, s3, 0
	;; [unrolled: 1-line block ×3, first 2 shown]
	v_fma_mixhi_f16 v4, v13, s3, 0
	s_delay_alu instid0(VALU_DEP_4) | instskip(NEXT) | instid1(VALU_DEP_4)
	v_fma_mixhi_f16 v3, v6, s3, 0
	v_fma_mixhi_f16 v2, v12, s3, 0
	s_delay_alu instid0(VALU_DEP_4)
	v_fma_mixhi_f16 v1, v5, s3, 0
	global_store_b128 v7, v[1:4], s[12:13]
.LBB160_2:
	s_and_not1_b32 vcc_lo, exec_lo, s0
	s_cbranch_vccnz .LBB160_26
; %bb.3:
	v_cmp_gt_i32_e32 vcc_lo, s1, v0
	v_dual_mov_b32 v3, 0 :: v_dual_mov_b32 v6, 0
	v_or_b32_e32 v1, s8, v0
	v_or_b32_e32 v4, 0x100, v0
	v_dual_mov_b32 v7, 0 :: v_dual_mov_b32 v2, v0
	s_and_saveexec_b32 s2, vcc_lo
	s_cbranch_execz .LBB160_5
; %bb.4:
	v_mov_b32_e32 v2, 0
	s_delay_alu instid0(VALU_DEP_1) | instskip(SKIP_1) | instid1(VALU_DEP_2)
	v_lshlrev_b64 v[5:6], 1, v[1:2]
	v_or_b32_e32 v2, 0x100, v0
	v_add_co_u32 v5, s0, s6, v5
	s_delay_alu instid0(VALU_DEP_1)
	v_add_co_ci_u32_e64 v6, s0, s7, v6, s0
	global_load_u8 v7, v1, s[10:11]
	global_load_u16 v5, v[5:6], off
	s_waitcnt vmcnt(1)
	v_cvt_f32_ubyte0_e32 v7, v7
	s_waitcnt vmcnt(0)
	v_cvt_f32_f16_e32 v6, v5
.LBB160_5:
	s_or_b32 exec_lo, exec_lo, s2
	v_mov_b32_e32 v9, 0
	s_mov_b32 s2, exec_lo
	v_cmpx_gt_i32_e64 s1, v2
	s_cbranch_execz .LBB160_7
; %bb.6:
	v_dual_mov_b32 v9, 0 :: v_dual_add_nc_u32 v8, s8, v2
	v_add_nc_u32_e32 v2, 0x100, v2
	s_delay_alu instid0(VALU_DEP_2) | instskip(NEXT) | instid1(VALU_DEP_1)
	v_lshlrev_b64 v[9:10], 1, v[8:9]
	v_add_co_u32 v9, s0, s6, v9
	s_delay_alu instid0(VALU_DEP_1)
	v_add_co_ci_u32_e64 v10, s0, s7, v10, s0
	global_load_u8 v3, v8, s[10:11]
	global_load_u16 v5, v[9:10], off
	s_waitcnt vmcnt(1)
	v_cvt_f32_ubyte0_e32 v9, v3
	s_waitcnt vmcnt(0)
	v_cvt_f32_f16_e32 v3, v5
.LBB160_7:
	s_or_b32 exec_lo, exec_lo, s2
	v_dual_mov_b32 v5, 0 :: v_dual_mov_b32 v10, 0
	v_mov_b32_e32 v11, 0
	s_mov_b32 s2, exec_lo
	v_cmpx_gt_i32_e64 s1, v2
	s_cbranch_execz .LBB160_9
; %bb.8:
	v_dual_mov_b32 v11, 0 :: v_dual_add_nc_u32 v10, s8, v2
	v_add_nc_u32_e32 v2, 0x100, v2
	s_delay_alu instid0(VALU_DEP_2) | instskip(NEXT) | instid1(VALU_DEP_1)
	v_lshlrev_b64 v[11:12], 1, v[10:11]
	v_add_co_u32 v11, s0, s6, v11
	s_delay_alu instid0(VALU_DEP_1)
	v_add_co_ci_u32_e64 v12, s0, s7, v12, s0
	global_load_u8 v8, v10, s[10:11]
	global_load_u16 v10, v[11:12], off
	s_waitcnt vmcnt(1)
	v_cvt_f32_ubyte0_e32 v11, v8
	s_waitcnt vmcnt(0)
	v_cvt_f32_f16_e32 v10, v10
.LBB160_9:
	s_or_b32 exec_lo, exec_lo, s2
	v_mov_b32_e32 v13, 0
	s_mov_b32 s2, exec_lo
	v_cmpx_gt_i32_e64 s1, v2
	s_cbranch_execz .LBB160_11
; %bb.10:
	v_dual_mov_b32 v13, 0 :: v_dual_add_nc_u32 v12, s8, v2
	v_add_nc_u32_e32 v2, 0x100, v2
	s_delay_alu instid0(VALU_DEP_2) | instskip(NEXT) | instid1(VALU_DEP_1)
	v_lshlrev_b64 v[13:14], 1, v[12:13]
	v_add_co_u32 v13, s0, s6, v13
	s_delay_alu instid0(VALU_DEP_1)
	v_add_co_ci_u32_e64 v14, s0, s7, v14, s0
	global_load_u8 v5, v12, s[10:11]
	global_load_u16 v8, v[13:14], off
	s_waitcnt vmcnt(1)
	v_cvt_f32_ubyte0_e32 v13, v5
	s_waitcnt vmcnt(0)
	v_cvt_f32_f16_e32 v5, v8
.LBB160_11:
	s_or_b32 exec_lo, exec_lo, s2
	v_dual_mov_b32 v8, 0 :: v_dual_mov_b32 v15, 0
	v_mov_b32_e32 v14, 0
	s_mov_b32 s2, exec_lo
	v_cmpx_gt_i32_e64 s1, v2
	s_cbranch_execz .LBB160_13
; %bb.12:
	v_dual_mov_b32 v15, 0 :: v_dual_add_nc_u32 v14, s8, v2
	v_add_nc_u32_e32 v2, 0x100, v2
	s_delay_alu instid0(VALU_DEP_2) | instskip(NEXT) | instid1(VALU_DEP_1)
	v_lshlrev_b64 v[15:16], 1, v[14:15]
	v_add_co_u32 v15, s0, s6, v15
	s_delay_alu instid0(VALU_DEP_1)
	v_add_co_ci_u32_e64 v16, s0, s7, v16, s0
	global_load_u8 v12, v14, s[10:11]
	global_load_u16 v14, v[15:16], off
	s_waitcnt vmcnt(1)
	v_cvt_f32_ubyte0_e32 v15, v12
	s_waitcnt vmcnt(0)
	v_cvt_f32_f16_e32 v14, v14
.LBB160_13:
	s_or_b32 exec_lo, exec_lo, s2
	v_mov_b32_e32 v16, 0
	s_mov_b32 s2, exec_lo
	v_cmpx_gt_i32_e64 s1, v2
	s_cbranch_execz .LBB160_15
; %bb.14:
	v_dual_mov_b32 v17, 0 :: v_dual_add_nc_u32 v16, s8, v2
	v_add_nc_u32_e32 v2, 0x100, v2
	s_delay_alu instid0(VALU_DEP_2) | instskip(NEXT) | instid1(VALU_DEP_1)
	v_lshlrev_b64 v[17:18], 1, v[16:17]
	v_add_co_u32 v17, s0, s6, v17
	s_delay_alu instid0(VALU_DEP_1)
	v_add_co_ci_u32_e64 v18, s0, s7, v18, s0
	global_load_u8 v8, v16, s[10:11]
	global_load_u16 v12, v[17:18], off
	s_waitcnt vmcnt(1)
	v_cvt_f32_ubyte0_e32 v16, v8
	s_waitcnt vmcnt(0)
	v_cvt_f32_f16_e32 v8, v12
.LBB160_15:
	s_or_b32 exec_lo, exec_lo, s2
	v_dual_mov_b32 v12, 0 :: v_dual_mov_b32 v17, 0
	v_mov_b32_e32 v18, 0
	s_mov_b32 s2, exec_lo
	v_cmpx_gt_i32_e64 s1, v2
	s_cbranch_execnz .LBB160_27
; %bb.16:
	s_or_b32 exec_lo, exec_lo, s2
	s_delay_alu instid0(SALU_CYCLE_1)
	s_mov_b32 s2, exec_lo
	v_cmpx_gt_i32_e64 s1, v2
	s_cbranch_execnz .LBB160_28
.LBB160_17:
	s_or_b32 exec_lo, exec_lo, s2
	s_and_saveexec_b32 s0, vcc_lo
	s_cbranch_execnz .LBB160_29
.LBB160_18:
	s_or_b32 exec_lo, exec_lo, s0
	s_delay_alu instid0(SALU_CYCLE_1)
	s_mov_b32 s0, exec_lo
	v_cmpx_gt_i32_e64 s1, v0
	s_cbranch_execnz .LBB160_30
.LBB160_19:
	s_or_b32 exec_lo, exec_lo, s0
	s_delay_alu instid0(SALU_CYCLE_1)
	s_mov_b32 s0, exec_lo
	v_cmpx_gt_i32_e64 s1, v0
	s_cbranch_execnz .LBB160_31
.LBB160_20:
	s_or_b32 exec_lo, exec_lo, s0
	s_delay_alu instid0(SALU_CYCLE_1)
	s_mov_b32 s0, exec_lo
	v_cmpx_gt_i32_e64 s1, v0
	s_cbranch_execnz .LBB160_32
.LBB160_21:
	s_or_b32 exec_lo, exec_lo, s0
	s_delay_alu instid0(SALU_CYCLE_1)
	s_mov_b32 s0, exec_lo
	v_cmpx_gt_i32_e64 s1, v0
	s_cbranch_execnz .LBB160_33
.LBB160_22:
	s_or_b32 exec_lo, exec_lo, s0
	s_delay_alu instid0(SALU_CYCLE_1)
	s_mov_b32 s0, exec_lo
	v_cmpx_gt_i32_e64 s1, v0
	s_cbranch_execnz .LBB160_34
.LBB160_23:
	s_or_b32 exec_lo, exec_lo, s0
	s_delay_alu instid0(SALU_CYCLE_1)
	s_mov_b32 s0, exec_lo
	v_cmpx_gt_i32_e64 s1, v0
	s_cbranch_execnz .LBB160_35
.LBB160_24:
	s_or_b32 exec_lo, exec_lo, s0
	s_delay_alu instid0(SALU_CYCLE_1)
	s_mov_b32 s0, exec_lo
	v_cmpx_gt_i32_e64 s1, v0
	s_cbranch_execz .LBB160_26
.LBB160_25:
	v_dual_mov_b32 v1, 0 :: v_dual_add_nc_u32 v0, s8, v0
	v_fma_mixlo_f16 v2, v12, s3, 0
	s_delay_alu instid0(VALU_DEP_2) | instskip(NEXT) | instid1(VALU_DEP_1)
	v_lshlrev_b64 v[0:1], 1, v[0:1]
	v_add_co_u32 v0, vcc_lo, s4, v0
	s_delay_alu instid0(VALU_DEP_2)
	v_add_co_ci_u32_e32 v1, vcc_lo, s5, v1, vcc_lo
	global_store_b16 v[0:1], v2, off
.LBB160_26:
	s_nop 0
	s_sendmsg sendmsg(MSG_DEALLOC_VGPRS)
	s_endpgm
.LBB160_27:
	v_dual_mov_b32 v18, 0 :: v_dual_add_nc_u32 v17, s8, v2
	v_add_nc_u32_e32 v2, 0x100, v2
	s_delay_alu instid0(VALU_DEP_2) | instskip(NEXT) | instid1(VALU_DEP_1)
	v_lshlrev_b64 v[18:19], 1, v[17:18]
	v_add_co_u32 v18, s0, s6, v18
	s_delay_alu instid0(VALU_DEP_1)
	v_add_co_ci_u32_e64 v19, s0, s7, v19, s0
	global_load_u8 v17, v17, s[10:11]
	global_load_u16 v19, v[18:19], off
	s_waitcnt vmcnt(1)
	v_cvt_f32_ubyte0_e32 v18, v17
	s_waitcnt vmcnt(0)
	v_cvt_f32_f16_e32 v17, v19
	s_or_b32 exec_lo, exec_lo, s2
	s_delay_alu instid0(SALU_CYCLE_1)
	s_mov_b32 s2, exec_lo
	v_cmpx_gt_i32_e64 s1, v2
	s_cbranch_execz .LBB160_17
.LBB160_28:
	v_dual_mov_b32 v20, 0 :: v_dual_add_nc_u32 v19, s8, v2
	s_delay_alu instid0(VALU_DEP_1) | instskip(NEXT) | instid1(VALU_DEP_1)
	v_lshlrev_b64 v[20:21], 1, v[19:20]
	v_add_co_u32 v20, s0, s6, v20
	s_delay_alu instid0(VALU_DEP_1)
	v_add_co_ci_u32_e64 v21, s0, s7, v21, s0
	global_load_u8 v2, v19, s[10:11]
	global_load_u16 v12, v[20:21], off
	s_waitcnt vmcnt(1)
	v_cvt_f32_ubyte0_e32 v2, v2
	s_waitcnt vmcnt(0)
	v_cvt_f32_f16_e32 v12, v12
	s_delay_alu instid0(VALU_DEP_1)
	v_mul_f32_e32 v12, v12, v2
	s_or_b32 exec_lo, exec_lo, s2
	s_and_saveexec_b32 s0, vcc_lo
	s_cbranch_execz .LBB160_18
.LBB160_29:
	v_mov_b32_e32 v2, 0
	v_mul_f32_e32 v6, v6, v7
	s_delay_alu instid0(VALU_DEP_2) | instskip(NEXT) | instid1(VALU_DEP_2)
	v_lshlrev_b64 v[0:1], 1, v[1:2]
	v_fma_mixlo_f16 v2, v6, s3, 0
	s_delay_alu instid0(VALU_DEP_2) | instskip(NEXT) | instid1(VALU_DEP_3)
	v_add_co_u32 v6, vcc_lo, s4, v0
	v_add_co_ci_u32_e32 v7, vcc_lo, s5, v1, vcc_lo
	v_mov_b32_e32 v0, v4
	global_store_b16 v[6:7], v2, off
	s_or_b32 exec_lo, exec_lo, s0
	s_delay_alu instid0(SALU_CYCLE_1)
	s_mov_b32 s0, exec_lo
	v_cmpx_gt_i32_e64 s1, v0
	s_cbranch_execz .LBB160_19
.LBB160_30:
	v_dual_mov_b32 v2, 0 :: v_dual_add_nc_u32 v1, s8, v0
	v_dual_mul_f32 v3, v3, v9 :: v_dual_add_nc_u32 v0, 0x100, v0
	s_delay_alu instid0(VALU_DEP_2) | instskip(NEXT) | instid1(VALU_DEP_2)
	v_lshlrev_b64 v[1:2], 1, v[1:2]
	v_fma_mixlo_f16 v3, v3, s3, 0
	s_delay_alu instid0(VALU_DEP_2) | instskip(NEXT) | instid1(VALU_DEP_3)
	v_add_co_u32 v1, vcc_lo, s4, v1
	v_add_co_ci_u32_e32 v2, vcc_lo, s5, v2, vcc_lo
	global_store_b16 v[1:2], v3, off
	s_or_b32 exec_lo, exec_lo, s0
	s_delay_alu instid0(SALU_CYCLE_1)
	s_mov_b32 s0, exec_lo
	v_cmpx_gt_i32_e64 s1, v0
	s_cbranch_execz .LBB160_20
.LBB160_31:
	v_dual_mov_b32 v2, 0 :: v_dual_add_nc_u32 v1, s8, v0
	v_dual_mul_f32 v3, v10, v11 :: v_dual_add_nc_u32 v0, 0x100, v0
	s_delay_alu instid0(VALU_DEP_2) | instskip(NEXT) | instid1(VALU_DEP_2)
	v_lshlrev_b64 v[1:2], 1, v[1:2]
	v_fma_mixlo_f16 v3, v3, s3, 0
	s_delay_alu instid0(VALU_DEP_2) | instskip(NEXT) | instid1(VALU_DEP_3)
	v_add_co_u32 v1, vcc_lo, s4, v1
	v_add_co_ci_u32_e32 v2, vcc_lo, s5, v2, vcc_lo
	global_store_b16 v[1:2], v3, off
	s_or_b32 exec_lo, exec_lo, s0
	s_delay_alu instid0(SALU_CYCLE_1)
	s_mov_b32 s0, exec_lo
	v_cmpx_gt_i32_e64 s1, v0
	s_cbranch_execz .LBB160_21
.LBB160_32:
	v_dual_mov_b32 v2, 0 :: v_dual_add_nc_u32 v1, s8, v0
	v_dual_mul_f32 v3, v5, v13 :: v_dual_add_nc_u32 v0, 0x100, v0
	s_delay_alu instid0(VALU_DEP_2) | instskip(NEXT) | instid1(VALU_DEP_2)
	v_lshlrev_b64 v[1:2], 1, v[1:2]
	v_fma_mixlo_f16 v3, v3, s3, 0
	s_delay_alu instid0(VALU_DEP_2) | instskip(NEXT) | instid1(VALU_DEP_3)
	v_add_co_u32 v1, vcc_lo, s4, v1
	v_add_co_ci_u32_e32 v2, vcc_lo, s5, v2, vcc_lo
	global_store_b16 v[1:2], v3, off
	s_or_b32 exec_lo, exec_lo, s0
	s_delay_alu instid0(SALU_CYCLE_1)
	s_mov_b32 s0, exec_lo
	v_cmpx_gt_i32_e64 s1, v0
	s_cbranch_execz .LBB160_22
.LBB160_33:
	v_dual_mov_b32 v2, 0 :: v_dual_add_nc_u32 v1, s8, v0
	v_dual_mul_f32 v3, v14, v15 :: v_dual_add_nc_u32 v0, 0x100, v0
	s_delay_alu instid0(VALU_DEP_2) | instskip(NEXT) | instid1(VALU_DEP_2)
	v_lshlrev_b64 v[1:2], 1, v[1:2]
	v_fma_mixlo_f16 v3, v3, s3, 0
	s_delay_alu instid0(VALU_DEP_2) | instskip(NEXT) | instid1(VALU_DEP_3)
	v_add_co_u32 v1, vcc_lo, s4, v1
	v_add_co_ci_u32_e32 v2, vcc_lo, s5, v2, vcc_lo
	global_store_b16 v[1:2], v3, off
	s_or_b32 exec_lo, exec_lo, s0
	s_delay_alu instid0(SALU_CYCLE_1)
	s_mov_b32 s0, exec_lo
	v_cmpx_gt_i32_e64 s1, v0
	s_cbranch_execz .LBB160_23
.LBB160_34:
	v_dual_mov_b32 v2, 0 :: v_dual_add_nc_u32 v1, s8, v0
	v_mul_f32_e32 v3, v8, v16
	v_add_nc_u32_e32 v0, 0x100, v0
	s_delay_alu instid0(VALU_DEP_3) | instskip(NEXT) | instid1(VALU_DEP_3)
	v_lshlrev_b64 v[1:2], 1, v[1:2]
	v_fma_mixlo_f16 v3, v3, s3, 0
	s_delay_alu instid0(VALU_DEP_2) | instskip(NEXT) | instid1(VALU_DEP_3)
	v_add_co_u32 v1, vcc_lo, s4, v1
	v_add_co_ci_u32_e32 v2, vcc_lo, s5, v2, vcc_lo
	global_store_b16 v[1:2], v3, off
	s_or_b32 exec_lo, exec_lo, s0
	s_delay_alu instid0(SALU_CYCLE_1)
	s_mov_b32 s0, exec_lo
	v_cmpx_gt_i32_e64 s1, v0
	s_cbranch_execz .LBB160_24
.LBB160_35:
	v_dual_mov_b32 v2, 0 :: v_dual_add_nc_u32 v1, s8, v0
	v_dual_mul_f32 v3, v17, v18 :: v_dual_add_nc_u32 v0, 0x100, v0
	s_delay_alu instid0(VALU_DEP_2) | instskip(NEXT) | instid1(VALU_DEP_2)
	v_lshlrev_b64 v[1:2], 1, v[1:2]
	v_fma_mixlo_f16 v3, v3, s3, 0
	s_delay_alu instid0(VALU_DEP_2) | instskip(NEXT) | instid1(VALU_DEP_3)
	v_add_co_u32 v1, vcc_lo, s4, v1
	v_add_co_ci_u32_e32 v2, vcc_lo, s5, v2, vcc_lo
	global_store_b16 v[1:2], v3, off
	s_or_b32 exec_lo, exec_lo, s0
	s_delay_alu instid0(SALU_CYCLE_1)
	s_mov_b32 s0, exec_lo
	v_cmpx_gt_i32_e64 s1, v0
	s_cbranch_execnz .LBB160_25
	s_branch .LBB160_26
	.section	.rodata,"a",@progbits
	.p2align	6, 0x0
	.amdhsa_kernel _ZN2at6native29vectorized_elementwise_kernelILi16EZNS0_12_GLOBAL__N_119masked_scale_kernelIhN3c104HalfEfEEvRNS_6TensorERKS6_S9_T1_EUlS5_hE_St5arrayIPcLm3EEEEviT0_SA_
		.amdhsa_group_segment_fixed_size 0
		.amdhsa_private_segment_fixed_size 0
		.amdhsa_kernarg_size 32
		.amdhsa_user_sgpr_count 15
		.amdhsa_user_sgpr_dispatch_ptr 0
		.amdhsa_user_sgpr_queue_ptr 0
		.amdhsa_user_sgpr_kernarg_segment_ptr 1
		.amdhsa_user_sgpr_dispatch_id 0
		.amdhsa_user_sgpr_private_segment_size 0
		.amdhsa_wavefront_size32 1
		.amdhsa_uses_dynamic_stack 0
		.amdhsa_enable_private_segment 0
		.amdhsa_system_sgpr_workgroup_id_x 1
		.amdhsa_system_sgpr_workgroup_id_y 0
		.amdhsa_system_sgpr_workgroup_id_z 0
		.amdhsa_system_sgpr_workgroup_info 0
		.amdhsa_system_vgpr_workitem_id 0
		.amdhsa_next_free_vgpr 22
		.amdhsa_next_free_sgpr 16
		.amdhsa_reserve_vcc 1
		.amdhsa_float_round_mode_32 0
		.amdhsa_float_round_mode_16_64 0
		.amdhsa_float_denorm_mode_32 3
		.amdhsa_float_denorm_mode_16_64 3
		.amdhsa_dx10_clamp 1
		.amdhsa_ieee_mode 1
		.amdhsa_fp16_overflow 0
		.amdhsa_workgroup_processor_mode 1
		.amdhsa_memory_ordered 1
		.amdhsa_forward_progress 0
		.amdhsa_shared_vgpr_count 0
		.amdhsa_exception_fp_ieee_invalid_op 0
		.amdhsa_exception_fp_denorm_src 0
		.amdhsa_exception_fp_ieee_div_zero 0
		.amdhsa_exception_fp_ieee_overflow 0
		.amdhsa_exception_fp_ieee_underflow 0
		.amdhsa_exception_fp_ieee_inexact 0
		.amdhsa_exception_int_div_zero 0
	.end_amdhsa_kernel
	.section	.text._ZN2at6native29vectorized_elementwise_kernelILi16EZNS0_12_GLOBAL__N_119masked_scale_kernelIhN3c104HalfEfEEvRNS_6TensorERKS6_S9_T1_EUlS5_hE_St5arrayIPcLm3EEEEviT0_SA_,"axG",@progbits,_ZN2at6native29vectorized_elementwise_kernelILi16EZNS0_12_GLOBAL__N_119masked_scale_kernelIhN3c104HalfEfEEvRNS_6TensorERKS6_S9_T1_EUlS5_hE_St5arrayIPcLm3EEEEviT0_SA_,comdat
.Lfunc_end160:
	.size	_ZN2at6native29vectorized_elementwise_kernelILi16EZNS0_12_GLOBAL__N_119masked_scale_kernelIhN3c104HalfEfEEvRNS_6TensorERKS6_S9_T1_EUlS5_hE_St5arrayIPcLm3EEEEviT0_SA_, .Lfunc_end160-_ZN2at6native29vectorized_elementwise_kernelILi16EZNS0_12_GLOBAL__N_119masked_scale_kernelIhN3c104HalfEfEEvRNS_6TensorERKS6_S9_T1_EUlS5_hE_St5arrayIPcLm3EEEEviT0_SA_
                                        ; -- End function
	.section	.AMDGPU.csdata,"",@progbits
; Kernel info:
; codeLenInByte = 2092
; NumSgprs: 18
; NumVgprs: 22
; ScratchSize: 0
; MemoryBound: 0
; FloatMode: 240
; IeeeMode: 1
; LDSByteSize: 0 bytes/workgroup (compile time only)
; SGPRBlocks: 2
; VGPRBlocks: 2
; NumSGPRsForWavesPerEU: 18
; NumVGPRsForWavesPerEU: 22
; Occupancy: 16
; WaveLimiterHint : 0
; COMPUTE_PGM_RSRC2:SCRATCH_EN: 0
; COMPUTE_PGM_RSRC2:USER_SGPR: 15
; COMPUTE_PGM_RSRC2:TRAP_HANDLER: 0
; COMPUTE_PGM_RSRC2:TGID_X_EN: 1
; COMPUTE_PGM_RSRC2:TGID_Y_EN: 0
; COMPUTE_PGM_RSRC2:TGID_Z_EN: 0
; COMPUTE_PGM_RSRC2:TIDIG_COMP_CNT: 0
	.section	.text._ZN2at6native29vectorized_elementwise_kernelILi8EZNS0_12_GLOBAL__N_119masked_scale_kernelIhN3c104HalfEfEEvRNS_6TensorERKS6_S9_T1_EUlS5_hE_St5arrayIPcLm3EEEEviT0_SA_,"axG",@progbits,_ZN2at6native29vectorized_elementwise_kernelILi8EZNS0_12_GLOBAL__N_119masked_scale_kernelIhN3c104HalfEfEEvRNS_6TensorERKS6_S9_T1_EUlS5_hE_St5arrayIPcLm3EEEEviT0_SA_,comdat
	.globl	_ZN2at6native29vectorized_elementwise_kernelILi8EZNS0_12_GLOBAL__N_119masked_scale_kernelIhN3c104HalfEfEEvRNS_6TensorERKS6_S9_T1_EUlS5_hE_St5arrayIPcLm3EEEEviT0_SA_ ; -- Begin function _ZN2at6native29vectorized_elementwise_kernelILi8EZNS0_12_GLOBAL__N_119masked_scale_kernelIhN3c104HalfEfEEvRNS_6TensorERKS6_S9_T1_EUlS5_hE_St5arrayIPcLm3EEEEviT0_SA_
	.p2align	8
	.type	_ZN2at6native29vectorized_elementwise_kernelILi8EZNS0_12_GLOBAL__N_119masked_scale_kernelIhN3c104HalfEfEEvRNS_6TensorERKS6_S9_T1_EUlS5_hE_St5arrayIPcLm3EEEEviT0_SA_,@function
_ZN2at6native29vectorized_elementwise_kernelILi8EZNS0_12_GLOBAL__N_119masked_scale_kernelIhN3c104HalfEfEEvRNS_6TensorERKS6_S9_T1_EUlS5_hE_St5arrayIPcLm3EEEEviT0_SA_: ; @_ZN2at6native29vectorized_elementwise_kernelILi8EZNS0_12_GLOBAL__N_119masked_scale_kernelIhN3c104HalfEfEEvRNS_6TensorERKS6_S9_T1_EUlS5_hE_St5arrayIPcLm3EEEEviT0_SA_
; %bb.0:
	s_clause 0x2
	s_load_b64 s[2:3], s[0:1], 0x0
	s_load_b128 s[4:7], s[0:1], 0x8
	s_load_b64 s[10:11], s[0:1], 0x18
	s_lshl_b32 s8, s15, 11
	s_mov_b32 s0, -1
	s_waitcnt lgkmcnt(0)
	s_sub_i32 s1, s2, s8
	s_delay_alu instid0(SALU_CYCLE_1)
	s_cmpk_gt_i32 s1, 0x7ff
	s_cbranch_scc0 .LBB161_2
; %bb.1:
	s_ashr_i32 s9, s8, 31
	v_lshlrev_b32_e32 v7, 4, v0
	s_lshl_b64 s[12:13], s[8:9], 1
	s_mov_b32 s0, 0
	s_add_u32 s14, s6, s12
	s_addc_u32 s15, s7, s13
	global_load_b128 v[1:4], v7, s[14:15]
	s_add_u32 s14, s10, s8
	s_addc_u32 s15, s11, s9
	s_add_u32 s12, s4, s12
	s_addc_u32 s13, s5, s13
	s_waitcnt vmcnt(0)
	v_cvt_f32_f16_e32 v9, v2
	v_lshrrev_b32_e32 v2, 16, v2
	v_cvt_f32_f16_e32 v8, v1
	v_lshrrev_b32_e32 v1, 16, v1
	v_cvt_f32_f16_e32 v10, v3
	v_cvt_f32_f16_e32 v11, v4
	;; [unrolled: 1-line block ×3, first 2 shown]
	v_lshlrev_b32_e32 v5, 3, v0
	v_lshrrev_b32_e32 v4, 16, v4
	v_lshrrev_b32_e32 v3, 16, v3
	v_cvt_f32_f16_e32 v1, v1
	global_load_b64 v[5:6], v5, s[14:15]
	v_cvt_f32_f16_e32 v4, v4
	v_cvt_f32_f16_e32 v3, v3
	s_waitcnt vmcnt(0)
	v_cvt_f32_ubyte0_e32 v12, v5
	v_cvt_f32_ubyte2_e32 v13, v5
	v_cvt_f32_ubyte0_e32 v15, v6
	v_cvt_f32_ubyte2_e32 v16, v6
	v_cvt_f32_ubyte3_e32 v14, v5
	v_cvt_f32_ubyte1_e32 v5, v5
	v_cvt_f32_ubyte3_e32 v17, v6
	v_cvt_f32_ubyte1_e32 v6, v6
	v_dual_mul_f32 v9, v9, v13 :: v_dual_mul_f32 v8, v8, v12
	v_dual_mul_f32 v11, v11, v16 :: v_dual_mul_f32 v10, v10, v15
	s_delay_alu instid0(VALU_DEP_3) | instskip(SKIP_1) | instid1(VALU_DEP_3)
	v_dual_mul_f32 v5, v1, v5 :: v_dual_mul_f32 v6, v3, v6
	v_dual_mul_f32 v12, v2, v14 :: v_dual_mul_f32 v13, v4, v17
	v_fma_mixlo_f16 v4, v11, s3, 0
	s_delay_alu instid0(VALU_DEP_4) | instskip(SKIP_2) | instid1(VALU_DEP_4)
	v_fma_mixlo_f16 v3, v10, s3, 0
	v_fma_mixlo_f16 v2, v9, s3, 0
	;; [unrolled: 1-line block ×3, first 2 shown]
	v_fma_mixhi_f16 v4, v13, s3, 0
	s_delay_alu instid0(VALU_DEP_4) | instskip(NEXT) | instid1(VALU_DEP_4)
	v_fma_mixhi_f16 v3, v6, s3, 0
	v_fma_mixhi_f16 v2, v12, s3, 0
	s_delay_alu instid0(VALU_DEP_4)
	v_fma_mixhi_f16 v1, v5, s3, 0
	global_store_b128 v7, v[1:4], s[12:13]
.LBB161_2:
	s_and_not1_b32 vcc_lo, exec_lo, s0
	s_cbranch_vccnz .LBB161_26
; %bb.3:
	v_cmp_gt_i32_e32 vcc_lo, s1, v0
	v_dual_mov_b32 v3, 0 :: v_dual_mov_b32 v6, 0
	v_or_b32_e32 v1, s8, v0
	v_or_b32_e32 v4, 0x100, v0
	v_dual_mov_b32 v7, 0 :: v_dual_mov_b32 v2, v0
	s_and_saveexec_b32 s2, vcc_lo
	s_cbranch_execz .LBB161_5
; %bb.4:
	v_mov_b32_e32 v2, 0
	s_delay_alu instid0(VALU_DEP_1) | instskip(SKIP_1) | instid1(VALU_DEP_2)
	v_lshlrev_b64 v[5:6], 1, v[1:2]
	v_or_b32_e32 v2, 0x100, v0
	v_add_co_u32 v5, s0, s6, v5
	s_delay_alu instid0(VALU_DEP_1)
	v_add_co_ci_u32_e64 v6, s0, s7, v6, s0
	global_load_u8 v7, v1, s[10:11]
	global_load_u16 v5, v[5:6], off
	s_waitcnt vmcnt(1)
	v_cvt_f32_ubyte0_e32 v7, v7
	s_waitcnt vmcnt(0)
	v_cvt_f32_f16_e32 v6, v5
.LBB161_5:
	s_or_b32 exec_lo, exec_lo, s2
	v_mov_b32_e32 v9, 0
	s_mov_b32 s2, exec_lo
	v_cmpx_gt_i32_e64 s1, v2
	s_cbranch_execz .LBB161_7
; %bb.6:
	v_dual_mov_b32 v9, 0 :: v_dual_add_nc_u32 v8, s8, v2
	v_add_nc_u32_e32 v2, 0x100, v2
	s_delay_alu instid0(VALU_DEP_2) | instskip(NEXT) | instid1(VALU_DEP_1)
	v_lshlrev_b64 v[9:10], 1, v[8:9]
	v_add_co_u32 v9, s0, s6, v9
	s_delay_alu instid0(VALU_DEP_1)
	v_add_co_ci_u32_e64 v10, s0, s7, v10, s0
	global_load_u8 v3, v8, s[10:11]
	global_load_u16 v5, v[9:10], off
	s_waitcnt vmcnt(1)
	v_cvt_f32_ubyte0_e32 v9, v3
	s_waitcnt vmcnt(0)
	v_cvt_f32_f16_e32 v3, v5
.LBB161_7:
	s_or_b32 exec_lo, exec_lo, s2
	v_dual_mov_b32 v5, 0 :: v_dual_mov_b32 v10, 0
	v_mov_b32_e32 v11, 0
	s_mov_b32 s2, exec_lo
	v_cmpx_gt_i32_e64 s1, v2
	s_cbranch_execz .LBB161_9
; %bb.8:
	v_dual_mov_b32 v11, 0 :: v_dual_add_nc_u32 v10, s8, v2
	v_add_nc_u32_e32 v2, 0x100, v2
	s_delay_alu instid0(VALU_DEP_2) | instskip(NEXT) | instid1(VALU_DEP_1)
	v_lshlrev_b64 v[11:12], 1, v[10:11]
	v_add_co_u32 v11, s0, s6, v11
	s_delay_alu instid0(VALU_DEP_1)
	v_add_co_ci_u32_e64 v12, s0, s7, v12, s0
	global_load_u8 v8, v10, s[10:11]
	global_load_u16 v10, v[11:12], off
	s_waitcnt vmcnt(1)
	v_cvt_f32_ubyte0_e32 v11, v8
	s_waitcnt vmcnt(0)
	v_cvt_f32_f16_e32 v10, v10
.LBB161_9:
	s_or_b32 exec_lo, exec_lo, s2
	v_mov_b32_e32 v13, 0
	s_mov_b32 s2, exec_lo
	v_cmpx_gt_i32_e64 s1, v2
	s_cbranch_execz .LBB161_11
; %bb.10:
	v_dual_mov_b32 v13, 0 :: v_dual_add_nc_u32 v12, s8, v2
	v_add_nc_u32_e32 v2, 0x100, v2
	s_delay_alu instid0(VALU_DEP_2) | instskip(NEXT) | instid1(VALU_DEP_1)
	v_lshlrev_b64 v[13:14], 1, v[12:13]
	v_add_co_u32 v13, s0, s6, v13
	s_delay_alu instid0(VALU_DEP_1)
	v_add_co_ci_u32_e64 v14, s0, s7, v14, s0
	global_load_u8 v5, v12, s[10:11]
	global_load_u16 v8, v[13:14], off
	s_waitcnt vmcnt(1)
	v_cvt_f32_ubyte0_e32 v13, v5
	s_waitcnt vmcnt(0)
	v_cvt_f32_f16_e32 v5, v8
.LBB161_11:
	s_or_b32 exec_lo, exec_lo, s2
	v_dual_mov_b32 v8, 0 :: v_dual_mov_b32 v15, 0
	v_mov_b32_e32 v14, 0
	s_mov_b32 s2, exec_lo
	v_cmpx_gt_i32_e64 s1, v2
	s_cbranch_execz .LBB161_13
; %bb.12:
	v_dual_mov_b32 v15, 0 :: v_dual_add_nc_u32 v14, s8, v2
	v_add_nc_u32_e32 v2, 0x100, v2
	s_delay_alu instid0(VALU_DEP_2) | instskip(NEXT) | instid1(VALU_DEP_1)
	v_lshlrev_b64 v[15:16], 1, v[14:15]
	v_add_co_u32 v15, s0, s6, v15
	s_delay_alu instid0(VALU_DEP_1)
	v_add_co_ci_u32_e64 v16, s0, s7, v16, s0
	global_load_u8 v12, v14, s[10:11]
	global_load_u16 v14, v[15:16], off
	s_waitcnt vmcnt(1)
	v_cvt_f32_ubyte0_e32 v15, v12
	s_waitcnt vmcnt(0)
	v_cvt_f32_f16_e32 v14, v14
.LBB161_13:
	s_or_b32 exec_lo, exec_lo, s2
	v_mov_b32_e32 v16, 0
	s_mov_b32 s2, exec_lo
	v_cmpx_gt_i32_e64 s1, v2
	s_cbranch_execz .LBB161_15
; %bb.14:
	v_dual_mov_b32 v17, 0 :: v_dual_add_nc_u32 v16, s8, v2
	v_add_nc_u32_e32 v2, 0x100, v2
	s_delay_alu instid0(VALU_DEP_2) | instskip(NEXT) | instid1(VALU_DEP_1)
	v_lshlrev_b64 v[17:18], 1, v[16:17]
	v_add_co_u32 v17, s0, s6, v17
	s_delay_alu instid0(VALU_DEP_1)
	v_add_co_ci_u32_e64 v18, s0, s7, v18, s0
	global_load_u8 v8, v16, s[10:11]
	global_load_u16 v12, v[17:18], off
	s_waitcnt vmcnt(1)
	v_cvt_f32_ubyte0_e32 v16, v8
	s_waitcnt vmcnt(0)
	v_cvt_f32_f16_e32 v8, v12
.LBB161_15:
	s_or_b32 exec_lo, exec_lo, s2
	v_dual_mov_b32 v12, 0 :: v_dual_mov_b32 v17, 0
	v_mov_b32_e32 v18, 0
	s_mov_b32 s2, exec_lo
	v_cmpx_gt_i32_e64 s1, v2
	s_cbranch_execnz .LBB161_27
; %bb.16:
	s_or_b32 exec_lo, exec_lo, s2
	s_delay_alu instid0(SALU_CYCLE_1)
	s_mov_b32 s2, exec_lo
	v_cmpx_gt_i32_e64 s1, v2
	s_cbranch_execnz .LBB161_28
.LBB161_17:
	s_or_b32 exec_lo, exec_lo, s2
	s_and_saveexec_b32 s0, vcc_lo
	s_cbranch_execnz .LBB161_29
.LBB161_18:
	s_or_b32 exec_lo, exec_lo, s0
	s_delay_alu instid0(SALU_CYCLE_1)
	s_mov_b32 s0, exec_lo
	v_cmpx_gt_i32_e64 s1, v0
	s_cbranch_execnz .LBB161_30
.LBB161_19:
	s_or_b32 exec_lo, exec_lo, s0
	s_delay_alu instid0(SALU_CYCLE_1)
	s_mov_b32 s0, exec_lo
	v_cmpx_gt_i32_e64 s1, v0
	s_cbranch_execnz .LBB161_31
.LBB161_20:
	s_or_b32 exec_lo, exec_lo, s0
	s_delay_alu instid0(SALU_CYCLE_1)
	s_mov_b32 s0, exec_lo
	v_cmpx_gt_i32_e64 s1, v0
	s_cbranch_execnz .LBB161_32
.LBB161_21:
	s_or_b32 exec_lo, exec_lo, s0
	s_delay_alu instid0(SALU_CYCLE_1)
	s_mov_b32 s0, exec_lo
	v_cmpx_gt_i32_e64 s1, v0
	s_cbranch_execnz .LBB161_33
.LBB161_22:
	s_or_b32 exec_lo, exec_lo, s0
	s_delay_alu instid0(SALU_CYCLE_1)
	s_mov_b32 s0, exec_lo
	v_cmpx_gt_i32_e64 s1, v0
	s_cbranch_execnz .LBB161_34
.LBB161_23:
	s_or_b32 exec_lo, exec_lo, s0
	s_delay_alu instid0(SALU_CYCLE_1)
	s_mov_b32 s0, exec_lo
	v_cmpx_gt_i32_e64 s1, v0
	s_cbranch_execnz .LBB161_35
.LBB161_24:
	s_or_b32 exec_lo, exec_lo, s0
	s_delay_alu instid0(SALU_CYCLE_1)
	s_mov_b32 s0, exec_lo
	v_cmpx_gt_i32_e64 s1, v0
	s_cbranch_execz .LBB161_26
.LBB161_25:
	v_dual_mov_b32 v1, 0 :: v_dual_add_nc_u32 v0, s8, v0
	v_fma_mixlo_f16 v2, v12, s3, 0
	s_delay_alu instid0(VALU_DEP_2) | instskip(NEXT) | instid1(VALU_DEP_1)
	v_lshlrev_b64 v[0:1], 1, v[0:1]
	v_add_co_u32 v0, vcc_lo, s4, v0
	s_delay_alu instid0(VALU_DEP_2)
	v_add_co_ci_u32_e32 v1, vcc_lo, s5, v1, vcc_lo
	global_store_b16 v[0:1], v2, off
.LBB161_26:
	s_nop 0
	s_sendmsg sendmsg(MSG_DEALLOC_VGPRS)
	s_endpgm
.LBB161_27:
	v_dual_mov_b32 v18, 0 :: v_dual_add_nc_u32 v17, s8, v2
	v_add_nc_u32_e32 v2, 0x100, v2
	s_delay_alu instid0(VALU_DEP_2) | instskip(NEXT) | instid1(VALU_DEP_1)
	v_lshlrev_b64 v[18:19], 1, v[17:18]
	v_add_co_u32 v18, s0, s6, v18
	s_delay_alu instid0(VALU_DEP_1)
	v_add_co_ci_u32_e64 v19, s0, s7, v19, s0
	global_load_u8 v17, v17, s[10:11]
	global_load_u16 v19, v[18:19], off
	s_waitcnt vmcnt(1)
	v_cvt_f32_ubyte0_e32 v18, v17
	s_waitcnt vmcnt(0)
	v_cvt_f32_f16_e32 v17, v19
	s_or_b32 exec_lo, exec_lo, s2
	s_delay_alu instid0(SALU_CYCLE_1)
	s_mov_b32 s2, exec_lo
	v_cmpx_gt_i32_e64 s1, v2
	s_cbranch_execz .LBB161_17
.LBB161_28:
	v_dual_mov_b32 v20, 0 :: v_dual_add_nc_u32 v19, s8, v2
	s_delay_alu instid0(VALU_DEP_1) | instskip(NEXT) | instid1(VALU_DEP_1)
	v_lshlrev_b64 v[20:21], 1, v[19:20]
	v_add_co_u32 v20, s0, s6, v20
	s_delay_alu instid0(VALU_DEP_1)
	v_add_co_ci_u32_e64 v21, s0, s7, v21, s0
	global_load_u8 v2, v19, s[10:11]
	global_load_u16 v12, v[20:21], off
	s_waitcnt vmcnt(1)
	v_cvt_f32_ubyte0_e32 v2, v2
	s_waitcnt vmcnt(0)
	v_cvt_f32_f16_e32 v12, v12
	s_delay_alu instid0(VALU_DEP_1)
	v_mul_f32_e32 v12, v12, v2
	s_or_b32 exec_lo, exec_lo, s2
	s_and_saveexec_b32 s0, vcc_lo
	s_cbranch_execz .LBB161_18
.LBB161_29:
	v_mov_b32_e32 v2, 0
	v_mul_f32_e32 v6, v6, v7
	s_delay_alu instid0(VALU_DEP_2) | instskip(NEXT) | instid1(VALU_DEP_2)
	v_lshlrev_b64 v[0:1], 1, v[1:2]
	v_fma_mixlo_f16 v2, v6, s3, 0
	s_delay_alu instid0(VALU_DEP_2) | instskip(NEXT) | instid1(VALU_DEP_3)
	v_add_co_u32 v6, vcc_lo, s4, v0
	v_add_co_ci_u32_e32 v7, vcc_lo, s5, v1, vcc_lo
	v_mov_b32_e32 v0, v4
	global_store_b16 v[6:7], v2, off
	s_or_b32 exec_lo, exec_lo, s0
	s_delay_alu instid0(SALU_CYCLE_1)
	s_mov_b32 s0, exec_lo
	v_cmpx_gt_i32_e64 s1, v0
	s_cbranch_execz .LBB161_19
.LBB161_30:
	v_dual_mov_b32 v2, 0 :: v_dual_add_nc_u32 v1, s8, v0
	v_dual_mul_f32 v3, v3, v9 :: v_dual_add_nc_u32 v0, 0x100, v0
	s_delay_alu instid0(VALU_DEP_2) | instskip(NEXT) | instid1(VALU_DEP_2)
	v_lshlrev_b64 v[1:2], 1, v[1:2]
	v_fma_mixlo_f16 v3, v3, s3, 0
	s_delay_alu instid0(VALU_DEP_2) | instskip(NEXT) | instid1(VALU_DEP_3)
	v_add_co_u32 v1, vcc_lo, s4, v1
	v_add_co_ci_u32_e32 v2, vcc_lo, s5, v2, vcc_lo
	global_store_b16 v[1:2], v3, off
	s_or_b32 exec_lo, exec_lo, s0
	s_delay_alu instid0(SALU_CYCLE_1)
	s_mov_b32 s0, exec_lo
	v_cmpx_gt_i32_e64 s1, v0
	s_cbranch_execz .LBB161_20
.LBB161_31:
	v_dual_mov_b32 v2, 0 :: v_dual_add_nc_u32 v1, s8, v0
	v_dual_mul_f32 v3, v10, v11 :: v_dual_add_nc_u32 v0, 0x100, v0
	s_delay_alu instid0(VALU_DEP_2) | instskip(NEXT) | instid1(VALU_DEP_2)
	v_lshlrev_b64 v[1:2], 1, v[1:2]
	v_fma_mixlo_f16 v3, v3, s3, 0
	s_delay_alu instid0(VALU_DEP_2) | instskip(NEXT) | instid1(VALU_DEP_3)
	v_add_co_u32 v1, vcc_lo, s4, v1
	v_add_co_ci_u32_e32 v2, vcc_lo, s5, v2, vcc_lo
	global_store_b16 v[1:2], v3, off
	s_or_b32 exec_lo, exec_lo, s0
	s_delay_alu instid0(SALU_CYCLE_1)
	s_mov_b32 s0, exec_lo
	v_cmpx_gt_i32_e64 s1, v0
	s_cbranch_execz .LBB161_21
.LBB161_32:
	v_dual_mov_b32 v2, 0 :: v_dual_add_nc_u32 v1, s8, v0
	v_dual_mul_f32 v3, v5, v13 :: v_dual_add_nc_u32 v0, 0x100, v0
	s_delay_alu instid0(VALU_DEP_2) | instskip(NEXT) | instid1(VALU_DEP_2)
	v_lshlrev_b64 v[1:2], 1, v[1:2]
	v_fma_mixlo_f16 v3, v3, s3, 0
	s_delay_alu instid0(VALU_DEP_2) | instskip(NEXT) | instid1(VALU_DEP_3)
	v_add_co_u32 v1, vcc_lo, s4, v1
	v_add_co_ci_u32_e32 v2, vcc_lo, s5, v2, vcc_lo
	global_store_b16 v[1:2], v3, off
	s_or_b32 exec_lo, exec_lo, s0
	s_delay_alu instid0(SALU_CYCLE_1)
	s_mov_b32 s0, exec_lo
	v_cmpx_gt_i32_e64 s1, v0
	s_cbranch_execz .LBB161_22
.LBB161_33:
	v_dual_mov_b32 v2, 0 :: v_dual_add_nc_u32 v1, s8, v0
	v_dual_mul_f32 v3, v14, v15 :: v_dual_add_nc_u32 v0, 0x100, v0
	s_delay_alu instid0(VALU_DEP_2) | instskip(NEXT) | instid1(VALU_DEP_2)
	v_lshlrev_b64 v[1:2], 1, v[1:2]
	v_fma_mixlo_f16 v3, v3, s3, 0
	s_delay_alu instid0(VALU_DEP_2) | instskip(NEXT) | instid1(VALU_DEP_3)
	v_add_co_u32 v1, vcc_lo, s4, v1
	v_add_co_ci_u32_e32 v2, vcc_lo, s5, v2, vcc_lo
	global_store_b16 v[1:2], v3, off
	s_or_b32 exec_lo, exec_lo, s0
	s_delay_alu instid0(SALU_CYCLE_1)
	s_mov_b32 s0, exec_lo
	v_cmpx_gt_i32_e64 s1, v0
	s_cbranch_execz .LBB161_23
.LBB161_34:
	v_dual_mov_b32 v2, 0 :: v_dual_add_nc_u32 v1, s8, v0
	v_mul_f32_e32 v3, v8, v16
	v_add_nc_u32_e32 v0, 0x100, v0
	s_delay_alu instid0(VALU_DEP_3) | instskip(NEXT) | instid1(VALU_DEP_3)
	v_lshlrev_b64 v[1:2], 1, v[1:2]
	v_fma_mixlo_f16 v3, v3, s3, 0
	s_delay_alu instid0(VALU_DEP_2) | instskip(NEXT) | instid1(VALU_DEP_3)
	v_add_co_u32 v1, vcc_lo, s4, v1
	v_add_co_ci_u32_e32 v2, vcc_lo, s5, v2, vcc_lo
	global_store_b16 v[1:2], v3, off
	s_or_b32 exec_lo, exec_lo, s0
	s_delay_alu instid0(SALU_CYCLE_1)
	s_mov_b32 s0, exec_lo
	v_cmpx_gt_i32_e64 s1, v0
	s_cbranch_execz .LBB161_24
.LBB161_35:
	v_dual_mov_b32 v2, 0 :: v_dual_add_nc_u32 v1, s8, v0
	v_dual_mul_f32 v3, v17, v18 :: v_dual_add_nc_u32 v0, 0x100, v0
	s_delay_alu instid0(VALU_DEP_2) | instskip(NEXT) | instid1(VALU_DEP_2)
	v_lshlrev_b64 v[1:2], 1, v[1:2]
	v_fma_mixlo_f16 v3, v3, s3, 0
	s_delay_alu instid0(VALU_DEP_2) | instskip(NEXT) | instid1(VALU_DEP_3)
	v_add_co_u32 v1, vcc_lo, s4, v1
	v_add_co_ci_u32_e32 v2, vcc_lo, s5, v2, vcc_lo
	global_store_b16 v[1:2], v3, off
	s_or_b32 exec_lo, exec_lo, s0
	s_delay_alu instid0(SALU_CYCLE_1)
	s_mov_b32 s0, exec_lo
	v_cmpx_gt_i32_e64 s1, v0
	s_cbranch_execnz .LBB161_25
	s_branch .LBB161_26
	.section	.rodata,"a",@progbits
	.p2align	6, 0x0
	.amdhsa_kernel _ZN2at6native29vectorized_elementwise_kernelILi8EZNS0_12_GLOBAL__N_119masked_scale_kernelIhN3c104HalfEfEEvRNS_6TensorERKS6_S9_T1_EUlS5_hE_St5arrayIPcLm3EEEEviT0_SA_
		.amdhsa_group_segment_fixed_size 0
		.amdhsa_private_segment_fixed_size 0
		.amdhsa_kernarg_size 32
		.amdhsa_user_sgpr_count 15
		.amdhsa_user_sgpr_dispatch_ptr 0
		.amdhsa_user_sgpr_queue_ptr 0
		.amdhsa_user_sgpr_kernarg_segment_ptr 1
		.amdhsa_user_sgpr_dispatch_id 0
		.amdhsa_user_sgpr_private_segment_size 0
		.amdhsa_wavefront_size32 1
		.amdhsa_uses_dynamic_stack 0
		.amdhsa_enable_private_segment 0
		.amdhsa_system_sgpr_workgroup_id_x 1
		.amdhsa_system_sgpr_workgroup_id_y 0
		.amdhsa_system_sgpr_workgroup_id_z 0
		.amdhsa_system_sgpr_workgroup_info 0
		.amdhsa_system_vgpr_workitem_id 0
		.amdhsa_next_free_vgpr 22
		.amdhsa_next_free_sgpr 16
		.amdhsa_reserve_vcc 1
		.amdhsa_float_round_mode_32 0
		.amdhsa_float_round_mode_16_64 0
		.amdhsa_float_denorm_mode_32 3
		.amdhsa_float_denorm_mode_16_64 3
		.amdhsa_dx10_clamp 1
		.amdhsa_ieee_mode 1
		.amdhsa_fp16_overflow 0
		.amdhsa_workgroup_processor_mode 1
		.amdhsa_memory_ordered 1
		.amdhsa_forward_progress 0
		.amdhsa_shared_vgpr_count 0
		.amdhsa_exception_fp_ieee_invalid_op 0
		.amdhsa_exception_fp_denorm_src 0
		.amdhsa_exception_fp_ieee_div_zero 0
		.amdhsa_exception_fp_ieee_overflow 0
		.amdhsa_exception_fp_ieee_underflow 0
		.amdhsa_exception_fp_ieee_inexact 0
		.amdhsa_exception_int_div_zero 0
	.end_amdhsa_kernel
	.section	.text._ZN2at6native29vectorized_elementwise_kernelILi8EZNS0_12_GLOBAL__N_119masked_scale_kernelIhN3c104HalfEfEEvRNS_6TensorERKS6_S9_T1_EUlS5_hE_St5arrayIPcLm3EEEEviT0_SA_,"axG",@progbits,_ZN2at6native29vectorized_elementwise_kernelILi8EZNS0_12_GLOBAL__N_119masked_scale_kernelIhN3c104HalfEfEEvRNS_6TensorERKS6_S9_T1_EUlS5_hE_St5arrayIPcLm3EEEEviT0_SA_,comdat
.Lfunc_end161:
	.size	_ZN2at6native29vectorized_elementwise_kernelILi8EZNS0_12_GLOBAL__N_119masked_scale_kernelIhN3c104HalfEfEEvRNS_6TensorERKS6_S9_T1_EUlS5_hE_St5arrayIPcLm3EEEEviT0_SA_, .Lfunc_end161-_ZN2at6native29vectorized_elementwise_kernelILi8EZNS0_12_GLOBAL__N_119masked_scale_kernelIhN3c104HalfEfEEvRNS_6TensorERKS6_S9_T1_EUlS5_hE_St5arrayIPcLm3EEEEviT0_SA_
                                        ; -- End function
	.section	.AMDGPU.csdata,"",@progbits
; Kernel info:
; codeLenInByte = 2092
; NumSgprs: 18
; NumVgprs: 22
; ScratchSize: 0
; MemoryBound: 0
; FloatMode: 240
; IeeeMode: 1
; LDSByteSize: 0 bytes/workgroup (compile time only)
; SGPRBlocks: 2
; VGPRBlocks: 2
; NumSGPRsForWavesPerEU: 18
; NumVGPRsForWavesPerEU: 22
; Occupancy: 16
; WaveLimiterHint : 0
; COMPUTE_PGM_RSRC2:SCRATCH_EN: 0
; COMPUTE_PGM_RSRC2:USER_SGPR: 15
; COMPUTE_PGM_RSRC2:TRAP_HANDLER: 0
; COMPUTE_PGM_RSRC2:TGID_X_EN: 1
; COMPUTE_PGM_RSRC2:TGID_Y_EN: 0
; COMPUTE_PGM_RSRC2:TGID_Z_EN: 0
; COMPUTE_PGM_RSRC2:TIDIG_COMP_CNT: 0
	.section	.text._ZN2at6native29vectorized_elementwise_kernelILi4EZNS0_12_GLOBAL__N_119masked_scale_kernelIhN3c104HalfEfEEvRNS_6TensorERKS6_S9_T1_EUlS5_hE_St5arrayIPcLm3EEEEviT0_SA_,"axG",@progbits,_ZN2at6native29vectorized_elementwise_kernelILi4EZNS0_12_GLOBAL__N_119masked_scale_kernelIhN3c104HalfEfEEvRNS_6TensorERKS6_S9_T1_EUlS5_hE_St5arrayIPcLm3EEEEviT0_SA_,comdat
	.globl	_ZN2at6native29vectorized_elementwise_kernelILi4EZNS0_12_GLOBAL__N_119masked_scale_kernelIhN3c104HalfEfEEvRNS_6TensorERKS6_S9_T1_EUlS5_hE_St5arrayIPcLm3EEEEviT0_SA_ ; -- Begin function _ZN2at6native29vectorized_elementwise_kernelILi4EZNS0_12_GLOBAL__N_119masked_scale_kernelIhN3c104HalfEfEEvRNS_6TensorERKS6_S9_T1_EUlS5_hE_St5arrayIPcLm3EEEEviT0_SA_
	.p2align	8
	.type	_ZN2at6native29vectorized_elementwise_kernelILi4EZNS0_12_GLOBAL__N_119masked_scale_kernelIhN3c104HalfEfEEvRNS_6TensorERKS6_S9_T1_EUlS5_hE_St5arrayIPcLm3EEEEviT0_SA_,@function
_ZN2at6native29vectorized_elementwise_kernelILi4EZNS0_12_GLOBAL__N_119masked_scale_kernelIhN3c104HalfEfEEvRNS_6TensorERKS6_S9_T1_EUlS5_hE_St5arrayIPcLm3EEEEviT0_SA_: ; @_ZN2at6native29vectorized_elementwise_kernelILi4EZNS0_12_GLOBAL__N_119masked_scale_kernelIhN3c104HalfEfEEvRNS_6TensorERKS6_S9_T1_EUlS5_hE_St5arrayIPcLm3EEEEviT0_SA_
; %bb.0:
	s_clause 0x2
	s_load_b64 s[2:3], s[0:1], 0x0
	s_load_b128 s[4:7], s[0:1], 0x8
	s_load_b64 s[10:11], s[0:1], 0x18
	s_lshl_b32 s8, s15, 11
	s_mov_b32 s0, -1
	s_waitcnt lgkmcnt(0)
	s_sub_i32 s2, s2, s8
	s_delay_alu instid0(SALU_CYCLE_1)
	s_cmpk_gt_i32 s2, 0x7ff
	s_cbranch_scc0 .LBB162_2
; %bb.1:
	s_ashr_i32 s9, s8, 31
	v_lshlrev_b32_e32 v5, 3, v0
	s_lshl_b64 s[0:1], s[8:9], 1
	s_delay_alu instid0(SALU_CYCLE_1)
	s_add_u32 s12, s6, s0
	s_addc_u32 s13, s7, s1
	s_clause 0x1
	global_load_b64 v[1:2], v5, s[12:13]
	global_load_b64 v[3:4], v5, s[12:13] offset:2048
	s_add_u32 s12, s10, s8
	s_addc_u32 s13, s11, s9
	s_waitcnt vmcnt(1)
	v_lshrrev_b32_e32 v8, 16, v1
	s_waitcnt vmcnt(0)
	v_lshrrev_b32_e32 v10, 16, v3
	v_cvt_f32_f16_e32 v3, v3
	v_lshlrev_b32_e32 v6, 2, v0
	v_lshrrev_b32_e32 v9, 16, v2
	v_cvt_f32_f16_e32 v1, v1
	s_clause 0x1
	global_load_b32 v7, v6, s[12:13]
	global_load_b32 v6, v6, s[12:13] offset:1024
	v_cvt_f32_f16_e32 v8, v8
	v_lshrrev_b32_e32 v11, 16, v4
	v_cvt_f32_f16_e32 v9, v9
	v_cvt_f32_f16_e32 v10, v10
	;; [unrolled: 1-line block ×5, first 2 shown]
	s_add_u32 s12, s4, s0
	s_addc_u32 s13, s5, s1
	s_mov_b32 s0, 0
	s_waitcnt vmcnt(1)
	v_cvt_f32_ubyte0_e32 v12, v7
	v_cvt_f32_ubyte1_e32 v13, v7
	v_cvt_f32_ubyte2_e32 v14, v7
	v_cvt_f32_ubyte3_e32 v7, v7
	s_waitcnt vmcnt(0)
	v_cvt_f32_ubyte0_e32 v15, v6
	v_cvt_f32_ubyte1_e32 v16, v6
	v_cvt_f32_ubyte2_e32 v17, v6
	v_dual_mul_f32 v1, v1, v12 :: v_dual_mul_f32 v8, v8, v13
	v_mul_f32_e32 v7, v9, v7
	v_cvt_f32_ubyte3_e32 v6, v6
	v_mul_f32_e32 v3, v3, v15
	v_mul_f32_e32 v9, v10, v16
	;; [unrolled: 1-line block ×5, first 2 shown]
	v_fma_mixlo_f16 v1, v1, s3, 0
	v_fma_mixlo_f16 v8, v8, s3, 0
	;; [unrolled: 1-line block ×6, first 2 shown]
	v_and_b32_e32 v1, 0xffff, v1
	v_lshlrev_b32_e32 v8, 16, v8
	v_fma_mixlo_f16 v4, v4, s3, 0
	v_fma_mixlo_f16 v6, v6, s3, 0
	v_and_b32_e32 v3, 0xffff, v3
	v_lshlrev_b32_e32 v9, 16, v9
	v_and_b32_e32 v2, 0xffff, v2
	v_lshlrev_b32_e32 v7, 16, v7
	v_or_b32_e32 v1, v8, v1
	v_and_b32_e32 v4, 0xffff, v4
	v_lshlrev_b32_e32 v6, 16, v6
	v_or_b32_e32 v3, v9, v3
	v_or3_b32 v2, 0, v2, v7
	v_or3_b32 v1, v1, 0, 0
	s_delay_alu instid0(VALU_DEP_4) | instskip(NEXT) | instid1(VALU_DEP_4)
	v_or3_b32 v4, 0, v4, v6
	v_or3_b32 v3, v3, 0, 0
	s_clause 0x1
	global_store_b64 v5, v[1:2], s[12:13]
	global_store_b64 v5, v[3:4], s[12:13] offset:2048
.LBB162_2:
	s_and_not1_b32 vcc_lo, exec_lo, s0
	s_cbranch_vccnz .LBB162_26
; %bb.3:
	v_cmp_gt_i32_e32 vcc_lo, s2, v0
	v_dual_mov_b32 v3, 0 :: v_dual_mov_b32 v6, 0
	v_or_b32_e32 v1, s8, v0
	v_or_b32_e32 v4, 0x100, v0
	v_dual_mov_b32 v7, 0 :: v_dual_mov_b32 v2, v0
	s_and_saveexec_b32 s1, vcc_lo
	s_cbranch_execz .LBB162_5
; %bb.4:
	v_mov_b32_e32 v2, 0
	s_delay_alu instid0(VALU_DEP_1) | instskip(SKIP_1) | instid1(VALU_DEP_2)
	v_lshlrev_b64 v[5:6], 1, v[1:2]
	v_or_b32_e32 v2, 0x100, v0
	v_add_co_u32 v5, s0, s6, v5
	s_delay_alu instid0(VALU_DEP_1)
	v_add_co_ci_u32_e64 v6, s0, s7, v6, s0
	global_load_u8 v7, v1, s[10:11]
	global_load_u16 v5, v[5:6], off
	s_waitcnt vmcnt(1)
	v_cvt_f32_ubyte0_e32 v7, v7
	s_waitcnt vmcnt(0)
	v_cvt_f32_f16_e32 v6, v5
.LBB162_5:
	s_or_b32 exec_lo, exec_lo, s1
	v_mov_b32_e32 v9, 0
	s_mov_b32 s1, exec_lo
	v_cmpx_gt_i32_e64 s2, v2
	s_cbranch_execz .LBB162_7
; %bb.6:
	v_dual_mov_b32 v9, 0 :: v_dual_add_nc_u32 v8, s8, v2
	v_add_nc_u32_e32 v2, 0x100, v2
	s_delay_alu instid0(VALU_DEP_2) | instskip(NEXT) | instid1(VALU_DEP_1)
	v_lshlrev_b64 v[9:10], 1, v[8:9]
	v_add_co_u32 v9, s0, s6, v9
	s_delay_alu instid0(VALU_DEP_1)
	v_add_co_ci_u32_e64 v10, s0, s7, v10, s0
	global_load_u8 v3, v8, s[10:11]
	global_load_u16 v5, v[9:10], off
	s_waitcnt vmcnt(1)
	v_cvt_f32_ubyte0_e32 v9, v3
	s_waitcnt vmcnt(0)
	v_cvt_f32_f16_e32 v3, v5
.LBB162_7:
	s_or_b32 exec_lo, exec_lo, s1
	v_dual_mov_b32 v5, 0 :: v_dual_mov_b32 v10, 0
	v_mov_b32_e32 v11, 0
	s_mov_b32 s1, exec_lo
	v_cmpx_gt_i32_e64 s2, v2
	s_cbranch_execz .LBB162_9
; %bb.8:
	v_dual_mov_b32 v11, 0 :: v_dual_add_nc_u32 v10, s8, v2
	v_add_nc_u32_e32 v2, 0x100, v2
	s_delay_alu instid0(VALU_DEP_2) | instskip(NEXT) | instid1(VALU_DEP_1)
	v_lshlrev_b64 v[11:12], 1, v[10:11]
	v_add_co_u32 v11, s0, s6, v11
	s_delay_alu instid0(VALU_DEP_1)
	v_add_co_ci_u32_e64 v12, s0, s7, v12, s0
	global_load_u8 v8, v10, s[10:11]
	global_load_u16 v10, v[11:12], off
	s_waitcnt vmcnt(1)
	v_cvt_f32_ubyte0_e32 v11, v8
	s_waitcnt vmcnt(0)
	v_cvt_f32_f16_e32 v10, v10
.LBB162_9:
	s_or_b32 exec_lo, exec_lo, s1
	v_mov_b32_e32 v13, 0
	s_mov_b32 s1, exec_lo
	v_cmpx_gt_i32_e64 s2, v2
	s_cbranch_execz .LBB162_11
; %bb.10:
	v_dual_mov_b32 v13, 0 :: v_dual_add_nc_u32 v12, s8, v2
	v_add_nc_u32_e32 v2, 0x100, v2
	s_delay_alu instid0(VALU_DEP_2) | instskip(NEXT) | instid1(VALU_DEP_1)
	v_lshlrev_b64 v[13:14], 1, v[12:13]
	v_add_co_u32 v13, s0, s6, v13
	s_delay_alu instid0(VALU_DEP_1)
	v_add_co_ci_u32_e64 v14, s0, s7, v14, s0
	global_load_u8 v5, v12, s[10:11]
	global_load_u16 v8, v[13:14], off
	s_waitcnt vmcnt(1)
	v_cvt_f32_ubyte0_e32 v13, v5
	s_waitcnt vmcnt(0)
	v_cvt_f32_f16_e32 v5, v8
.LBB162_11:
	s_or_b32 exec_lo, exec_lo, s1
	v_dual_mov_b32 v8, 0 :: v_dual_mov_b32 v15, 0
	v_mov_b32_e32 v14, 0
	s_mov_b32 s1, exec_lo
	v_cmpx_gt_i32_e64 s2, v2
	s_cbranch_execz .LBB162_13
; %bb.12:
	v_dual_mov_b32 v15, 0 :: v_dual_add_nc_u32 v14, s8, v2
	v_add_nc_u32_e32 v2, 0x100, v2
	s_delay_alu instid0(VALU_DEP_2) | instskip(NEXT) | instid1(VALU_DEP_1)
	v_lshlrev_b64 v[15:16], 1, v[14:15]
	v_add_co_u32 v15, s0, s6, v15
	s_delay_alu instid0(VALU_DEP_1)
	v_add_co_ci_u32_e64 v16, s0, s7, v16, s0
	global_load_u8 v12, v14, s[10:11]
	global_load_u16 v14, v[15:16], off
	s_waitcnt vmcnt(1)
	v_cvt_f32_ubyte0_e32 v15, v12
	s_waitcnt vmcnt(0)
	v_cvt_f32_f16_e32 v14, v14
.LBB162_13:
	s_or_b32 exec_lo, exec_lo, s1
	v_mov_b32_e32 v16, 0
	s_mov_b32 s1, exec_lo
	v_cmpx_gt_i32_e64 s2, v2
	s_cbranch_execz .LBB162_15
; %bb.14:
	v_dual_mov_b32 v17, 0 :: v_dual_add_nc_u32 v16, s8, v2
	v_add_nc_u32_e32 v2, 0x100, v2
	s_delay_alu instid0(VALU_DEP_2) | instskip(NEXT) | instid1(VALU_DEP_1)
	v_lshlrev_b64 v[17:18], 1, v[16:17]
	v_add_co_u32 v17, s0, s6, v17
	s_delay_alu instid0(VALU_DEP_1)
	v_add_co_ci_u32_e64 v18, s0, s7, v18, s0
	global_load_u8 v8, v16, s[10:11]
	global_load_u16 v12, v[17:18], off
	s_waitcnt vmcnt(1)
	v_cvt_f32_ubyte0_e32 v16, v8
	s_waitcnt vmcnt(0)
	v_cvt_f32_f16_e32 v8, v12
.LBB162_15:
	s_or_b32 exec_lo, exec_lo, s1
	v_dual_mov_b32 v12, 0 :: v_dual_mov_b32 v17, 0
	v_mov_b32_e32 v18, 0
	s_mov_b32 s1, exec_lo
	v_cmpx_gt_i32_e64 s2, v2
	s_cbranch_execnz .LBB162_27
; %bb.16:
	s_or_b32 exec_lo, exec_lo, s1
	s_delay_alu instid0(SALU_CYCLE_1)
	s_mov_b32 s1, exec_lo
	v_cmpx_gt_i32_e64 s2, v2
	s_cbranch_execnz .LBB162_28
.LBB162_17:
	s_or_b32 exec_lo, exec_lo, s1
	s_and_saveexec_b32 s0, vcc_lo
	s_cbranch_execnz .LBB162_29
.LBB162_18:
	s_or_b32 exec_lo, exec_lo, s0
	s_delay_alu instid0(SALU_CYCLE_1)
	s_mov_b32 s0, exec_lo
	v_cmpx_gt_i32_e64 s2, v0
	s_cbranch_execnz .LBB162_30
.LBB162_19:
	s_or_b32 exec_lo, exec_lo, s0
	s_delay_alu instid0(SALU_CYCLE_1)
	s_mov_b32 s0, exec_lo
	v_cmpx_gt_i32_e64 s2, v0
	s_cbranch_execnz .LBB162_31
.LBB162_20:
	s_or_b32 exec_lo, exec_lo, s0
	s_delay_alu instid0(SALU_CYCLE_1)
	s_mov_b32 s0, exec_lo
	v_cmpx_gt_i32_e64 s2, v0
	s_cbranch_execnz .LBB162_32
.LBB162_21:
	s_or_b32 exec_lo, exec_lo, s0
	s_delay_alu instid0(SALU_CYCLE_1)
	s_mov_b32 s0, exec_lo
	v_cmpx_gt_i32_e64 s2, v0
	s_cbranch_execnz .LBB162_33
.LBB162_22:
	s_or_b32 exec_lo, exec_lo, s0
	s_delay_alu instid0(SALU_CYCLE_1)
	s_mov_b32 s0, exec_lo
	v_cmpx_gt_i32_e64 s2, v0
	s_cbranch_execnz .LBB162_34
.LBB162_23:
	s_or_b32 exec_lo, exec_lo, s0
	s_delay_alu instid0(SALU_CYCLE_1)
	s_mov_b32 s0, exec_lo
	v_cmpx_gt_i32_e64 s2, v0
	s_cbranch_execnz .LBB162_35
.LBB162_24:
	s_or_b32 exec_lo, exec_lo, s0
	s_delay_alu instid0(SALU_CYCLE_1)
	s_mov_b32 s0, exec_lo
	v_cmpx_gt_i32_e64 s2, v0
	s_cbranch_execz .LBB162_26
.LBB162_25:
	v_dual_mov_b32 v1, 0 :: v_dual_add_nc_u32 v0, s8, v0
	v_fma_mixlo_f16 v2, v12, s3, 0
	s_delay_alu instid0(VALU_DEP_2) | instskip(NEXT) | instid1(VALU_DEP_1)
	v_lshlrev_b64 v[0:1], 1, v[0:1]
	v_add_co_u32 v0, vcc_lo, s4, v0
	s_delay_alu instid0(VALU_DEP_2)
	v_add_co_ci_u32_e32 v1, vcc_lo, s5, v1, vcc_lo
	global_store_b16 v[0:1], v2, off
.LBB162_26:
	s_nop 0
	s_sendmsg sendmsg(MSG_DEALLOC_VGPRS)
	s_endpgm
.LBB162_27:
	v_dual_mov_b32 v18, 0 :: v_dual_add_nc_u32 v17, s8, v2
	v_add_nc_u32_e32 v2, 0x100, v2
	s_delay_alu instid0(VALU_DEP_2) | instskip(NEXT) | instid1(VALU_DEP_1)
	v_lshlrev_b64 v[18:19], 1, v[17:18]
	v_add_co_u32 v18, s0, s6, v18
	s_delay_alu instid0(VALU_DEP_1)
	v_add_co_ci_u32_e64 v19, s0, s7, v19, s0
	global_load_u8 v17, v17, s[10:11]
	global_load_u16 v19, v[18:19], off
	s_waitcnt vmcnt(1)
	v_cvt_f32_ubyte0_e32 v18, v17
	s_waitcnt vmcnt(0)
	v_cvt_f32_f16_e32 v17, v19
	s_or_b32 exec_lo, exec_lo, s1
	s_delay_alu instid0(SALU_CYCLE_1)
	s_mov_b32 s1, exec_lo
	v_cmpx_gt_i32_e64 s2, v2
	s_cbranch_execz .LBB162_17
.LBB162_28:
	v_dual_mov_b32 v20, 0 :: v_dual_add_nc_u32 v19, s8, v2
	s_delay_alu instid0(VALU_DEP_1) | instskip(NEXT) | instid1(VALU_DEP_1)
	v_lshlrev_b64 v[20:21], 1, v[19:20]
	v_add_co_u32 v20, s0, s6, v20
	s_delay_alu instid0(VALU_DEP_1)
	v_add_co_ci_u32_e64 v21, s0, s7, v21, s0
	global_load_u8 v2, v19, s[10:11]
	global_load_u16 v12, v[20:21], off
	s_waitcnt vmcnt(1)
	v_cvt_f32_ubyte0_e32 v2, v2
	s_waitcnt vmcnt(0)
	v_cvt_f32_f16_e32 v12, v12
	s_delay_alu instid0(VALU_DEP_1)
	v_mul_f32_e32 v12, v12, v2
	s_or_b32 exec_lo, exec_lo, s1
	s_and_saveexec_b32 s0, vcc_lo
	s_cbranch_execz .LBB162_18
.LBB162_29:
	v_mov_b32_e32 v2, 0
	v_mul_f32_e32 v6, v6, v7
	s_delay_alu instid0(VALU_DEP_2) | instskip(NEXT) | instid1(VALU_DEP_2)
	v_lshlrev_b64 v[0:1], 1, v[1:2]
	v_fma_mixlo_f16 v2, v6, s3, 0
	s_delay_alu instid0(VALU_DEP_2) | instskip(NEXT) | instid1(VALU_DEP_3)
	v_add_co_u32 v6, vcc_lo, s4, v0
	v_add_co_ci_u32_e32 v7, vcc_lo, s5, v1, vcc_lo
	v_mov_b32_e32 v0, v4
	global_store_b16 v[6:7], v2, off
	s_or_b32 exec_lo, exec_lo, s0
	s_delay_alu instid0(SALU_CYCLE_1)
	s_mov_b32 s0, exec_lo
	v_cmpx_gt_i32_e64 s2, v0
	s_cbranch_execz .LBB162_19
.LBB162_30:
	v_dual_mov_b32 v2, 0 :: v_dual_add_nc_u32 v1, s8, v0
	v_dual_mul_f32 v3, v3, v9 :: v_dual_add_nc_u32 v0, 0x100, v0
	s_delay_alu instid0(VALU_DEP_2) | instskip(NEXT) | instid1(VALU_DEP_2)
	v_lshlrev_b64 v[1:2], 1, v[1:2]
	v_fma_mixlo_f16 v3, v3, s3, 0
	s_delay_alu instid0(VALU_DEP_2) | instskip(NEXT) | instid1(VALU_DEP_3)
	v_add_co_u32 v1, vcc_lo, s4, v1
	v_add_co_ci_u32_e32 v2, vcc_lo, s5, v2, vcc_lo
	global_store_b16 v[1:2], v3, off
	s_or_b32 exec_lo, exec_lo, s0
	s_delay_alu instid0(SALU_CYCLE_1)
	s_mov_b32 s0, exec_lo
	v_cmpx_gt_i32_e64 s2, v0
	s_cbranch_execz .LBB162_20
.LBB162_31:
	v_dual_mov_b32 v2, 0 :: v_dual_add_nc_u32 v1, s8, v0
	v_dual_mul_f32 v3, v10, v11 :: v_dual_add_nc_u32 v0, 0x100, v0
	s_delay_alu instid0(VALU_DEP_2) | instskip(NEXT) | instid1(VALU_DEP_2)
	v_lshlrev_b64 v[1:2], 1, v[1:2]
	v_fma_mixlo_f16 v3, v3, s3, 0
	s_delay_alu instid0(VALU_DEP_2) | instskip(NEXT) | instid1(VALU_DEP_3)
	v_add_co_u32 v1, vcc_lo, s4, v1
	v_add_co_ci_u32_e32 v2, vcc_lo, s5, v2, vcc_lo
	global_store_b16 v[1:2], v3, off
	s_or_b32 exec_lo, exec_lo, s0
	s_delay_alu instid0(SALU_CYCLE_1)
	s_mov_b32 s0, exec_lo
	v_cmpx_gt_i32_e64 s2, v0
	s_cbranch_execz .LBB162_21
.LBB162_32:
	v_dual_mov_b32 v2, 0 :: v_dual_add_nc_u32 v1, s8, v0
	v_dual_mul_f32 v3, v5, v13 :: v_dual_add_nc_u32 v0, 0x100, v0
	s_delay_alu instid0(VALU_DEP_2) | instskip(NEXT) | instid1(VALU_DEP_2)
	v_lshlrev_b64 v[1:2], 1, v[1:2]
	v_fma_mixlo_f16 v3, v3, s3, 0
	s_delay_alu instid0(VALU_DEP_2) | instskip(NEXT) | instid1(VALU_DEP_3)
	v_add_co_u32 v1, vcc_lo, s4, v1
	v_add_co_ci_u32_e32 v2, vcc_lo, s5, v2, vcc_lo
	global_store_b16 v[1:2], v3, off
	s_or_b32 exec_lo, exec_lo, s0
	s_delay_alu instid0(SALU_CYCLE_1)
	s_mov_b32 s0, exec_lo
	v_cmpx_gt_i32_e64 s2, v0
	s_cbranch_execz .LBB162_22
.LBB162_33:
	v_dual_mov_b32 v2, 0 :: v_dual_add_nc_u32 v1, s8, v0
	v_dual_mul_f32 v3, v14, v15 :: v_dual_add_nc_u32 v0, 0x100, v0
	s_delay_alu instid0(VALU_DEP_2) | instskip(NEXT) | instid1(VALU_DEP_2)
	v_lshlrev_b64 v[1:2], 1, v[1:2]
	v_fma_mixlo_f16 v3, v3, s3, 0
	s_delay_alu instid0(VALU_DEP_2) | instskip(NEXT) | instid1(VALU_DEP_3)
	v_add_co_u32 v1, vcc_lo, s4, v1
	v_add_co_ci_u32_e32 v2, vcc_lo, s5, v2, vcc_lo
	global_store_b16 v[1:2], v3, off
	s_or_b32 exec_lo, exec_lo, s0
	s_delay_alu instid0(SALU_CYCLE_1)
	s_mov_b32 s0, exec_lo
	v_cmpx_gt_i32_e64 s2, v0
	s_cbranch_execz .LBB162_23
.LBB162_34:
	v_dual_mov_b32 v2, 0 :: v_dual_add_nc_u32 v1, s8, v0
	v_mul_f32_e32 v3, v8, v16
	v_add_nc_u32_e32 v0, 0x100, v0
	s_delay_alu instid0(VALU_DEP_3) | instskip(NEXT) | instid1(VALU_DEP_3)
	v_lshlrev_b64 v[1:2], 1, v[1:2]
	v_fma_mixlo_f16 v3, v3, s3, 0
	s_delay_alu instid0(VALU_DEP_2) | instskip(NEXT) | instid1(VALU_DEP_3)
	v_add_co_u32 v1, vcc_lo, s4, v1
	v_add_co_ci_u32_e32 v2, vcc_lo, s5, v2, vcc_lo
	global_store_b16 v[1:2], v3, off
	s_or_b32 exec_lo, exec_lo, s0
	s_delay_alu instid0(SALU_CYCLE_1)
	s_mov_b32 s0, exec_lo
	v_cmpx_gt_i32_e64 s2, v0
	s_cbranch_execz .LBB162_24
.LBB162_35:
	v_dual_mov_b32 v2, 0 :: v_dual_add_nc_u32 v1, s8, v0
	v_dual_mul_f32 v3, v17, v18 :: v_dual_add_nc_u32 v0, 0x100, v0
	s_delay_alu instid0(VALU_DEP_2) | instskip(NEXT) | instid1(VALU_DEP_2)
	v_lshlrev_b64 v[1:2], 1, v[1:2]
	v_fma_mixlo_f16 v3, v3, s3, 0
	s_delay_alu instid0(VALU_DEP_2) | instskip(NEXT) | instid1(VALU_DEP_3)
	v_add_co_u32 v1, vcc_lo, s4, v1
	v_add_co_ci_u32_e32 v2, vcc_lo, s5, v2, vcc_lo
	global_store_b16 v[1:2], v3, off
	s_or_b32 exec_lo, exec_lo, s0
	s_delay_alu instid0(SALU_CYCLE_1)
	s_mov_b32 s0, exec_lo
	v_cmpx_gt_i32_e64 s2, v0
	s_cbranch_execnz .LBB162_25
	s_branch .LBB162_26
	.section	.rodata,"a",@progbits
	.p2align	6, 0x0
	.amdhsa_kernel _ZN2at6native29vectorized_elementwise_kernelILi4EZNS0_12_GLOBAL__N_119masked_scale_kernelIhN3c104HalfEfEEvRNS_6TensorERKS6_S9_T1_EUlS5_hE_St5arrayIPcLm3EEEEviT0_SA_
		.amdhsa_group_segment_fixed_size 0
		.amdhsa_private_segment_fixed_size 0
		.amdhsa_kernarg_size 32
		.amdhsa_user_sgpr_count 15
		.amdhsa_user_sgpr_dispatch_ptr 0
		.amdhsa_user_sgpr_queue_ptr 0
		.amdhsa_user_sgpr_kernarg_segment_ptr 1
		.amdhsa_user_sgpr_dispatch_id 0
		.amdhsa_user_sgpr_private_segment_size 0
		.amdhsa_wavefront_size32 1
		.amdhsa_uses_dynamic_stack 0
		.amdhsa_enable_private_segment 0
		.amdhsa_system_sgpr_workgroup_id_x 1
		.amdhsa_system_sgpr_workgroup_id_y 0
		.amdhsa_system_sgpr_workgroup_id_z 0
		.amdhsa_system_sgpr_workgroup_info 0
		.amdhsa_system_vgpr_workitem_id 0
		.amdhsa_next_free_vgpr 22
		.amdhsa_next_free_sgpr 16
		.amdhsa_reserve_vcc 1
		.amdhsa_float_round_mode_32 0
		.amdhsa_float_round_mode_16_64 0
		.amdhsa_float_denorm_mode_32 3
		.amdhsa_float_denorm_mode_16_64 3
		.amdhsa_dx10_clamp 1
		.amdhsa_ieee_mode 1
		.amdhsa_fp16_overflow 0
		.amdhsa_workgroup_processor_mode 1
		.amdhsa_memory_ordered 1
		.amdhsa_forward_progress 0
		.amdhsa_shared_vgpr_count 0
		.amdhsa_exception_fp_ieee_invalid_op 0
		.amdhsa_exception_fp_denorm_src 0
		.amdhsa_exception_fp_ieee_div_zero 0
		.amdhsa_exception_fp_ieee_overflow 0
		.amdhsa_exception_fp_ieee_underflow 0
		.amdhsa_exception_fp_ieee_inexact 0
		.amdhsa_exception_int_div_zero 0
	.end_amdhsa_kernel
	.section	.text._ZN2at6native29vectorized_elementwise_kernelILi4EZNS0_12_GLOBAL__N_119masked_scale_kernelIhN3c104HalfEfEEvRNS_6TensorERKS6_S9_T1_EUlS5_hE_St5arrayIPcLm3EEEEviT0_SA_,"axG",@progbits,_ZN2at6native29vectorized_elementwise_kernelILi4EZNS0_12_GLOBAL__N_119masked_scale_kernelIhN3c104HalfEfEEvRNS_6TensorERKS6_S9_T1_EUlS5_hE_St5arrayIPcLm3EEEEviT0_SA_,comdat
.Lfunc_end162:
	.size	_ZN2at6native29vectorized_elementwise_kernelILi4EZNS0_12_GLOBAL__N_119masked_scale_kernelIhN3c104HalfEfEEvRNS_6TensorERKS6_S9_T1_EUlS5_hE_St5arrayIPcLm3EEEEviT0_SA_, .Lfunc_end162-_ZN2at6native29vectorized_elementwise_kernelILi4EZNS0_12_GLOBAL__N_119masked_scale_kernelIhN3c104HalfEfEEvRNS_6TensorERKS6_S9_T1_EUlS5_hE_St5arrayIPcLm3EEEEviT0_SA_
                                        ; -- End function
	.section	.AMDGPU.csdata,"",@progbits
; Kernel info:
; codeLenInByte = 2216
; NumSgprs: 18
; NumVgprs: 22
; ScratchSize: 0
; MemoryBound: 0
; FloatMode: 240
; IeeeMode: 1
; LDSByteSize: 0 bytes/workgroup (compile time only)
; SGPRBlocks: 2
; VGPRBlocks: 2
; NumSGPRsForWavesPerEU: 18
; NumVGPRsForWavesPerEU: 22
; Occupancy: 16
; WaveLimiterHint : 1
; COMPUTE_PGM_RSRC2:SCRATCH_EN: 0
; COMPUTE_PGM_RSRC2:USER_SGPR: 15
; COMPUTE_PGM_RSRC2:TRAP_HANDLER: 0
; COMPUTE_PGM_RSRC2:TGID_X_EN: 1
; COMPUTE_PGM_RSRC2:TGID_Y_EN: 0
; COMPUTE_PGM_RSRC2:TGID_Z_EN: 0
; COMPUTE_PGM_RSRC2:TIDIG_COMP_CNT: 0
	.section	.text._ZN2at6native29vectorized_elementwise_kernelILi2EZNS0_12_GLOBAL__N_119masked_scale_kernelIhN3c104HalfEfEEvRNS_6TensorERKS6_S9_T1_EUlS5_hE_St5arrayIPcLm3EEEEviT0_SA_,"axG",@progbits,_ZN2at6native29vectorized_elementwise_kernelILi2EZNS0_12_GLOBAL__N_119masked_scale_kernelIhN3c104HalfEfEEvRNS_6TensorERKS6_S9_T1_EUlS5_hE_St5arrayIPcLm3EEEEviT0_SA_,comdat
	.globl	_ZN2at6native29vectorized_elementwise_kernelILi2EZNS0_12_GLOBAL__N_119masked_scale_kernelIhN3c104HalfEfEEvRNS_6TensorERKS6_S9_T1_EUlS5_hE_St5arrayIPcLm3EEEEviT0_SA_ ; -- Begin function _ZN2at6native29vectorized_elementwise_kernelILi2EZNS0_12_GLOBAL__N_119masked_scale_kernelIhN3c104HalfEfEEvRNS_6TensorERKS6_S9_T1_EUlS5_hE_St5arrayIPcLm3EEEEviT0_SA_
	.p2align	8
	.type	_ZN2at6native29vectorized_elementwise_kernelILi2EZNS0_12_GLOBAL__N_119masked_scale_kernelIhN3c104HalfEfEEvRNS_6TensorERKS6_S9_T1_EUlS5_hE_St5arrayIPcLm3EEEEviT0_SA_,@function
_ZN2at6native29vectorized_elementwise_kernelILi2EZNS0_12_GLOBAL__N_119masked_scale_kernelIhN3c104HalfEfEEvRNS_6TensorERKS6_S9_T1_EUlS5_hE_St5arrayIPcLm3EEEEviT0_SA_: ; @_ZN2at6native29vectorized_elementwise_kernelILi2EZNS0_12_GLOBAL__N_119masked_scale_kernelIhN3c104HalfEfEEvRNS_6TensorERKS6_S9_T1_EUlS5_hE_St5arrayIPcLm3EEEEviT0_SA_
; %bb.0:
	s_clause 0x2
	s_load_b64 s[2:3], s[0:1], 0x0
	s_load_b128 s[4:7], s[0:1], 0x8
	s_load_b64 s[10:11], s[0:1], 0x18
	s_lshl_b32 s8, s15, 11
	s_mov_b32 s0, -1
	s_waitcnt lgkmcnt(0)
	s_sub_i32 s2, s2, s8
	s_delay_alu instid0(SALU_CYCLE_1)
	s_cmpk_gt_i32 s2, 0x7ff
	s_cbranch_scc0 .LBB163_2
; %bb.1:
	s_ashr_i32 s9, s8, 31
	v_lshlrev_b32_e32 v1, 2, v0
	s_lshl_b64 s[0:1], s[8:9], 1
	s_delay_alu instid0(SALU_CYCLE_1)
	s_add_u32 s12, s6, s0
	s_addc_u32 s13, s7, s1
	s_clause 0x3
	global_load_b32 v3, v1, s[12:13]
	global_load_b32 v4, v1, s[12:13] offset:1024
	global_load_b32 v5, v1, s[12:13] offset:2048
	;; [unrolled: 1-line block ×3, first 2 shown]
	s_add_u32 s12, s10, s8
	s_addc_u32 s13, s11, s9
	s_waitcnt vmcnt(3)
	v_lshrrev_b32_e32 v10, 16, v3
	v_cvt_f32_f16_e32 v3, v3
	v_lshlrev_b32_e32 v2, 1, v0
	s_waitcnt vmcnt(2)
	v_lshrrev_b32_e32 v11, 16, v4
	s_waitcnt vmcnt(1)
	v_lshrrev_b32_e32 v12, 16, v5
	s_clause 0x3
	global_load_u16 v7, v2, s[12:13]
	global_load_u16 v8, v2, s[12:13] offset:512
	global_load_u16 v9, v2, s[12:13] offset:1024
	;; [unrolled: 1-line block ×3, first 2 shown]
	s_waitcnt vmcnt(4)
	v_lshrrev_b32_e32 v13, 16, v6
	v_cvt_f32_f16_e32 v10, v10
	v_cvt_f32_f16_e32 v4, v4
	;; [unrolled: 1-line block ×7, first 2 shown]
	s_add_u32 s12, s4, s0
	s_addc_u32 s13, s5, s1
	s_mov_b32 s0, 0
	s_waitcnt vmcnt(3)
	v_cvt_f32_ubyte0_e32 v14, v7
	v_cvt_f32_ubyte1_e32 v7, v7
	s_waitcnt vmcnt(2)
	v_cvt_f32_ubyte0_e32 v15, v8
	v_cvt_f32_ubyte1_e32 v8, v8
	s_waitcnt vmcnt(1)
	v_cvt_f32_ubyte0_e32 v16, v9
	v_mul_f32_e32 v3, v3, v14
	v_cvt_f32_ubyte1_e32 v9, v9
	s_waitcnt vmcnt(0)
	v_cvt_f32_ubyte0_e32 v17, v2
	v_cvt_f32_ubyte1_e32 v2, v2
	v_dual_mul_f32 v7, v10, v7 :: v_dual_mul_f32 v8, v11, v8
	v_dual_mul_f32 v4, v4, v15 :: v_dual_mul_f32 v5, v5, v16
	s_delay_alu instid0(VALU_DEP_4) | instskip(NEXT) | instid1(VALU_DEP_4)
	v_mul_f32_e32 v6, v6, v17
	v_dual_mul_f32 v9, v12, v9 :: v_dual_mul_f32 v2, v13, v2
	v_fma_mixlo_f16 v3, v3, s3, 0
	v_fma_mixlo_f16 v7, v7, s3, 0
	;; [unrolled: 1-line block ×8, first 2 shown]
	v_and_b32_e32 v3, 0xffff, v3
	v_lshlrev_b32_e32 v7, 16, v7
	v_and_b32_e32 v4, 0xffff, v4
	v_lshlrev_b32_e32 v8, 16, v8
	;; [unrolled: 2-line block ×4, first 2 shown]
	v_or_b32_e32 v3, v7, v3
	v_or_b32_e32 v4, v8, v4
	;; [unrolled: 1-line block ×3, first 2 shown]
	s_delay_alu instid0(VALU_DEP_4)
	v_or_b32_e32 v2, v2, v6
	s_clause 0x3
	global_store_b32 v1, v3, s[12:13]
	global_store_b32 v1, v4, s[12:13] offset:1024
	global_store_b32 v1, v5, s[12:13] offset:2048
	;; [unrolled: 1-line block ×3, first 2 shown]
.LBB163_2:
	s_and_not1_b32 vcc_lo, exec_lo, s0
	s_cbranch_vccnz .LBB163_26
; %bb.3:
	v_cmp_gt_i32_e32 vcc_lo, s2, v0
	v_dual_mov_b32 v3, 0 :: v_dual_mov_b32 v6, 0
	v_or_b32_e32 v1, s8, v0
	v_or_b32_e32 v4, 0x100, v0
	v_dual_mov_b32 v7, 0 :: v_dual_mov_b32 v2, v0
	s_and_saveexec_b32 s1, vcc_lo
	s_cbranch_execz .LBB163_5
; %bb.4:
	v_mov_b32_e32 v2, 0
	s_delay_alu instid0(VALU_DEP_1) | instskip(SKIP_1) | instid1(VALU_DEP_2)
	v_lshlrev_b64 v[5:6], 1, v[1:2]
	v_or_b32_e32 v2, 0x100, v0
	v_add_co_u32 v5, s0, s6, v5
	s_delay_alu instid0(VALU_DEP_1)
	v_add_co_ci_u32_e64 v6, s0, s7, v6, s0
	global_load_u8 v7, v1, s[10:11]
	global_load_u16 v5, v[5:6], off
	s_waitcnt vmcnt(1)
	v_cvt_f32_ubyte0_e32 v7, v7
	s_waitcnt vmcnt(0)
	v_cvt_f32_f16_e32 v6, v5
.LBB163_5:
	s_or_b32 exec_lo, exec_lo, s1
	v_mov_b32_e32 v9, 0
	s_mov_b32 s1, exec_lo
	v_cmpx_gt_i32_e64 s2, v2
	s_cbranch_execz .LBB163_7
; %bb.6:
	v_dual_mov_b32 v9, 0 :: v_dual_add_nc_u32 v8, s8, v2
	v_add_nc_u32_e32 v2, 0x100, v2
	s_delay_alu instid0(VALU_DEP_2) | instskip(NEXT) | instid1(VALU_DEP_1)
	v_lshlrev_b64 v[9:10], 1, v[8:9]
	v_add_co_u32 v9, s0, s6, v9
	s_delay_alu instid0(VALU_DEP_1)
	v_add_co_ci_u32_e64 v10, s0, s7, v10, s0
	global_load_u8 v3, v8, s[10:11]
	global_load_u16 v5, v[9:10], off
	s_waitcnt vmcnt(1)
	v_cvt_f32_ubyte0_e32 v9, v3
	s_waitcnt vmcnt(0)
	v_cvt_f32_f16_e32 v3, v5
.LBB163_7:
	s_or_b32 exec_lo, exec_lo, s1
	v_dual_mov_b32 v5, 0 :: v_dual_mov_b32 v10, 0
	v_mov_b32_e32 v11, 0
	s_mov_b32 s1, exec_lo
	v_cmpx_gt_i32_e64 s2, v2
	s_cbranch_execz .LBB163_9
; %bb.8:
	v_dual_mov_b32 v11, 0 :: v_dual_add_nc_u32 v10, s8, v2
	v_add_nc_u32_e32 v2, 0x100, v2
	s_delay_alu instid0(VALU_DEP_2) | instskip(NEXT) | instid1(VALU_DEP_1)
	v_lshlrev_b64 v[11:12], 1, v[10:11]
	v_add_co_u32 v11, s0, s6, v11
	s_delay_alu instid0(VALU_DEP_1)
	v_add_co_ci_u32_e64 v12, s0, s7, v12, s0
	global_load_u8 v8, v10, s[10:11]
	global_load_u16 v10, v[11:12], off
	s_waitcnt vmcnt(1)
	v_cvt_f32_ubyte0_e32 v11, v8
	s_waitcnt vmcnt(0)
	v_cvt_f32_f16_e32 v10, v10
.LBB163_9:
	s_or_b32 exec_lo, exec_lo, s1
	v_mov_b32_e32 v13, 0
	s_mov_b32 s1, exec_lo
	v_cmpx_gt_i32_e64 s2, v2
	s_cbranch_execz .LBB163_11
; %bb.10:
	v_dual_mov_b32 v13, 0 :: v_dual_add_nc_u32 v12, s8, v2
	v_add_nc_u32_e32 v2, 0x100, v2
	s_delay_alu instid0(VALU_DEP_2) | instskip(NEXT) | instid1(VALU_DEP_1)
	v_lshlrev_b64 v[13:14], 1, v[12:13]
	v_add_co_u32 v13, s0, s6, v13
	s_delay_alu instid0(VALU_DEP_1)
	v_add_co_ci_u32_e64 v14, s0, s7, v14, s0
	global_load_u8 v5, v12, s[10:11]
	global_load_u16 v8, v[13:14], off
	s_waitcnt vmcnt(1)
	v_cvt_f32_ubyte0_e32 v13, v5
	s_waitcnt vmcnt(0)
	v_cvt_f32_f16_e32 v5, v8
.LBB163_11:
	s_or_b32 exec_lo, exec_lo, s1
	v_dual_mov_b32 v8, 0 :: v_dual_mov_b32 v15, 0
	v_mov_b32_e32 v14, 0
	s_mov_b32 s1, exec_lo
	v_cmpx_gt_i32_e64 s2, v2
	s_cbranch_execz .LBB163_13
; %bb.12:
	v_dual_mov_b32 v15, 0 :: v_dual_add_nc_u32 v14, s8, v2
	v_add_nc_u32_e32 v2, 0x100, v2
	s_delay_alu instid0(VALU_DEP_2) | instskip(NEXT) | instid1(VALU_DEP_1)
	v_lshlrev_b64 v[15:16], 1, v[14:15]
	v_add_co_u32 v15, s0, s6, v15
	s_delay_alu instid0(VALU_DEP_1)
	v_add_co_ci_u32_e64 v16, s0, s7, v16, s0
	global_load_u8 v12, v14, s[10:11]
	global_load_u16 v14, v[15:16], off
	s_waitcnt vmcnt(1)
	v_cvt_f32_ubyte0_e32 v15, v12
	s_waitcnt vmcnt(0)
	v_cvt_f32_f16_e32 v14, v14
.LBB163_13:
	s_or_b32 exec_lo, exec_lo, s1
	v_mov_b32_e32 v16, 0
	s_mov_b32 s1, exec_lo
	v_cmpx_gt_i32_e64 s2, v2
	s_cbranch_execz .LBB163_15
; %bb.14:
	v_dual_mov_b32 v17, 0 :: v_dual_add_nc_u32 v16, s8, v2
	v_add_nc_u32_e32 v2, 0x100, v2
	s_delay_alu instid0(VALU_DEP_2) | instskip(NEXT) | instid1(VALU_DEP_1)
	v_lshlrev_b64 v[17:18], 1, v[16:17]
	v_add_co_u32 v17, s0, s6, v17
	s_delay_alu instid0(VALU_DEP_1)
	v_add_co_ci_u32_e64 v18, s0, s7, v18, s0
	global_load_u8 v8, v16, s[10:11]
	global_load_u16 v12, v[17:18], off
	s_waitcnt vmcnt(1)
	v_cvt_f32_ubyte0_e32 v16, v8
	s_waitcnt vmcnt(0)
	v_cvt_f32_f16_e32 v8, v12
.LBB163_15:
	s_or_b32 exec_lo, exec_lo, s1
	v_dual_mov_b32 v12, 0 :: v_dual_mov_b32 v17, 0
	v_mov_b32_e32 v18, 0
	s_mov_b32 s1, exec_lo
	v_cmpx_gt_i32_e64 s2, v2
	s_cbranch_execnz .LBB163_27
; %bb.16:
	s_or_b32 exec_lo, exec_lo, s1
	s_delay_alu instid0(SALU_CYCLE_1)
	s_mov_b32 s1, exec_lo
	v_cmpx_gt_i32_e64 s2, v2
	s_cbranch_execnz .LBB163_28
.LBB163_17:
	s_or_b32 exec_lo, exec_lo, s1
	s_and_saveexec_b32 s0, vcc_lo
	s_cbranch_execnz .LBB163_29
.LBB163_18:
	s_or_b32 exec_lo, exec_lo, s0
	s_delay_alu instid0(SALU_CYCLE_1)
	s_mov_b32 s0, exec_lo
	v_cmpx_gt_i32_e64 s2, v0
	s_cbranch_execnz .LBB163_30
.LBB163_19:
	s_or_b32 exec_lo, exec_lo, s0
	s_delay_alu instid0(SALU_CYCLE_1)
	s_mov_b32 s0, exec_lo
	v_cmpx_gt_i32_e64 s2, v0
	s_cbranch_execnz .LBB163_31
.LBB163_20:
	s_or_b32 exec_lo, exec_lo, s0
	s_delay_alu instid0(SALU_CYCLE_1)
	s_mov_b32 s0, exec_lo
	v_cmpx_gt_i32_e64 s2, v0
	s_cbranch_execnz .LBB163_32
.LBB163_21:
	s_or_b32 exec_lo, exec_lo, s0
	s_delay_alu instid0(SALU_CYCLE_1)
	s_mov_b32 s0, exec_lo
	v_cmpx_gt_i32_e64 s2, v0
	s_cbranch_execnz .LBB163_33
.LBB163_22:
	s_or_b32 exec_lo, exec_lo, s0
	s_delay_alu instid0(SALU_CYCLE_1)
	s_mov_b32 s0, exec_lo
	v_cmpx_gt_i32_e64 s2, v0
	s_cbranch_execnz .LBB163_34
.LBB163_23:
	s_or_b32 exec_lo, exec_lo, s0
	s_delay_alu instid0(SALU_CYCLE_1)
	s_mov_b32 s0, exec_lo
	v_cmpx_gt_i32_e64 s2, v0
	s_cbranch_execnz .LBB163_35
.LBB163_24:
	s_or_b32 exec_lo, exec_lo, s0
	s_delay_alu instid0(SALU_CYCLE_1)
	s_mov_b32 s0, exec_lo
	v_cmpx_gt_i32_e64 s2, v0
	s_cbranch_execz .LBB163_26
.LBB163_25:
	v_dual_mov_b32 v1, 0 :: v_dual_add_nc_u32 v0, s8, v0
	v_fma_mixlo_f16 v2, v12, s3, 0
	s_delay_alu instid0(VALU_DEP_2) | instskip(NEXT) | instid1(VALU_DEP_1)
	v_lshlrev_b64 v[0:1], 1, v[0:1]
	v_add_co_u32 v0, vcc_lo, s4, v0
	s_delay_alu instid0(VALU_DEP_2)
	v_add_co_ci_u32_e32 v1, vcc_lo, s5, v1, vcc_lo
	global_store_b16 v[0:1], v2, off
.LBB163_26:
	s_nop 0
	s_sendmsg sendmsg(MSG_DEALLOC_VGPRS)
	s_endpgm
.LBB163_27:
	v_dual_mov_b32 v18, 0 :: v_dual_add_nc_u32 v17, s8, v2
	v_add_nc_u32_e32 v2, 0x100, v2
	s_delay_alu instid0(VALU_DEP_2) | instskip(NEXT) | instid1(VALU_DEP_1)
	v_lshlrev_b64 v[18:19], 1, v[17:18]
	v_add_co_u32 v18, s0, s6, v18
	s_delay_alu instid0(VALU_DEP_1)
	v_add_co_ci_u32_e64 v19, s0, s7, v19, s0
	global_load_u8 v17, v17, s[10:11]
	global_load_u16 v19, v[18:19], off
	s_waitcnt vmcnt(1)
	v_cvt_f32_ubyte0_e32 v18, v17
	s_waitcnt vmcnt(0)
	v_cvt_f32_f16_e32 v17, v19
	s_or_b32 exec_lo, exec_lo, s1
	s_delay_alu instid0(SALU_CYCLE_1)
	s_mov_b32 s1, exec_lo
	v_cmpx_gt_i32_e64 s2, v2
	s_cbranch_execz .LBB163_17
.LBB163_28:
	v_dual_mov_b32 v20, 0 :: v_dual_add_nc_u32 v19, s8, v2
	s_delay_alu instid0(VALU_DEP_1) | instskip(NEXT) | instid1(VALU_DEP_1)
	v_lshlrev_b64 v[20:21], 1, v[19:20]
	v_add_co_u32 v20, s0, s6, v20
	s_delay_alu instid0(VALU_DEP_1)
	v_add_co_ci_u32_e64 v21, s0, s7, v21, s0
	global_load_u8 v2, v19, s[10:11]
	global_load_u16 v12, v[20:21], off
	s_waitcnt vmcnt(1)
	v_cvt_f32_ubyte0_e32 v2, v2
	s_waitcnt vmcnt(0)
	v_cvt_f32_f16_e32 v12, v12
	s_delay_alu instid0(VALU_DEP_1)
	v_mul_f32_e32 v12, v12, v2
	s_or_b32 exec_lo, exec_lo, s1
	s_and_saveexec_b32 s0, vcc_lo
	s_cbranch_execz .LBB163_18
.LBB163_29:
	v_mov_b32_e32 v2, 0
	v_mul_f32_e32 v6, v6, v7
	s_delay_alu instid0(VALU_DEP_2) | instskip(NEXT) | instid1(VALU_DEP_2)
	v_lshlrev_b64 v[0:1], 1, v[1:2]
	v_fma_mixlo_f16 v2, v6, s3, 0
	s_delay_alu instid0(VALU_DEP_2) | instskip(NEXT) | instid1(VALU_DEP_3)
	v_add_co_u32 v6, vcc_lo, s4, v0
	v_add_co_ci_u32_e32 v7, vcc_lo, s5, v1, vcc_lo
	v_mov_b32_e32 v0, v4
	global_store_b16 v[6:7], v2, off
	s_or_b32 exec_lo, exec_lo, s0
	s_delay_alu instid0(SALU_CYCLE_1)
	s_mov_b32 s0, exec_lo
	v_cmpx_gt_i32_e64 s2, v0
	s_cbranch_execz .LBB163_19
.LBB163_30:
	v_dual_mov_b32 v2, 0 :: v_dual_add_nc_u32 v1, s8, v0
	v_dual_mul_f32 v3, v3, v9 :: v_dual_add_nc_u32 v0, 0x100, v0
	s_delay_alu instid0(VALU_DEP_2) | instskip(NEXT) | instid1(VALU_DEP_2)
	v_lshlrev_b64 v[1:2], 1, v[1:2]
	v_fma_mixlo_f16 v3, v3, s3, 0
	s_delay_alu instid0(VALU_DEP_2) | instskip(NEXT) | instid1(VALU_DEP_3)
	v_add_co_u32 v1, vcc_lo, s4, v1
	v_add_co_ci_u32_e32 v2, vcc_lo, s5, v2, vcc_lo
	global_store_b16 v[1:2], v3, off
	s_or_b32 exec_lo, exec_lo, s0
	s_delay_alu instid0(SALU_CYCLE_1)
	s_mov_b32 s0, exec_lo
	v_cmpx_gt_i32_e64 s2, v0
	s_cbranch_execz .LBB163_20
.LBB163_31:
	v_dual_mov_b32 v2, 0 :: v_dual_add_nc_u32 v1, s8, v0
	v_dual_mul_f32 v3, v10, v11 :: v_dual_add_nc_u32 v0, 0x100, v0
	s_delay_alu instid0(VALU_DEP_2) | instskip(NEXT) | instid1(VALU_DEP_2)
	v_lshlrev_b64 v[1:2], 1, v[1:2]
	v_fma_mixlo_f16 v3, v3, s3, 0
	s_delay_alu instid0(VALU_DEP_2) | instskip(NEXT) | instid1(VALU_DEP_3)
	v_add_co_u32 v1, vcc_lo, s4, v1
	v_add_co_ci_u32_e32 v2, vcc_lo, s5, v2, vcc_lo
	global_store_b16 v[1:2], v3, off
	s_or_b32 exec_lo, exec_lo, s0
	s_delay_alu instid0(SALU_CYCLE_1)
	s_mov_b32 s0, exec_lo
	v_cmpx_gt_i32_e64 s2, v0
	s_cbranch_execz .LBB163_21
.LBB163_32:
	v_dual_mov_b32 v2, 0 :: v_dual_add_nc_u32 v1, s8, v0
	v_dual_mul_f32 v3, v5, v13 :: v_dual_add_nc_u32 v0, 0x100, v0
	s_delay_alu instid0(VALU_DEP_2) | instskip(NEXT) | instid1(VALU_DEP_2)
	v_lshlrev_b64 v[1:2], 1, v[1:2]
	v_fma_mixlo_f16 v3, v3, s3, 0
	s_delay_alu instid0(VALU_DEP_2) | instskip(NEXT) | instid1(VALU_DEP_3)
	v_add_co_u32 v1, vcc_lo, s4, v1
	v_add_co_ci_u32_e32 v2, vcc_lo, s5, v2, vcc_lo
	global_store_b16 v[1:2], v3, off
	s_or_b32 exec_lo, exec_lo, s0
	s_delay_alu instid0(SALU_CYCLE_1)
	s_mov_b32 s0, exec_lo
	v_cmpx_gt_i32_e64 s2, v0
	s_cbranch_execz .LBB163_22
.LBB163_33:
	v_dual_mov_b32 v2, 0 :: v_dual_add_nc_u32 v1, s8, v0
	v_dual_mul_f32 v3, v14, v15 :: v_dual_add_nc_u32 v0, 0x100, v0
	s_delay_alu instid0(VALU_DEP_2) | instskip(NEXT) | instid1(VALU_DEP_2)
	v_lshlrev_b64 v[1:2], 1, v[1:2]
	v_fma_mixlo_f16 v3, v3, s3, 0
	s_delay_alu instid0(VALU_DEP_2) | instskip(NEXT) | instid1(VALU_DEP_3)
	v_add_co_u32 v1, vcc_lo, s4, v1
	v_add_co_ci_u32_e32 v2, vcc_lo, s5, v2, vcc_lo
	global_store_b16 v[1:2], v3, off
	s_or_b32 exec_lo, exec_lo, s0
	s_delay_alu instid0(SALU_CYCLE_1)
	s_mov_b32 s0, exec_lo
	v_cmpx_gt_i32_e64 s2, v0
	s_cbranch_execz .LBB163_23
.LBB163_34:
	v_dual_mov_b32 v2, 0 :: v_dual_add_nc_u32 v1, s8, v0
	v_mul_f32_e32 v3, v8, v16
	v_add_nc_u32_e32 v0, 0x100, v0
	s_delay_alu instid0(VALU_DEP_3) | instskip(NEXT) | instid1(VALU_DEP_3)
	v_lshlrev_b64 v[1:2], 1, v[1:2]
	v_fma_mixlo_f16 v3, v3, s3, 0
	s_delay_alu instid0(VALU_DEP_2) | instskip(NEXT) | instid1(VALU_DEP_3)
	v_add_co_u32 v1, vcc_lo, s4, v1
	v_add_co_ci_u32_e32 v2, vcc_lo, s5, v2, vcc_lo
	global_store_b16 v[1:2], v3, off
	s_or_b32 exec_lo, exec_lo, s0
	s_delay_alu instid0(SALU_CYCLE_1)
	s_mov_b32 s0, exec_lo
	v_cmpx_gt_i32_e64 s2, v0
	s_cbranch_execz .LBB163_24
.LBB163_35:
	v_dual_mov_b32 v2, 0 :: v_dual_add_nc_u32 v1, s8, v0
	v_dual_mul_f32 v3, v17, v18 :: v_dual_add_nc_u32 v0, 0x100, v0
	s_delay_alu instid0(VALU_DEP_2) | instskip(NEXT) | instid1(VALU_DEP_2)
	v_lshlrev_b64 v[1:2], 1, v[1:2]
	v_fma_mixlo_f16 v3, v3, s3, 0
	s_delay_alu instid0(VALU_DEP_2) | instskip(NEXT) | instid1(VALU_DEP_3)
	v_add_co_u32 v1, vcc_lo, s4, v1
	v_add_co_ci_u32_e32 v2, vcc_lo, s5, v2, vcc_lo
	global_store_b16 v[1:2], v3, off
	s_or_b32 exec_lo, exec_lo, s0
	s_delay_alu instid0(SALU_CYCLE_1)
	s_mov_b32 s0, exec_lo
	v_cmpx_gt_i32_e64 s2, v0
	s_cbranch_execnz .LBB163_25
	s_branch .LBB163_26
	.section	.rodata,"a",@progbits
	.p2align	6, 0x0
	.amdhsa_kernel _ZN2at6native29vectorized_elementwise_kernelILi2EZNS0_12_GLOBAL__N_119masked_scale_kernelIhN3c104HalfEfEEvRNS_6TensorERKS6_S9_T1_EUlS5_hE_St5arrayIPcLm3EEEEviT0_SA_
		.amdhsa_group_segment_fixed_size 0
		.amdhsa_private_segment_fixed_size 0
		.amdhsa_kernarg_size 32
		.amdhsa_user_sgpr_count 15
		.amdhsa_user_sgpr_dispatch_ptr 0
		.amdhsa_user_sgpr_queue_ptr 0
		.amdhsa_user_sgpr_kernarg_segment_ptr 1
		.amdhsa_user_sgpr_dispatch_id 0
		.amdhsa_user_sgpr_private_segment_size 0
		.amdhsa_wavefront_size32 1
		.amdhsa_uses_dynamic_stack 0
		.amdhsa_enable_private_segment 0
		.amdhsa_system_sgpr_workgroup_id_x 1
		.amdhsa_system_sgpr_workgroup_id_y 0
		.amdhsa_system_sgpr_workgroup_id_z 0
		.amdhsa_system_sgpr_workgroup_info 0
		.amdhsa_system_vgpr_workitem_id 0
		.amdhsa_next_free_vgpr 22
		.amdhsa_next_free_sgpr 16
		.amdhsa_reserve_vcc 1
		.amdhsa_float_round_mode_32 0
		.amdhsa_float_round_mode_16_64 0
		.amdhsa_float_denorm_mode_32 3
		.amdhsa_float_denorm_mode_16_64 3
		.amdhsa_dx10_clamp 1
		.amdhsa_ieee_mode 1
		.amdhsa_fp16_overflow 0
		.amdhsa_workgroup_processor_mode 1
		.amdhsa_memory_ordered 1
		.amdhsa_forward_progress 0
		.amdhsa_shared_vgpr_count 0
		.amdhsa_exception_fp_ieee_invalid_op 0
		.amdhsa_exception_fp_denorm_src 0
		.amdhsa_exception_fp_ieee_div_zero 0
		.amdhsa_exception_fp_ieee_overflow 0
		.amdhsa_exception_fp_ieee_underflow 0
		.amdhsa_exception_fp_ieee_inexact 0
		.amdhsa_exception_int_div_zero 0
	.end_amdhsa_kernel
	.section	.text._ZN2at6native29vectorized_elementwise_kernelILi2EZNS0_12_GLOBAL__N_119masked_scale_kernelIhN3c104HalfEfEEvRNS_6TensorERKS6_S9_T1_EUlS5_hE_St5arrayIPcLm3EEEEviT0_SA_,"axG",@progbits,_ZN2at6native29vectorized_elementwise_kernelILi2EZNS0_12_GLOBAL__N_119masked_scale_kernelIhN3c104HalfEfEEvRNS_6TensorERKS6_S9_T1_EUlS5_hE_St5arrayIPcLm3EEEEviT0_SA_,comdat
.Lfunc_end163:
	.size	_ZN2at6native29vectorized_elementwise_kernelILi2EZNS0_12_GLOBAL__N_119masked_scale_kernelIhN3c104HalfEfEEvRNS_6TensorERKS6_S9_T1_EUlS5_hE_St5arrayIPcLm3EEEEviT0_SA_, .Lfunc_end163-_ZN2at6native29vectorized_elementwise_kernelILi2EZNS0_12_GLOBAL__N_119masked_scale_kernelIhN3c104HalfEfEEvRNS_6TensorERKS6_S9_T1_EUlS5_hE_St5arrayIPcLm3EEEEviT0_SA_
                                        ; -- End function
	.section	.AMDGPU.csdata,"",@progbits
; Kernel info:
; codeLenInByte = 2260
; NumSgprs: 18
; NumVgprs: 22
; ScratchSize: 0
; MemoryBound: 0
; FloatMode: 240
; IeeeMode: 1
; LDSByteSize: 0 bytes/workgroup (compile time only)
; SGPRBlocks: 2
; VGPRBlocks: 2
; NumSGPRsForWavesPerEU: 18
; NumVGPRsForWavesPerEU: 22
; Occupancy: 16
; WaveLimiterHint : 1
; COMPUTE_PGM_RSRC2:SCRATCH_EN: 0
; COMPUTE_PGM_RSRC2:USER_SGPR: 15
; COMPUTE_PGM_RSRC2:TRAP_HANDLER: 0
; COMPUTE_PGM_RSRC2:TGID_X_EN: 1
; COMPUTE_PGM_RSRC2:TGID_Y_EN: 0
; COMPUTE_PGM_RSRC2:TGID_Z_EN: 0
; COMPUTE_PGM_RSRC2:TIDIG_COMP_CNT: 0
	.section	.text._ZN2at6native27unrolled_elementwise_kernelIZNS0_12_GLOBAL__N_119masked_scale_kernelIhN3c104HalfEfEEvRNS_6TensorERKS6_S9_T1_EUlS5_hE_St5arrayIPcLm3EELi4E23TrivialOffsetCalculatorILi2EjESF_ILi1EjENS0_6memory15LoadWithoutCastENSI_16StoreWithoutCastEEEviT_T0_T2_T3_T4_T5_,"axG",@progbits,_ZN2at6native27unrolled_elementwise_kernelIZNS0_12_GLOBAL__N_119masked_scale_kernelIhN3c104HalfEfEEvRNS_6TensorERKS6_S9_T1_EUlS5_hE_St5arrayIPcLm3EELi4E23TrivialOffsetCalculatorILi2EjESF_ILi1EjENS0_6memory15LoadWithoutCastENSI_16StoreWithoutCastEEEviT_T0_T2_T3_T4_T5_,comdat
	.globl	_ZN2at6native27unrolled_elementwise_kernelIZNS0_12_GLOBAL__N_119masked_scale_kernelIhN3c104HalfEfEEvRNS_6TensorERKS6_S9_T1_EUlS5_hE_St5arrayIPcLm3EELi4E23TrivialOffsetCalculatorILi2EjESF_ILi1EjENS0_6memory15LoadWithoutCastENSI_16StoreWithoutCastEEEviT_T0_T2_T3_T4_T5_ ; -- Begin function _ZN2at6native27unrolled_elementwise_kernelIZNS0_12_GLOBAL__N_119masked_scale_kernelIhN3c104HalfEfEEvRNS_6TensorERKS6_S9_T1_EUlS5_hE_St5arrayIPcLm3EELi4E23TrivialOffsetCalculatorILi2EjESF_ILi1EjENS0_6memory15LoadWithoutCastENSI_16StoreWithoutCastEEEviT_T0_T2_T3_T4_T5_
	.p2align	8
	.type	_ZN2at6native27unrolled_elementwise_kernelIZNS0_12_GLOBAL__N_119masked_scale_kernelIhN3c104HalfEfEEvRNS_6TensorERKS6_S9_T1_EUlS5_hE_St5arrayIPcLm3EELi4E23TrivialOffsetCalculatorILi2EjESF_ILi1EjENS0_6memory15LoadWithoutCastENSI_16StoreWithoutCastEEEviT_T0_T2_T3_T4_T5_,@function
_ZN2at6native27unrolled_elementwise_kernelIZNS0_12_GLOBAL__N_119masked_scale_kernelIhN3c104HalfEfEEvRNS_6TensorERKS6_S9_T1_EUlS5_hE_St5arrayIPcLm3EELi4E23TrivialOffsetCalculatorILi2EjESF_ILi1EjENS0_6memory15LoadWithoutCastENSI_16StoreWithoutCastEEEviT_T0_T2_T3_T4_T5_: ; @_ZN2at6native27unrolled_elementwise_kernelIZNS0_12_GLOBAL__N_119masked_scale_kernelIhN3c104HalfEfEEvRNS_6TensorERKS6_S9_T1_EUlS5_hE_St5arrayIPcLm3EELi4E23TrivialOffsetCalculatorILi2EjESF_ILi1EjENS0_6memory15LoadWithoutCastENSI_16StoreWithoutCastEEEviT_T0_T2_T3_T4_T5_
; %bb.0:
	s_clause 0x2
	s_load_b64 s[2:3], s[0:1], 0x0
	s_load_b128 s[4:7], s[0:1], 0x8
	s_load_b64 s[8:9], s[0:1], 0x18
	s_lshl_b32 s1, s15, 10
	v_dual_mov_b32 v3, 0 :: v_dual_mov_b32 v6, 0
	v_dual_mov_b32 v7, 0 :: v_dual_mov_b32 v2, v0
	v_or_b32_e32 v1, s1, v0
	v_or_b32_e32 v4, 0x100, v0
	s_waitcnt lgkmcnt(0)
	s_sub_i32 s2, s2, s1
	s_delay_alu instid0(SALU_CYCLE_1)
	v_cmp_gt_i32_e32 vcc_lo, s2, v0
	s_and_saveexec_b32 s10, vcc_lo
	s_cbranch_execz .LBB164_2
; %bb.1:
	v_mov_b32_e32 v2, 0
	s_delay_alu instid0(VALU_DEP_1) | instskip(SKIP_1) | instid1(VALU_DEP_2)
	v_lshlrev_b64 v[5:6], 1, v[1:2]
	v_or_b32_e32 v2, 0x100, v0
	v_add_co_u32 v5, s0, s6, v5
	s_delay_alu instid0(VALU_DEP_1)
	v_add_co_ci_u32_e64 v6, s0, s7, v6, s0
	global_load_u8 v7, v1, s[8:9]
	global_load_u16 v5, v[5:6], off
	s_waitcnt vmcnt(1)
	v_cvt_f32_ubyte0_e32 v7, v7
	s_waitcnt vmcnt(0)
	v_cvt_f32_f16_e32 v6, v5
.LBB164_2:
	s_or_b32 exec_lo, exec_lo, s10
	v_mov_b32_e32 v8, 0
	s_mov_b32 s10, exec_lo
	v_cmpx_gt_i32_e64 s2, v2
	s_cbranch_execz .LBB164_4
; %bb.3:
	v_dual_mov_b32 v9, 0 :: v_dual_add_nc_u32 v8, s1, v2
	v_add_nc_u32_e32 v2, 0x100, v2
	s_delay_alu instid0(VALU_DEP_2) | instskip(NEXT) | instid1(VALU_DEP_1)
	v_lshlrev_b64 v[9:10], 1, v[8:9]
	v_add_co_u32 v9, s0, s6, v9
	s_delay_alu instid0(VALU_DEP_1)
	v_add_co_ci_u32_e64 v10, s0, s7, v10, s0
	global_load_u8 v3, v8, s[8:9]
	global_load_u16 v5, v[9:10], off
	s_waitcnt vmcnt(1)
	v_cvt_f32_ubyte0_e32 v8, v3
	s_waitcnt vmcnt(0)
	v_cvt_f32_f16_e32 v3, v5
.LBB164_4:
	s_or_b32 exec_lo, exec_lo, s10
	v_dual_mov_b32 v5, 0 :: v_dual_mov_b32 v10, 0
	v_mov_b32_e32 v9, 0
	s_mov_b32 s10, exec_lo
	v_cmpx_gt_i32_e64 s2, v2
	s_cbranch_execnz .LBB164_11
; %bb.5:
	s_or_b32 exec_lo, exec_lo, s10
	s_delay_alu instid0(SALU_CYCLE_1)
	s_mov_b32 s10, exec_lo
	v_cmpx_gt_i32_e64 s2, v2
	s_cbranch_execnz .LBB164_12
.LBB164_6:
	s_or_b32 exec_lo, exec_lo, s10
	s_and_saveexec_b32 s0, vcc_lo
	s_cbranch_execnz .LBB164_13
.LBB164_7:
	s_or_b32 exec_lo, exec_lo, s0
	s_delay_alu instid0(SALU_CYCLE_1)
	s_mov_b32 s0, exec_lo
	v_cmpx_gt_i32_e64 s2, v0
	s_cbranch_execnz .LBB164_14
.LBB164_8:
	s_or_b32 exec_lo, exec_lo, s0
	s_delay_alu instid0(SALU_CYCLE_1)
	s_mov_b32 s0, exec_lo
	v_cmpx_gt_i32_e64 s2, v0
	s_cbranch_execnz .LBB164_15
.LBB164_9:
	s_or_b32 exec_lo, exec_lo, s0
	s_delay_alu instid0(SALU_CYCLE_1)
	s_mov_b32 s0, exec_lo
	v_cmpx_gt_i32_e64 s2, v0
	s_cbranch_execnz .LBB164_16
.LBB164_10:
	s_nop 0
	s_sendmsg sendmsg(MSG_DEALLOC_VGPRS)
	s_endpgm
.LBB164_11:
	v_dual_mov_b32 v10, 0 :: v_dual_add_nc_u32 v9, s1, v2
	v_add_nc_u32_e32 v2, 0x100, v2
	s_delay_alu instid0(VALU_DEP_2) | instskip(NEXT) | instid1(VALU_DEP_1)
	v_lshlrev_b64 v[10:11], 1, v[9:10]
	v_add_co_u32 v10, s0, s6, v10
	s_delay_alu instid0(VALU_DEP_1)
	v_add_co_ci_u32_e64 v11, s0, s7, v11, s0
	global_load_u8 v9, v9, s[8:9]
	global_load_u16 v11, v[10:11], off
	s_waitcnt vmcnt(1)
	v_cvt_f32_ubyte0_e32 v10, v9
	s_waitcnt vmcnt(0)
	v_cvt_f32_f16_e32 v9, v11
	s_or_b32 exec_lo, exec_lo, s10
	s_delay_alu instid0(SALU_CYCLE_1)
	s_mov_b32 s10, exec_lo
	v_cmpx_gt_i32_e64 s2, v2
	s_cbranch_execz .LBB164_6
.LBB164_12:
	v_dual_mov_b32 v12, 0 :: v_dual_add_nc_u32 v11, s1, v2
	s_delay_alu instid0(VALU_DEP_1) | instskip(NEXT) | instid1(VALU_DEP_1)
	v_lshlrev_b64 v[12:13], 1, v[11:12]
	v_add_co_u32 v12, s0, s6, v12
	s_delay_alu instid0(VALU_DEP_1)
	v_add_co_ci_u32_e64 v13, s0, s7, v13, s0
	global_load_u8 v2, v11, s[8:9]
	global_load_u16 v5, v[12:13], off
	s_waitcnt vmcnt(1)
	v_cvt_f32_ubyte0_e32 v2, v2
	s_waitcnt vmcnt(0)
	v_cvt_f32_f16_e32 v5, v5
	s_delay_alu instid0(VALU_DEP_1)
	v_mul_f32_e32 v5, v5, v2
	s_or_b32 exec_lo, exec_lo, s10
	s_and_saveexec_b32 s0, vcc_lo
	s_cbranch_execz .LBB164_7
.LBB164_13:
	v_mov_b32_e32 v2, 0
	s_delay_alu instid0(VALU_DEP_1) | instskip(SKIP_1) | instid1(VALU_DEP_2)
	v_lshlrev_b64 v[0:1], 1, v[1:2]
	v_mul_f32_e32 v2, v6, v7
	v_add_co_u32 v6, vcc_lo, s4, v0
	s_delay_alu instid0(VALU_DEP_3) | instskip(NEXT) | instid1(VALU_DEP_3)
	v_add_co_ci_u32_e32 v7, vcc_lo, s5, v1, vcc_lo
	v_fma_mixlo_f16 v1, v2, s3, 0
	v_mov_b32_e32 v0, v4
	global_store_b16 v[6:7], v1, off
	s_or_b32 exec_lo, exec_lo, s0
	s_delay_alu instid0(SALU_CYCLE_1)
	s_mov_b32 s0, exec_lo
	v_cmpx_gt_i32_e64 s2, v0
	s_cbranch_execz .LBB164_8
.LBB164_14:
	v_dual_mov_b32 v2, 0 :: v_dual_add_nc_u32 v1, s1, v0
	v_mul_f32_e32 v3, v3, v8
	v_add_nc_u32_e32 v0, 0x100, v0
	s_delay_alu instid0(VALU_DEP_3) | instskip(NEXT) | instid1(VALU_DEP_3)
	v_lshlrev_b64 v[1:2], 1, v[1:2]
	v_fma_mixlo_f16 v3, v3, s3, 0
	s_delay_alu instid0(VALU_DEP_2) | instskip(NEXT) | instid1(VALU_DEP_3)
	v_add_co_u32 v1, vcc_lo, s4, v1
	v_add_co_ci_u32_e32 v2, vcc_lo, s5, v2, vcc_lo
	global_store_b16 v[1:2], v3, off
	s_or_b32 exec_lo, exec_lo, s0
	s_delay_alu instid0(SALU_CYCLE_1)
	s_mov_b32 s0, exec_lo
	v_cmpx_gt_i32_e64 s2, v0
	s_cbranch_execz .LBB164_9
.LBB164_15:
	v_dual_mov_b32 v2, 0 :: v_dual_add_nc_u32 v1, s1, v0
	v_dual_mul_f32 v3, v9, v10 :: v_dual_add_nc_u32 v0, 0x100, v0
	s_delay_alu instid0(VALU_DEP_2) | instskip(NEXT) | instid1(VALU_DEP_2)
	v_lshlrev_b64 v[1:2], 1, v[1:2]
	v_fma_mixlo_f16 v3, v3, s3, 0
	s_delay_alu instid0(VALU_DEP_2) | instskip(NEXT) | instid1(VALU_DEP_3)
	v_add_co_u32 v1, vcc_lo, s4, v1
	v_add_co_ci_u32_e32 v2, vcc_lo, s5, v2, vcc_lo
	global_store_b16 v[1:2], v3, off
	s_or_b32 exec_lo, exec_lo, s0
	s_delay_alu instid0(SALU_CYCLE_1)
	s_mov_b32 s0, exec_lo
	v_cmpx_gt_i32_e64 s2, v0
	s_cbranch_execz .LBB164_10
.LBB164_16:
	v_dual_mov_b32 v1, 0 :: v_dual_add_nc_u32 v0, s1, v0
	v_fma_mixlo_f16 v2, v5, s3, 0
	s_delay_alu instid0(VALU_DEP_2) | instskip(NEXT) | instid1(VALU_DEP_1)
	v_lshlrev_b64 v[0:1], 1, v[0:1]
	v_add_co_u32 v0, vcc_lo, s4, v0
	s_delay_alu instid0(VALU_DEP_2)
	v_add_co_ci_u32_e32 v1, vcc_lo, s5, v1, vcc_lo
	global_store_b16 v[0:1], v2, off
	s_nop 0
	s_sendmsg sendmsg(MSG_DEALLOC_VGPRS)
	s_endpgm
	.section	.rodata,"a",@progbits
	.p2align	6, 0x0
	.amdhsa_kernel _ZN2at6native27unrolled_elementwise_kernelIZNS0_12_GLOBAL__N_119masked_scale_kernelIhN3c104HalfEfEEvRNS_6TensorERKS6_S9_T1_EUlS5_hE_St5arrayIPcLm3EELi4E23TrivialOffsetCalculatorILi2EjESF_ILi1EjENS0_6memory15LoadWithoutCastENSI_16StoreWithoutCastEEEviT_T0_T2_T3_T4_T5_
		.amdhsa_group_segment_fixed_size 0
		.amdhsa_private_segment_fixed_size 0
		.amdhsa_kernarg_size 36
		.amdhsa_user_sgpr_count 15
		.amdhsa_user_sgpr_dispatch_ptr 0
		.amdhsa_user_sgpr_queue_ptr 0
		.amdhsa_user_sgpr_kernarg_segment_ptr 1
		.amdhsa_user_sgpr_dispatch_id 0
		.amdhsa_user_sgpr_private_segment_size 0
		.amdhsa_wavefront_size32 1
		.amdhsa_uses_dynamic_stack 0
		.amdhsa_enable_private_segment 0
		.amdhsa_system_sgpr_workgroup_id_x 1
		.amdhsa_system_sgpr_workgroup_id_y 0
		.amdhsa_system_sgpr_workgroup_id_z 0
		.amdhsa_system_sgpr_workgroup_info 0
		.amdhsa_system_vgpr_workitem_id 0
		.amdhsa_next_free_vgpr 14
		.amdhsa_next_free_sgpr 16
		.amdhsa_reserve_vcc 1
		.amdhsa_float_round_mode_32 0
		.amdhsa_float_round_mode_16_64 0
		.amdhsa_float_denorm_mode_32 3
		.amdhsa_float_denorm_mode_16_64 3
		.amdhsa_dx10_clamp 1
		.amdhsa_ieee_mode 1
		.amdhsa_fp16_overflow 0
		.amdhsa_workgroup_processor_mode 1
		.amdhsa_memory_ordered 1
		.amdhsa_forward_progress 0
		.amdhsa_shared_vgpr_count 0
		.amdhsa_exception_fp_ieee_invalid_op 0
		.amdhsa_exception_fp_denorm_src 0
		.amdhsa_exception_fp_ieee_div_zero 0
		.amdhsa_exception_fp_ieee_overflow 0
		.amdhsa_exception_fp_ieee_underflow 0
		.amdhsa_exception_fp_ieee_inexact 0
		.amdhsa_exception_int_div_zero 0
	.end_amdhsa_kernel
	.section	.text._ZN2at6native27unrolled_elementwise_kernelIZNS0_12_GLOBAL__N_119masked_scale_kernelIhN3c104HalfEfEEvRNS_6TensorERKS6_S9_T1_EUlS5_hE_St5arrayIPcLm3EELi4E23TrivialOffsetCalculatorILi2EjESF_ILi1EjENS0_6memory15LoadWithoutCastENSI_16StoreWithoutCastEEEviT_T0_T2_T3_T4_T5_,"axG",@progbits,_ZN2at6native27unrolled_elementwise_kernelIZNS0_12_GLOBAL__N_119masked_scale_kernelIhN3c104HalfEfEEvRNS_6TensorERKS6_S9_T1_EUlS5_hE_St5arrayIPcLm3EELi4E23TrivialOffsetCalculatorILi2EjESF_ILi1EjENS0_6memory15LoadWithoutCastENSI_16StoreWithoutCastEEEviT_T0_T2_T3_T4_T5_,comdat
.Lfunc_end164:
	.size	_ZN2at6native27unrolled_elementwise_kernelIZNS0_12_GLOBAL__N_119masked_scale_kernelIhN3c104HalfEfEEvRNS_6TensorERKS6_S9_T1_EUlS5_hE_St5arrayIPcLm3EELi4E23TrivialOffsetCalculatorILi2EjESF_ILi1EjENS0_6memory15LoadWithoutCastENSI_16StoreWithoutCastEEEviT_T0_T2_T3_T4_T5_, .Lfunc_end164-_ZN2at6native27unrolled_elementwise_kernelIZNS0_12_GLOBAL__N_119masked_scale_kernelIhN3c104HalfEfEEvRNS_6TensorERKS6_S9_T1_EUlS5_hE_St5arrayIPcLm3EELi4E23TrivialOffsetCalculatorILi2EjESF_ILi1EjENS0_6memory15LoadWithoutCastENSI_16StoreWithoutCastEEEviT_T0_T2_T3_T4_T5_
                                        ; -- End function
	.section	.AMDGPU.csdata,"",@progbits
; Kernel info:
; codeLenInByte = 932
; NumSgprs: 18
; NumVgprs: 14
; ScratchSize: 0
; MemoryBound: 0
; FloatMode: 240
; IeeeMode: 1
; LDSByteSize: 0 bytes/workgroup (compile time only)
; SGPRBlocks: 2
; VGPRBlocks: 1
; NumSGPRsForWavesPerEU: 18
; NumVGPRsForWavesPerEU: 14
; Occupancy: 16
; WaveLimiterHint : 0
; COMPUTE_PGM_RSRC2:SCRATCH_EN: 0
; COMPUTE_PGM_RSRC2:USER_SGPR: 15
; COMPUTE_PGM_RSRC2:TRAP_HANDLER: 0
; COMPUTE_PGM_RSRC2:TGID_X_EN: 1
; COMPUTE_PGM_RSRC2:TGID_Y_EN: 0
; COMPUTE_PGM_RSRC2:TGID_Z_EN: 0
; COMPUTE_PGM_RSRC2:TIDIG_COMP_CNT: 0
	.section	.text._ZN2at6native32elementwise_kernel_manual_unrollILi128ELi8EZNS0_22gpu_kernel_impl_nocastIZNS0_12_GLOBAL__N_119masked_scale_kernelIhN3c104HalfEfEEvRNS_6TensorERKS7_SA_T1_EUlS6_hE_EEvRNS_18TensorIteratorBaseERKT_EUlibE_EEviSB_,"axG",@progbits,_ZN2at6native32elementwise_kernel_manual_unrollILi128ELi8EZNS0_22gpu_kernel_impl_nocastIZNS0_12_GLOBAL__N_119masked_scale_kernelIhN3c104HalfEfEEvRNS_6TensorERKS7_SA_T1_EUlS6_hE_EEvRNS_18TensorIteratorBaseERKT_EUlibE_EEviSB_,comdat
	.globl	_ZN2at6native32elementwise_kernel_manual_unrollILi128ELi8EZNS0_22gpu_kernel_impl_nocastIZNS0_12_GLOBAL__N_119masked_scale_kernelIhN3c104HalfEfEEvRNS_6TensorERKS7_SA_T1_EUlS6_hE_EEvRNS_18TensorIteratorBaseERKT_EUlibE_EEviSB_ ; -- Begin function _ZN2at6native32elementwise_kernel_manual_unrollILi128ELi8EZNS0_22gpu_kernel_impl_nocastIZNS0_12_GLOBAL__N_119masked_scale_kernelIhN3c104HalfEfEEvRNS_6TensorERKS7_SA_T1_EUlS6_hE_EEvRNS_18TensorIteratorBaseERKT_EUlibE_EEviSB_
	.p2align	8
	.type	_ZN2at6native32elementwise_kernel_manual_unrollILi128ELi8EZNS0_22gpu_kernel_impl_nocastIZNS0_12_GLOBAL__N_119masked_scale_kernelIhN3c104HalfEfEEvRNS_6TensorERKS7_SA_T1_EUlS6_hE_EEvRNS_18TensorIteratorBaseERKT_EUlibE_EEviSB_,@function
_ZN2at6native32elementwise_kernel_manual_unrollILi128ELi8EZNS0_22gpu_kernel_impl_nocastIZNS0_12_GLOBAL__N_119masked_scale_kernelIhN3c104HalfEfEEvRNS_6TensorERKS7_SA_T1_EUlS6_hE_EEvRNS_18TensorIteratorBaseERKT_EUlibE_EEviSB_: ; @_ZN2at6native32elementwise_kernel_manual_unrollILi128ELi8EZNS0_22gpu_kernel_impl_nocastIZNS0_12_GLOBAL__N_119masked_scale_kernelIhN3c104HalfEfEEvRNS_6TensorERKS7_SA_T1_EUlS6_hE_EEvRNS_18TensorIteratorBaseERKT_EUlibE_EEviSB_
; %bb.0:
	s_clause 0x1
	s_load_b32 s22, s[0:1], 0x8
	s_load_b32 s29, s[0:1], 0x0
	v_lshl_or_b32 v18, s15, 10, v0
	s_or_b32 s0, s0, 8
	s_mov_b32 s2, exec_lo
	s_delay_alu instid0(VALU_DEP_1) | instskip(SKIP_2) | instid1(SALU_CYCLE_1)
	v_or_b32_e32 v24, 0x380, v18
	s_waitcnt lgkmcnt(0)
	s_add_i32 s23, s22, -1
	s_cmp_gt_u32 s23, 1
	s_cselect_b32 s24, -1, 0
	v_cmpx_le_i32_e64 s29, v24
	s_xor_b32 s25, exec_lo, s2
	s_cbranch_execz .LBB165_8
; %bb.1:
	s_clause 0x6
	s_load_b128 s[12:15], s[0:1], 0x4
	s_load_b64 s[18:19], s[0:1], 0x14
	s_load_b128 s[8:11], s[0:1], 0xc4
	s_load_b64 s[16:17], s[0:1], 0xd4
	s_load_b64 s[2:3], s[0:1], 0x198
	s_load_b128 s[4:7], s[0:1], 0x188
	s_load_b32 s26, s[0:1], 0x1a0
	s_cmp_lg_u32 s22, 0
	s_mov_b32 s31, exec_lo
	s_cselect_b32 s30, -1, 0
	s_min_u32 s28, s23, 15
	s_cmp_gt_u32 s22, 1
	s_cselect_b32 s27, -1, 0
	v_cmpx_gt_i32_e64 s29, v18
	s_cbranch_execz .LBB165_15
; %bb.2:
	s_and_not1_b32 vcc_lo, exec_lo, s24
	s_cbranch_vccnz .LBB165_97
; %bb.3:
	v_dual_mov_b32 v0, 0 :: v_dual_mov_b32 v1, 0
	v_mov_b32_e32 v2, 0
	s_and_not1_b32 vcc_lo, exec_lo, s30
	s_mov_b32 s33, 0
	s_cbranch_vccnz .LBB165_98
; %bb.4:
	s_add_i32 s20, s28, 1
	v_dual_mov_b32 v1, 0 :: v_dual_mov_b32 v2, 0
	v_dual_mov_b32 v0, 0 :: v_dual_mov_b32 v3, v18
	s_and_b32 s34, s20, 30
	s_add_u32 s20, s0, 0xffffffec
	s_addc_u32 s21, s1, -1
	s_set_inst_prefetch_distance 0x1
	.p2align	6
.LBB165_5:                              ; =>This Inner Loop Header: Depth=1
	s_clause 0x2
	s_load_b128 s[36:39], s[20:21], 0x18
	s_load_b64 s[44:45], s[20:21], 0x28
	s_load_b128 s[40:43], s[20:21], 0xd8
	s_waitcnt lgkmcnt(0)
	v_mul_hi_u32 v4, s37, v3
	s_delay_alu instid0(VALU_DEP_1) | instskip(NEXT) | instid1(VALU_DEP_1)
	v_add_nc_u32_e32 v4, v3, v4
	v_lshrrev_b32_e32 v4, s38, v4
	s_delay_alu instid0(VALU_DEP_1)
	v_mul_hi_u32 v5, s44, v4
	v_mul_lo_u32 v6, v4, s36
	s_load_b64 s[36:37], s[20:21], 0xe8
	s_add_u32 s20, s20, 24
	s_addc_u32 s21, s21, 0
	s_add_i32 s34, s34, -2
	s_delay_alu instid0(SALU_CYCLE_1) | instskip(NEXT) | instid1(VALU_DEP_2)
	s_cmp_lg_u32 s34, 0
	v_add_nc_u32_e32 v5, v4, v5
	s_delay_alu instid0(VALU_DEP_2) | instskip(NEXT) | instid1(VALU_DEP_2)
	v_sub_nc_u32_e32 v6, v3, v6
	v_lshrrev_b32_e32 v3, s45, v5
	s_delay_alu instid0(VALU_DEP_2) | instskip(NEXT) | instid1(VALU_DEP_2)
	v_mul_lo_u32 v7, v6, s40
	v_mul_lo_u32 v5, v3, s39
	s_delay_alu instid0(VALU_DEP_1) | instskip(SKIP_2) | instid1(VALU_DEP_3)
	v_sub_nc_u32_e32 v4, v4, v5
	v_mul_lo_u32 v5, v6, s41
	v_mul_lo_u32 v6, v6, s42
	;; [unrolled: 1-line block ×3, first 2 shown]
	s_waitcnt lgkmcnt(0)
	v_mul_lo_u32 v9, v4, s36
	v_mul_lo_u32 v4, v4, s37
	s_delay_alu instid0(VALU_DEP_3) | instskip(NEXT) | instid1(VALU_DEP_3)
	v_add3_u32 v0, v7, v0, v8
	v_add3_u32 v2, v5, v2, v9
	s_delay_alu instid0(VALU_DEP_3)
	v_add3_u32 v1, v6, v1, v4
	s_cbranch_scc1 .LBB165_5
; %bb.6:
	s_set_inst_prefetch_distance 0x2
	s_bitcmp1_b32 s28, 0
	s_cselect_b32 s34, -1, 0
	s_delay_alu instid0(SALU_CYCLE_1)
	s_and_b32 vcc_lo, exec_lo, s34
	s_cbranch_vccnz .LBB165_98
; %bb.7:
	s_clause 0x3
	s_load_b64 s[34:35], s[20:21], 0x18
	s_load_b32 s38, s[20:21], 0x20
	s_load_b64 s[36:37], s[20:21], 0xd8
	s_load_b32 s20, s[20:21], 0xe0
	s_waitcnt lgkmcnt(0)
	v_mul_hi_u32 v4, s35, v3
	s_delay_alu instid0(VALU_DEP_1) | instskip(NEXT) | instid1(VALU_DEP_1)
	v_add_nc_u32_e32 v4, v3, v4
	v_lshrrev_b32_e32 v4, s38, v4
	s_delay_alu instid0(VALU_DEP_1) | instskip(NEXT) | instid1(VALU_DEP_1)
	v_mul_lo_u32 v4, v4, s34
	v_sub_nc_u32_e32 v7, v3, v4
	s_delay_alu instid0(VALU_DEP_1) | instskip(NEXT) | instid1(VALU_DEP_1)
	v_mad_u64_u32 v[3:4], null, v7, s36, v[0:1]
	v_mad_u64_u32 v[4:5], null, v7, s37, v[2:3]
	;; [unrolled: 1-line block ×3, first 2 shown]
	v_mov_b32_e32 v0, v3
	s_delay_alu instid0(VALU_DEP_2)
	v_dual_mov_b32 v2, v4 :: v_dual_mov_b32 v1, v5
	s_branch .LBB165_98
.LBB165_8:
	s_and_not1_saveexec_b32 s2, s25
	s_cbranch_execz .LBB165_164
.LBB165_9:
	v_cndmask_b32_e64 v21, 0, 1, s24
	s_and_not1_b32 vcc_lo, exec_lo, s24
	s_cbranch_vccnz .LBB165_22
; %bb.10:
	v_dual_mov_b32 v0, 0 :: v_dual_mov_b32 v1, 0
	v_mov_b32_e32 v2, 0
	s_cmp_lg_u32 s22, 0
	s_mov_b32 s4, 0
	s_cbranch_scc0 .LBB165_23
; %bb.11:
	s_min_u32 s5, s23, 15
	v_dual_mov_b32 v1, 0 :: v_dual_mov_b32 v2, 0
	s_add_i32 s2, s5, 1
	v_dual_mov_b32 v0, 0 :: v_dual_mov_b32 v3, v18
	s_and_b32 s6, s2, 30
	s_add_u32 s2, s0, 0xffffffec
	s_addc_u32 s3, s1, -1
	s_set_inst_prefetch_distance 0x1
	.p2align	6
.LBB165_12:                             ; =>This Inner Loop Header: Depth=1
	s_clause 0x2
	s_load_b128 s[8:11], s[2:3], 0x18
	s_load_b64 s[16:17], s[2:3], 0x28
	s_load_b128 s[12:15], s[2:3], 0xd8
	s_waitcnt lgkmcnt(0)
	v_mul_hi_u32 v4, s9, v3
	s_delay_alu instid0(VALU_DEP_1) | instskip(NEXT) | instid1(VALU_DEP_1)
	v_add_nc_u32_e32 v4, v3, v4
	v_lshrrev_b32_e32 v4, s10, v4
	s_delay_alu instid0(VALU_DEP_1)
	v_mul_hi_u32 v5, s16, v4
	v_mul_lo_u32 v6, v4, s8
	s_load_b64 s[8:9], s[2:3], 0xe8
	s_add_u32 s2, s2, 24
	s_addc_u32 s3, s3, 0
	s_add_i32 s6, s6, -2
	s_delay_alu instid0(SALU_CYCLE_1) | instskip(NEXT) | instid1(VALU_DEP_2)
	s_cmp_lg_u32 s6, 0
	v_add_nc_u32_e32 v5, v4, v5
	s_delay_alu instid0(VALU_DEP_2) | instskip(NEXT) | instid1(VALU_DEP_2)
	v_sub_nc_u32_e32 v6, v3, v6
	v_lshrrev_b32_e32 v3, s17, v5
	s_delay_alu instid0(VALU_DEP_2) | instskip(NEXT) | instid1(VALU_DEP_2)
	v_mul_lo_u32 v7, v6, s12
	v_mul_lo_u32 v5, v3, s11
	s_delay_alu instid0(VALU_DEP_1) | instskip(SKIP_2) | instid1(VALU_DEP_3)
	v_sub_nc_u32_e32 v4, v4, v5
	v_mul_lo_u32 v5, v6, s13
	v_mul_lo_u32 v6, v6, s14
	;; [unrolled: 1-line block ×3, first 2 shown]
	s_waitcnt lgkmcnt(0)
	v_mul_lo_u32 v9, v4, s8
	v_mul_lo_u32 v4, v4, s9
	s_delay_alu instid0(VALU_DEP_3) | instskip(NEXT) | instid1(VALU_DEP_3)
	v_add3_u32 v0, v7, v0, v8
	v_add3_u32 v2, v5, v2, v9
	s_delay_alu instid0(VALU_DEP_3)
	v_add3_u32 v1, v6, v1, v4
	s_cbranch_scc1 .LBB165_12
; %bb.13:
	s_set_inst_prefetch_distance 0x2
	s_bitcmp1_b32 s5, 0
	s_cselect_b32 s5, -1, 0
	s_delay_alu instid0(SALU_CYCLE_1)
	s_and_b32 vcc_lo, exec_lo, s5
	s_cbranch_vccnz .LBB165_23
; %bb.14:
	s_clause 0x3
	s_load_b64 s[6:7], s[2:3], 0x18
	s_load_b32 s5, s[2:3], 0x20
	s_load_b64 s[8:9], s[2:3], 0xd8
	s_load_b32 s2, s[2:3], 0xe0
	s_waitcnt lgkmcnt(0)
	v_mul_hi_u32 v4, s7, v3
	s_delay_alu instid0(VALU_DEP_1) | instskip(NEXT) | instid1(VALU_DEP_1)
	v_add_nc_u32_e32 v4, v3, v4
	v_lshrrev_b32_e32 v4, s5, v4
	s_delay_alu instid0(VALU_DEP_1) | instskip(NEXT) | instid1(VALU_DEP_1)
	v_mul_lo_u32 v4, v4, s6
	v_sub_nc_u32_e32 v7, v3, v4
	s_delay_alu instid0(VALU_DEP_1) | instskip(NEXT) | instid1(VALU_DEP_1)
	v_mad_u64_u32 v[3:4], null, v7, s8, v[0:1]
	v_mad_u64_u32 v[4:5], null, v7, s9, v[2:3]
	;; [unrolled: 1-line block ×3, first 2 shown]
	v_mov_b32_e32 v0, v3
	s_delay_alu instid0(VALU_DEP_2)
	v_dual_mov_b32 v2, v4 :: v_dual_mov_b32 v1, v5
	s_branch .LBB165_23
.LBB165_15:
	s_or_b32 exec_lo, exec_lo, s31
	s_delay_alu instid0(SALU_CYCLE_1)
	s_mov_b32 s31, exec_lo
	v_cmpx_gt_i32_e64 s29, v18
	s_cbranch_execz .LBB165_102
.LBB165_16:
	s_and_not1_b32 vcc_lo, exec_lo, s24
	s_cbranch_vccnz .LBB165_109
; %bb.17:
	v_dual_mov_b32 v0, 0 :: v_dual_mov_b32 v1, 0
	v_mov_b32_e32 v2, 0
	s_and_not1_b32 vcc_lo, exec_lo, s30
	s_mov_b32 s33, 0
	s_cbranch_vccnz .LBB165_110
; %bb.18:
	s_add_i32 s20, s28, 1
	v_dual_mov_b32 v1, 0 :: v_dual_mov_b32 v2, 0
	v_dual_mov_b32 v0, 0 :: v_dual_mov_b32 v3, v18
	s_and_b32 s34, s20, 30
	s_add_u32 s20, s0, 0xffffffec
	s_addc_u32 s21, s1, -1
	s_set_inst_prefetch_distance 0x1
	.p2align	6
.LBB165_19:                             ; =>This Inner Loop Header: Depth=1
	s_clause 0x2
	s_load_b128 s[36:39], s[20:21], 0x18
	s_load_b64 s[44:45], s[20:21], 0x28
	s_load_b128 s[40:43], s[20:21], 0xd8
	s_waitcnt lgkmcnt(0)
	v_mul_hi_u32 v4, s37, v3
	s_delay_alu instid0(VALU_DEP_1) | instskip(NEXT) | instid1(VALU_DEP_1)
	v_add_nc_u32_e32 v4, v3, v4
	v_lshrrev_b32_e32 v4, s38, v4
	s_delay_alu instid0(VALU_DEP_1)
	v_mul_hi_u32 v5, s44, v4
	v_mul_lo_u32 v6, v4, s36
	s_load_b64 s[36:37], s[20:21], 0xe8
	s_add_u32 s20, s20, 24
	s_addc_u32 s21, s21, 0
	s_add_i32 s34, s34, -2
	s_delay_alu instid0(SALU_CYCLE_1) | instskip(NEXT) | instid1(VALU_DEP_2)
	s_cmp_eq_u32 s34, 0
	v_add_nc_u32_e32 v5, v4, v5
	s_delay_alu instid0(VALU_DEP_2) | instskip(NEXT) | instid1(VALU_DEP_2)
	v_sub_nc_u32_e32 v6, v3, v6
	v_lshrrev_b32_e32 v3, s45, v5
	s_delay_alu instid0(VALU_DEP_2) | instskip(NEXT) | instid1(VALU_DEP_2)
	v_mul_lo_u32 v7, v6, s40
	v_mul_lo_u32 v5, v3, s39
	s_delay_alu instid0(VALU_DEP_1) | instskip(SKIP_2) | instid1(VALU_DEP_3)
	v_sub_nc_u32_e32 v4, v4, v5
	v_mul_lo_u32 v5, v6, s41
	v_mul_lo_u32 v6, v6, s42
	;; [unrolled: 1-line block ×3, first 2 shown]
	s_waitcnt lgkmcnt(0)
	v_mul_lo_u32 v9, v4, s36
	v_mul_lo_u32 v4, v4, s37
	s_delay_alu instid0(VALU_DEP_3) | instskip(NEXT) | instid1(VALU_DEP_3)
	v_add3_u32 v0, v7, v0, v8
	v_add3_u32 v2, v5, v2, v9
	s_delay_alu instid0(VALU_DEP_3)
	v_add3_u32 v1, v6, v1, v4
	s_cbranch_scc0 .LBB165_19
; %bb.20:
	s_set_inst_prefetch_distance 0x2
	s_bitcmp1_b32 s28, 0
	s_cselect_b32 s34, -1, 0
	s_delay_alu instid0(SALU_CYCLE_1)
	s_and_b32 vcc_lo, exec_lo, s34
	s_cbranch_vccnz .LBB165_110
; %bb.21:
	s_clause 0x3
	s_load_b64 s[34:35], s[20:21], 0x18
	s_load_b32 s38, s[20:21], 0x20
	s_load_b64 s[36:37], s[20:21], 0xd8
	s_load_b32 s20, s[20:21], 0xe0
	s_waitcnt lgkmcnt(0)
	v_mul_hi_u32 v4, s35, v3
	s_delay_alu instid0(VALU_DEP_1) | instskip(NEXT) | instid1(VALU_DEP_1)
	v_add_nc_u32_e32 v4, v3, v4
	v_lshrrev_b32_e32 v4, s38, v4
	s_delay_alu instid0(VALU_DEP_1) | instskip(NEXT) | instid1(VALU_DEP_1)
	v_mul_lo_u32 v4, v4, s34
	v_sub_nc_u32_e32 v7, v3, v4
	s_delay_alu instid0(VALU_DEP_1) | instskip(NEXT) | instid1(VALU_DEP_1)
	v_mad_u64_u32 v[3:4], null, v7, s36, v[0:1]
	v_mad_u64_u32 v[4:5], null, v7, s37, v[2:3]
	;; [unrolled: 1-line block ×3, first 2 shown]
	v_mov_b32_e32 v0, v3
	s_delay_alu instid0(VALU_DEP_2)
	v_dual_mov_b32 v2, v4 :: v_dual_mov_b32 v1, v5
	s_branch .LBB165_110
.LBB165_22:
	s_mov_b32 s4, -1
                                        ; implicit-def: $vgpr0
                                        ; implicit-def: $vgpr2
                                        ; implicit-def: $vgpr1
.LBB165_23:
	s_delay_alu instid0(SALU_CYCLE_1)
	s_and_not1_b32 vcc_lo, exec_lo, s4
	s_cbranch_vccnz .LBB165_26
; %bb.24:
	s_clause 0x1
	s_load_b128 s[4:7], s[0:1], 0x4
	s_load_b128 s[8:11], s[0:1], 0xc4
	s_cmp_lt_u32 s22, 2
	s_waitcnt lgkmcnt(0)
	v_mul_hi_u32 v0, s5, v18
	s_delay_alu instid0(VALU_DEP_1) | instskip(NEXT) | instid1(VALU_DEP_1)
	v_add_nc_u32_e32 v0, v18, v0
	v_lshrrev_b32_e32 v3, s6, v0
	s_delay_alu instid0(VALU_DEP_1) | instskip(NEXT) | instid1(VALU_DEP_1)
	v_mul_lo_u32 v0, v3, s4
	v_sub_nc_u32_e32 v1, v18, v0
	s_delay_alu instid0(VALU_DEP_1)
	v_mul_lo_u32 v0, v1, s8
	v_mul_lo_u32 v2, v1, s9
	;; [unrolled: 1-line block ×3, first 2 shown]
	s_cbranch_scc1 .LBB165_26
; %bb.25:
	s_clause 0x1
	s_load_b128 s[4:7], s[0:1], 0x10
	s_load_b128 s[8:11], s[0:1], 0xd0
	s_waitcnt lgkmcnt(0)
	v_mul_hi_u32 v4, s5, v3
	s_delay_alu instid0(VALU_DEP_1) | instskip(NEXT) | instid1(VALU_DEP_1)
	v_add_nc_u32_e32 v4, v3, v4
	v_lshrrev_b32_e32 v4, s6, v4
	s_delay_alu instid0(VALU_DEP_1) | instskip(NEXT) | instid1(VALU_DEP_1)
	v_mul_lo_u32 v4, v4, s4
	v_sub_nc_u32_e32 v7, v3, v4
	s_delay_alu instid0(VALU_DEP_1) | instskip(NEXT) | instid1(VALU_DEP_1)
	v_mad_u64_u32 v[3:4], null, v7, s8, v[0:1]
	v_mad_u64_u32 v[4:5], null, v7, s9, v[2:3]
	;; [unrolled: 1-line block ×3, first 2 shown]
	v_mov_b32_e32 v0, v3
	s_delay_alu instid0(VALU_DEP_2)
	v_dual_mov_b32 v2, v4 :: v_dual_mov_b32 v1, v5
.LBB165_26:
	v_cmp_ne_u32_e32 vcc_lo, 1, v21
	v_add_nc_u32_e32 v6, 0x80, v18
	s_cbranch_vccnz .LBB165_32
; %bb.27:
	v_dual_mov_b32 v3, 0 :: v_dual_mov_b32 v4, 0
	v_mov_b32_e32 v5, 0
	s_cmp_lg_u32 s22, 0
	s_mov_b32 s4, 0
	s_cbranch_scc0 .LBB165_33
; %bb.28:
	s_min_u32 s5, s23, 15
	v_dual_mov_b32 v4, 0 :: v_dual_mov_b32 v5, 0
	s_add_i32 s2, s5, 1
	v_mov_b32_e32 v3, 0
	v_mov_b32_e32 v7, v6
	s_and_b32 s6, s2, 30
	s_add_u32 s2, s0, 0xffffffec
	s_addc_u32 s3, s1, -1
	s_set_inst_prefetch_distance 0x1
	.p2align	6
.LBB165_29:                             ; =>This Inner Loop Header: Depth=1
	s_clause 0x2
	s_load_b128 s[8:11], s[2:3], 0x18
	s_load_b64 s[16:17], s[2:3], 0x28
	s_load_b128 s[12:15], s[2:3], 0xd8
	s_waitcnt lgkmcnt(0)
	v_mul_hi_u32 v8, s9, v7
	s_delay_alu instid0(VALU_DEP_1) | instskip(NEXT) | instid1(VALU_DEP_1)
	v_add_nc_u32_e32 v8, v7, v8
	v_lshrrev_b32_e32 v8, s10, v8
	s_delay_alu instid0(VALU_DEP_1)
	v_mul_hi_u32 v9, s16, v8
	v_mul_lo_u32 v10, v8, s8
	s_load_b64 s[8:9], s[2:3], 0xe8
	s_add_u32 s2, s2, 24
	s_addc_u32 s3, s3, 0
	s_add_i32 s6, s6, -2
	s_delay_alu instid0(SALU_CYCLE_1) | instskip(NEXT) | instid1(VALU_DEP_2)
	s_cmp_lg_u32 s6, 0
	v_add_nc_u32_e32 v9, v8, v9
	s_delay_alu instid0(VALU_DEP_2) | instskip(NEXT) | instid1(VALU_DEP_2)
	v_sub_nc_u32_e32 v10, v7, v10
	v_lshrrev_b32_e32 v7, s17, v9
	s_delay_alu instid0(VALU_DEP_2) | instskip(NEXT) | instid1(VALU_DEP_2)
	v_mul_lo_u32 v11, v10, s12
	v_mul_lo_u32 v9, v7, s11
	s_delay_alu instid0(VALU_DEP_1) | instskip(SKIP_2) | instid1(VALU_DEP_3)
	v_sub_nc_u32_e32 v8, v8, v9
	v_mul_lo_u32 v9, v10, s13
	v_mul_lo_u32 v10, v10, s14
	;; [unrolled: 1-line block ×3, first 2 shown]
	s_waitcnt lgkmcnt(0)
	v_mul_lo_u32 v13, v8, s8
	v_mul_lo_u32 v8, v8, s9
	s_delay_alu instid0(VALU_DEP_3) | instskip(NEXT) | instid1(VALU_DEP_3)
	v_add3_u32 v3, v11, v3, v12
	v_add3_u32 v5, v9, v5, v13
	s_delay_alu instid0(VALU_DEP_3)
	v_add3_u32 v4, v10, v4, v8
	s_cbranch_scc1 .LBB165_29
; %bb.30:
	s_set_inst_prefetch_distance 0x2
	s_bitcmp1_b32 s5, 0
	s_cselect_b32 s5, -1, 0
	s_delay_alu instid0(SALU_CYCLE_1)
	s_and_b32 vcc_lo, exec_lo, s5
	s_cbranch_vccnz .LBB165_33
; %bb.31:
	s_clause 0x3
	s_load_b64 s[6:7], s[2:3], 0x18
	s_load_b32 s5, s[2:3], 0x20
	s_load_b64 s[8:9], s[2:3], 0xd8
	s_load_b32 s2, s[2:3], 0xe0
	s_waitcnt lgkmcnt(0)
	v_mul_hi_u32 v8, s7, v7
	s_delay_alu instid0(VALU_DEP_1) | instskip(NEXT) | instid1(VALU_DEP_1)
	v_add_nc_u32_e32 v8, v7, v8
	v_lshrrev_b32_e32 v8, s5, v8
	s_delay_alu instid0(VALU_DEP_1) | instskip(NEXT) | instid1(VALU_DEP_1)
	v_mul_lo_u32 v8, v8, s6
	v_sub_nc_u32_e32 v11, v7, v8
	s_delay_alu instid0(VALU_DEP_1) | instskip(SKIP_2) | instid1(VALU_DEP_3)
	v_mad_u64_u32 v[7:8], null, v11, s8, v[3:4]
	v_mad_u64_u32 v[8:9], null, v11, s9, v[5:6]
	;; [unrolled: 1-line block ×3, first 2 shown]
	v_mov_b32_e32 v3, v7
	s_delay_alu instid0(VALU_DEP_2)
	v_dual_mov_b32 v5, v8 :: v_dual_mov_b32 v4, v9
	s_branch .LBB165_33
.LBB165_32:
	s_mov_b32 s4, -1
                                        ; implicit-def: $vgpr3
                                        ; implicit-def: $vgpr5
                                        ; implicit-def: $vgpr4
.LBB165_33:
	s_delay_alu instid0(SALU_CYCLE_1)
	s_and_not1_b32 vcc_lo, exec_lo, s4
	s_cbranch_vccnz .LBB165_36
; %bb.34:
	s_clause 0x1
	s_load_b128 s[4:7], s[0:1], 0x4
	s_load_b128 s[8:11], s[0:1], 0xc4
	s_cmp_lt_u32 s22, 2
	s_waitcnt lgkmcnt(0)
	v_mul_hi_u32 v3, s5, v6
	s_delay_alu instid0(VALU_DEP_1) | instskip(NEXT) | instid1(VALU_DEP_1)
	v_add_nc_u32_e32 v3, v6, v3
	v_lshrrev_b32_e32 v7, s6, v3
	s_delay_alu instid0(VALU_DEP_1) | instskip(NEXT) | instid1(VALU_DEP_1)
	v_mul_lo_u32 v3, v7, s4
	v_sub_nc_u32_e32 v4, v6, v3
	s_delay_alu instid0(VALU_DEP_1)
	v_mul_lo_u32 v3, v4, s8
	v_mul_lo_u32 v5, v4, s9
	v_mul_lo_u32 v4, v4, s10
	s_cbranch_scc1 .LBB165_36
; %bb.35:
	s_clause 0x1
	s_load_b128 s[4:7], s[0:1], 0x10
	s_load_b128 s[8:11], s[0:1], 0xd0
	s_waitcnt lgkmcnt(0)
	v_mul_hi_u32 v6, s5, v7
	s_delay_alu instid0(VALU_DEP_1) | instskip(NEXT) | instid1(VALU_DEP_1)
	v_add_nc_u32_e32 v6, v7, v6
	v_lshrrev_b32_e32 v6, s6, v6
	s_delay_alu instid0(VALU_DEP_1) | instskip(NEXT) | instid1(VALU_DEP_1)
	v_mul_lo_u32 v6, v6, s4
	v_sub_nc_u32_e32 v10, v7, v6
	s_delay_alu instid0(VALU_DEP_1) | instskip(NEXT) | instid1(VALU_DEP_1)
	v_mad_u64_u32 v[6:7], null, v10, s8, v[3:4]
	v_mad_u64_u32 v[7:8], null, v10, s9, v[5:6]
	;; [unrolled: 1-line block ×3, first 2 shown]
	v_mov_b32_e32 v3, v6
	s_delay_alu instid0(VALU_DEP_2)
	v_dual_mov_b32 v5, v7 :: v_dual_mov_b32 v4, v8
.LBB165_36:
	v_cmp_ne_u32_e32 vcc_lo, 1, v21
	v_add_nc_u32_e32 v9, 0x100, v18
	s_cbranch_vccnz .LBB165_42
; %bb.37:
	v_dual_mov_b32 v6, 0 :: v_dual_mov_b32 v7, 0
	v_mov_b32_e32 v8, 0
	s_cmp_lg_u32 s22, 0
	s_mov_b32 s4, 0
	s_cbranch_scc0 .LBB165_43
; %bb.38:
	s_min_u32 s5, s23, 15
	v_dual_mov_b32 v7, 0 :: v_dual_mov_b32 v8, 0
	s_add_i32 s2, s5, 1
	v_mov_b32_e32 v6, 0
	v_mov_b32_e32 v10, v9
	s_and_b32 s6, s2, 30
	s_add_u32 s2, s0, 0xffffffec
	s_addc_u32 s3, s1, -1
	s_set_inst_prefetch_distance 0x1
	.p2align	6
.LBB165_39:                             ; =>This Inner Loop Header: Depth=1
	s_clause 0x2
	s_load_b128 s[8:11], s[2:3], 0x18
	s_load_b64 s[16:17], s[2:3], 0x28
	s_load_b128 s[12:15], s[2:3], 0xd8
	s_waitcnt lgkmcnt(0)
	v_mul_hi_u32 v11, s9, v10
	s_delay_alu instid0(VALU_DEP_1) | instskip(NEXT) | instid1(VALU_DEP_1)
	v_add_nc_u32_e32 v11, v10, v11
	v_lshrrev_b32_e32 v11, s10, v11
	s_delay_alu instid0(VALU_DEP_1)
	v_mul_hi_u32 v12, s16, v11
	v_mul_lo_u32 v13, v11, s8
	s_load_b64 s[8:9], s[2:3], 0xe8
	s_add_u32 s2, s2, 24
	s_addc_u32 s3, s3, 0
	s_add_i32 s6, s6, -2
	s_delay_alu instid0(SALU_CYCLE_1) | instskip(NEXT) | instid1(VALU_DEP_2)
	s_cmp_lg_u32 s6, 0
	v_add_nc_u32_e32 v12, v11, v12
	s_delay_alu instid0(VALU_DEP_2) | instskip(NEXT) | instid1(VALU_DEP_2)
	v_sub_nc_u32_e32 v13, v10, v13
	v_lshrrev_b32_e32 v10, s17, v12
	s_delay_alu instid0(VALU_DEP_2) | instskip(NEXT) | instid1(VALU_DEP_2)
	v_mul_lo_u32 v14, v13, s12
	v_mul_lo_u32 v12, v10, s11
	s_delay_alu instid0(VALU_DEP_1) | instskip(SKIP_2) | instid1(VALU_DEP_3)
	v_sub_nc_u32_e32 v11, v11, v12
	v_mul_lo_u32 v12, v13, s13
	v_mul_lo_u32 v13, v13, s14
	;; [unrolled: 1-line block ×3, first 2 shown]
	s_waitcnt lgkmcnt(0)
	v_mul_lo_u32 v16, v11, s8
	v_mul_lo_u32 v11, v11, s9
	s_delay_alu instid0(VALU_DEP_3) | instskip(NEXT) | instid1(VALU_DEP_3)
	v_add3_u32 v6, v14, v6, v15
	v_add3_u32 v8, v12, v8, v16
	s_delay_alu instid0(VALU_DEP_3)
	v_add3_u32 v7, v13, v7, v11
	s_cbranch_scc1 .LBB165_39
; %bb.40:
	s_set_inst_prefetch_distance 0x2
	s_bitcmp1_b32 s5, 0
	s_cselect_b32 s5, -1, 0
	s_delay_alu instid0(SALU_CYCLE_1)
	s_and_b32 vcc_lo, exec_lo, s5
	s_cbranch_vccnz .LBB165_43
; %bb.41:
	s_clause 0x3
	s_load_b64 s[6:7], s[2:3], 0x18
	s_load_b32 s5, s[2:3], 0x20
	s_load_b64 s[8:9], s[2:3], 0xd8
	s_load_b32 s2, s[2:3], 0xe0
	s_waitcnt lgkmcnt(0)
	v_mul_hi_u32 v11, s7, v10
	s_delay_alu instid0(VALU_DEP_1) | instskip(NEXT) | instid1(VALU_DEP_1)
	v_add_nc_u32_e32 v11, v10, v11
	v_lshrrev_b32_e32 v11, s5, v11
	s_delay_alu instid0(VALU_DEP_1) | instskip(NEXT) | instid1(VALU_DEP_1)
	v_mul_lo_u32 v11, v11, s6
	v_sub_nc_u32_e32 v14, v10, v11
	s_delay_alu instid0(VALU_DEP_1) | instskip(SKIP_2) | instid1(VALU_DEP_3)
	v_mad_u64_u32 v[10:11], null, v14, s8, v[6:7]
	v_mad_u64_u32 v[11:12], null, v14, s9, v[8:9]
	;; [unrolled: 1-line block ×3, first 2 shown]
	v_mov_b32_e32 v6, v10
	s_delay_alu instid0(VALU_DEP_2)
	v_dual_mov_b32 v8, v11 :: v_dual_mov_b32 v7, v12
	s_branch .LBB165_43
.LBB165_42:
	s_mov_b32 s4, -1
                                        ; implicit-def: $vgpr6
                                        ; implicit-def: $vgpr8
                                        ; implicit-def: $vgpr7
.LBB165_43:
	s_delay_alu instid0(SALU_CYCLE_1)
	s_and_not1_b32 vcc_lo, exec_lo, s4
	s_cbranch_vccnz .LBB165_46
; %bb.44:
	s_clause 0x1
	s_load_b128 s[4:7], s[0:1], 0x4
	s_load_b128 s[8:11], s[0:1], 0xc4
	s_cmp_lt_u32 s22, 2
	s_waitcnt lgkmcnt(0)
	v_mul_hi_u32 v6, s5, v9
	s_delay_alu instid0(VALU_DEP_1) | instskip(NEXT) | instid1(VALU_DEP_1)
	v_add_nc_u32_e32 v6, v9, v6
	v_lshrrev_b32_e32 v10, s6, v6
	s_delay_alu instid0(VALU_DEP_1) | instskip(NEXT) | instid1(VALU_DEP_1)
	v_mul_lo_u32 v6, v10, s4
	v_sub_nc_u32_e32 v7, v9, v6
	s_delay_alu instid0(VALU_DEP_1)
	v_mul_lo_u32 v6, v7, s8
	v_mul_lo_u32 v8, v7, s9
	v_mul_lo_u32 v7, v7, s10
	s_cbranch_scc1 .LBB165_46
; %bb.45:
	s_clause 0x1
	s_load_b128 s[4:7], s[0:1], 0x10
	s_load_b128 s[8:11], s[0:1], 0xd0
	s_waitcnt lgkmcnt(0)
	v_mul_hi_u32 v9, s5, v10
	s_delay_alu instid0(VALU_DEP_1) | instskip(NEXT) | instid1(VALU_DEP_1)
	v_add_nc_u32_e32 v9, v10, v9
	v_lshrrev_b32_e32 v9, s6, v9
	s_delay_alu instid0(VALU_DEP_1) | instskip(NEXT) | instid1(VALU_DEP_1)
	v_mul_lo_u32 v9, v9, s4
	v_sub_nc_u32_e32 v13, v10, v9
	s_delay_alu instid0(VALU_DEP_1) | instskip(NEXT) | instid1(VALU_DEP_1)
	v_mad_u64_u32 v[9:10], null, v13, s8, v[6:7]
	v_mad_u64_u32 v[10:11], null, v13, s9, v[8:9]
	;; [unrolled: 1-line block ×3, first 2 shown]
	v_mov_b32_e32 v6, v9
	s_delay_alu instid0(VALU_DEP_2)
	v_dual_mov_b32 v8, v10 :: v_dual_mov_b32 v7, v11
.LBB165_46:
	v_cmp_ne_u32_e32 vcc_lo, 1, v21
	v_add_nc_u32_e32 v12, 0x180, v18
	s_cbranch_vccnz .LBB165_52
; %bb.47:
	v_dual_mov_b32 v9, 0 :: v_dual_mov_b32 v10, 0
	v_mov_b32_e32 v11, 0
	s_cmp_lg_u32 s22, 0
	s_mov_b32 s4, 0
	s_cbranch_scc0 .LBB165_53
; %bb.48:
	s_min_u32 s5, s23, 15
	v_dual_mov_b32 v10, 0 :: v_dual_mov_b32 v11, 0
	s_add_i32 s2, s5, 1
	v_mov_b32_e32 v9, 0
	v_mov_b32_e32 v13, v12
	s_and_b32 s6, s2, 30
	s_add_u32 s2, s0, 0xffffffec
	s_addc_u32 s3, s1, -1
	s_set_inst_prefetch_distance 0x1
	.p2align	6
.LBB165_49:                             ; =>This Inner Loop Header: Depth=1
	s_clause 0x2
	s_load_b128 s[8:11], s[2:3], 0x18
	s_load_b64 s[16:17], s[2:3], 0x28
	s_load_b128 s[12:15], s[2:3], 0xd8
	s_waitcnt lgkmcnt(0)
	v_mul_hi_u32 v14, s9, v13
	s_delay_alu instid0(VALU_DEP_1) | instskip(NEXT) | instid1(VALU_DEP_1)
	v_add_nc_u32_e32 v14, v13, v14
	v_lshrrev_b32_e32 v14, s10, v14
	s_delay_alu instid0(VALU_DEP_1)
	v_mul_hi_u32 v15, s16, v14
	v_mul_lo_u32 v16, v14, s8
	s_load_b64 s[8:9], s[2:3], 0xe8
	s_add_u32 s2, s2, 24
	s_addc_u32 s3, s3, 0
	s_add_i32 s6, s6, -2
	s_delay_alu instid0(SALU_CYCLE_1) | instskip(NEXT) | instid1(VALU_DEP_2)
	s_cmp_lg_u32 s6, 0
	v_add_nc_u32_e32 v15, v14, v15
	s_delay_alu instid0(VALU_DEP_2) | instskip(NEXT) | instid1(VALU_DEP_2)
	v_sub_nc_u32_e32 v16, v13, v16
	v_lshrrev_b32_e32 v13, s17, v15
	s_delay_alu instid0(VALU_DEP_2) | instskip(NEXT) | instid1(VALU_DEP_2)
	v_mul_lo_u32 v17, v16, s12
	v_mul_lo_u32 v15, v13, s11
	s_delay_alu instid0(VALU_DEP_1) | instskip(SKIP_2) | instid1(VALU_DEP_3)
	v_sub_nc_u32_e32 v14, v14, v15
	v_mul_lo_u32 v15, v16, s13
	v_mul_lo_u32 v16, v16, s14
	;; [unrolled: 1-line block ×3, first 2 shown]
	s_waitcnt lgkmcnt(0)
	v_mul_lo_u32 v20, v14, s8
	v_mul_lo_u32 v14, v14, s9
	s_delay_alu instid0(VALU_DEP_3) | instskip(NEXT) | instid1(VALU_DEP_3)
	v_add3_u32 v9, v17, v9, v19
	v_add3_u32 v11, v15, v11, v20
	s_delay_alu instid0(VALU_DEP_3)
	v_add3_u32 v10, v16, v10, v14
	s_cbranch_scc1 .LBB165_49
; %bb.50:
	s_set_inst_prefetch_distance 0x2
	s_bitcmp1_b32 s5, 0
	s_cselect_b32 s5, -1, 0
	s_delay_alu instid0(SALU_CYCLE_1)
	s_and_b32 vcc_lo, exec_lo, s5
	s_cbranch_vccnz .LBB165_53
; %bb.51:
	s_clause 0x3
	s_load_b64 s[6:7], s[2:3], 0x18
	s_load_b32 s5, s[2:3], 0x20
	s_load_b64 s[8:9], s[2:3], 0xd8
	s_load_b32 s2, s[2:3], 0xe0
	s_waitcnt lgkmcnt(0)
	v_mul_hi_u32 v14, s7, v13
	s_delay_alu instid0(VALU_DEP_1) | instskip(NEXT) | instid1(VALU_DEP_1)
	v_add_nc_u32_e32 v14, v13, v14
	v_lshrrev_b32_e32 v14, s5, v14
	s_delay_alu instid0(VALU_DEP_1) | instskip(NEXT) | instid1(VALU_DEP_1)
	v_mul_lo_u32 v14, v14, s6
	v_sub_nc_u32_e32 v17, v13, v14
	s_delay_alu instid0(VALU_DEP_1) | instskip(SKIP_2) | instid1(VALU_DEP_3)
	v_mad_u64_u32 v[13:14], null, v17, s8, v[9:10]
	v_mad_u64_u32 v[14:15], null, v17, s9, v[11:12]
	;; [unrolled: 1-line block ×3, first 2 shown]
	v_mov_b32_e32 v9, v13
	s_delay_alu instid0(VALU_DEP_2)
	v_dual_mov_b32 v11, v14 :: v_dual_mov_b32 v10, v15
	s_branch .LBB165_53
.LBB165_52:
	s_mov_b32 s4, -1
                                        ; implicit-def: $vgpr9
                                        ; implicit-def: $vgpr11
                                        ; implicit-def: $vgpr10
.LBB165_53:
	s_delay_alu instid0(SALU_CYCLE_1)
	s_and_not1_b32 vcc_lo, exec_lo, s4
	s_cbranch_vccnz .LBB165_56
; %bb.54:
	s_clause 0x1
	s_load_b128 s[4:7], s[0:1], 0x4
	s_load_b128 s[8:11], s[0:1], 0xc4
	s_cmp_lt_u32 s22, 2
	s_waitcnt lgkmcnt(0)
	v_mul_hi_u32 v9, s5, v12
	s_delay_alu instid0(VALU_DEP_1) | instskip(NEXT) | instid1(VALU_DEP_1)
	v_add_nc_u32_e32 v9, v12, v9
	v_lshrrev_b32_e32 v13, s6, v9
	s_delay_alu instid0(VALU_DEP_1) | instskip(NEXT) | instid1(VALU_DEP_1)
	v_mul_lo_u32 v9, v13, s4
	v_sub_nc_u32_e32 v10, v12, v9
	s_delay_alu instid0(VALU_DEP_1)
	v_mul_lo_u32 v9, v10, s8
	v_mul_lo_u32 v11, v10, s9
	;; [unrolled: 1-line block ×3, first 2 shown]
	s_cbranch_scc1 .LBB165_56
; %bb.55:
	s_clause 0x1
	s_load_b128 s[4:7], s[0:1], 0x10
	s_load_b128 s[8:11], s[0:1], 0xd0
	s_waitcnt lgkmcnt(0)
	v_mul_hi_u32 v12, s5, v13
	s_delay_alu instid0(VALU_DEP_1) | instskip(NEXT) | instid1(VALU_DEP_1)
	v_add_nc_u32_e32 v12, v13, v12
	v_lshrrev_b32_e32 v12, s6, v12
	s_delay_alu instid0(VALU_DEP_1) | instskip(NEXT) | instid1(VALU_DEP_1)
	v_mul_lo_u32 v12, v12, s4
	v_sub_nc_u32_e32 v16, v13, v12
	s_delay_alu instid0(VALU_DEP_1) | instskip(NEXT) | instid1(VALU_DEP_1)
	v_mad_u64_u32 v[12:13], null, v16, s8, v[9:10]
	v_mad_u64_u32 v[13:14], null, v16, s9, v[11:12]
	v_mad_u64_u32 v[14:15], null, v16, s10, v[10:11]
	v_mov_b32_e32 v9, v12
	s_delay_alu instid0(VALU_DEP_2)
	v_dual_mov_b32 v11, v13 :: v_dual_mov_b32 v10, v14
.LBB165_56:
	v_cmp_ne_u32_e32 vcc_lo, 1, v21
	v_add_nc_u32_e32 v15, 0x200, v18
	s_cbranch_vccnz .LBB165_62
; %bb.57:
	v_dual_mov_b32 v12, 0 :: v_dual_mov_b32 v13, 0
	v_mov_b32_e32 v14, 0
	s_cmp_lg_u32 s22, 0
	s_mov_b32 s4, 0
	s_cbranch_scc0 .LBB165_63
; %bb.58:
	s_min_u32 s5, s23, 15
	v_dual_mov_b32 v13, 0 :: v_dual_mov_b32 v14, 0
	s_add_i32 s2, s5, 1
	v_mov_b32_e32 v12, 0
	v_mov_b32_e32 v16, v15
	s_and_b32 s6, s2, 30
	s_add_u32 s2, s0, 0xffffffec
	s_addc_u32 s3, s1, -1
	s_set_inst_prefetch_distance 0x1
	.p2align	6
.LBB165_59:                             ; =>This Inner Loop Header: Depth=1
	s_clause 0x2
	s_load_b128 s[8:11], s[2:3], 0x18
	s_load_b64 s[16:17], s[2:3], 0x28
	s_load_b128 s[12:15], s[2:3], 0xd8
	s_waitcnt lgkmcnt(0)
	v_mul_hi_u32 v17, s9, v16
	s_delay_alu instid0(VALU_DEP_1) | instskip(NEXT) | instid1(VALU_DEP_1)
	v_add_nc_u32_e32 v17, v16, v17
	v_lshrrev_b32_e32 v17, s10, v17
	s_delay_alu instid0(VALU_DEP_1)
	v_mul_hi_u32 v19, s16, v17
	v_mul_lo_u32 v20, v17, s8
	s_load_b64 s[8:9], s[2:3], 0xe8
	s_add_u32 s2, s2, 24
	s_addc_u32 s3, s3, 0
	s_add_i32 s6, s6, -2
	s_delay_alu instid0(SALU_CYCLE_1) | instskip(NEXT) | instid1(VALU_DEP_2)
	s_cmp_lg_u32 s6, 0
	v_add_nc_u32_e32 v19, v17, v19
	s_delay_alu instid0(VALU_DEP_2) | instskip(NEXT) | instid1(VALU_DEP_2)
	v_sub_nc_u32_e32 v20, v16, v20
	v_lshrrev_b32_e32 v16, s17, v19
	s_delay_alu instid0(VALU_DEP_2) | instskip(NEXT) | instid1(VALU_DEP_2)
	v_mul_lo_u32 v22, v20, s12
	v_mul_lo_u32 v19, v16, s11
	s_delay_alu instid0(VALU_DEP_1) | instskip(SKIP_2) | instid1(VALU_DEP_3)
	v_sub_nc_u32_e32 v17, v17, v19
	v_mul_lo_u32 v19, v20, s13
	v_mul_lo_u32 v20, v20, s14
	;; [unrolled: 1-line block ×3, first 2 shown]
	s_waitcnt lgkmcnt(0)
	v_mul_lo_u32 v25, v17, s8
	v_mul_lo_u32 v17, v17, s9
	s_delay_alu instid0(VALU_DEP_3) | instskip(NEXT) | instid1(VALU_DEP_3)
	v_add3_u32 v12, v22, v12, v23
	v_add3_u32 v14, v19, v14, v25
	s_delay_alu instid0(VALU_DEP_3)
	v_add3_u32 v13, v20, v13, v17
	s_cbranch_scc1 .LBB165_59
; %bb.60:
	s_set_inst_prefetch_distance 0x2
	s_bitcmp1_b32 s5, 0
	s_cselect_b32 s5, -1, 0
	s_delay_alu instid0(SALU_CYCLE_1)
	s_and_b32 vcc_lo, exec_lo, s5
	s_cbranch_vccnz .LBB165_63
; %bb.61:
	s_clause 0x3
	s_load_b64 s[6:7], s[2:3], 0x18
	s_load_b32 s5, s[2:3], 0x20
	s_load_b64 s[8:9], s[2:3], 0xd8
	s_load_b32 s2, s[2:3], 0xe0
	s_waitcnt lgkmcnt(0)
	v_mul_hi_u32 v17, s7, v16
	s_delay_alu instid0(VALU_DEP_1) | instskip(NEXT) | instid1(VALU_DEP_1)
	v_add_nc_u32_e32 v17, v16, v17
	v_lshrrev_b32_e32 v17, s5, v17
	s_delay_alu instid0(VALU_DEP_1) | instskip(NEXT) | instid1(VALU_DEP_1)
	v_mul_lo_u32 v17, v17, s6
	v_sub_nc_u32_e32 v25, v16, v17
	s_delay_alu instid0(VALU_DEP_1) | instskip(SKIP_2) | instid1(VALU_DEP_3)
	v_mad_u64_u32 v[16:17], null, v25, s8, v[12:13]
	v_mad_u64_u32 v[19:20], null, v25, s9, v[14:15]
	v_mad_u64_u32 v[22:23], null, v25, s2, v[13:14]
	v_mov_b32_e32 v12, v16
	s_delay_alu instid0(VALU_DEP_2)
	v_dual_mov_b32 v14, v19 :: v_dual_mov_b32 v13, v22
	s_branch .LBB165_63
.LBB165_62:
	s_mov_b32 s4, -1
                                        ; implicit-def: $vgpr12
                                        ; implicit-def: $vgpr14
                                        ; implicit-def: $vgpr13
.LBB165_63:
	s_delay_alu instid0(SALU_CYCLE_1)
	s_and_not1_b32 vcc_lo, exec_lo, s4
	s_cbranch_vccnz .LBB165_66
; %bb.64:
	s_clause 0x1
	s_load_b128 s[4:7], s[0:1], 0x4
	s_load_b128 s[8:11], s[0:1], 0xc4
	s_cmp_lt_u32 s22, 2
	s_waitcnt lgkmcnt(0)
	v_mul_hi_u32 v12, s5, v15
	s_delay_alu instid0(VALU_DEP_1) | instskip(NEXT) | instid1(VALU_DEP_1)
	v_add_nc_u32_e32 v12, v15, v12
	v_lshrrev_b32_e32 v16, s6, v12
	s_delay_alu instid0(VALU_DEP_1) | instskip(NEXT) | instid1(VALU_DEP_1)
	v_mul_lo_u32 v12, v16, s4
	v_sub_nc_u32_e32 v13, v15, v12
	s_delay_alu instid0(VALU_DEP_1)
	v_mul_lo_u32 v12, v13, s8
	v_mul_lo_u32 v14, v13, s9
	;; [unrolled: 1-line block ×3, first 2 shown]
	s_cbranch_scc1 .LBB165_66
; %bb.65:
	s_clause 0x1
	s_load_b128 s[4:7], s[0:1], 0x10
	s_load_b128 s[8:11], s[0:1], 0xd0
	s_waitcnt lgkmcnt(0)
	v_mul_hi_u32 v15, s5, v16
	s_delay_alu instid0(VALU_DEP_1) | instskip(NEXT) | instid1(VALU_DEP_1)
	v_add_nc_u32_e32 v15, v16, v15
	v_lshrrev_b32_e32 v15, s6, v15
	s_delay_alu instid0(VALU_DEP_1) | instskip(NEXT) | instid1(VALU_DEP_1)
	v_mul_lo_u32 v15, v15, s4
	v_sub_nc_u32_e32 v22, v16, v15
	s_delay_alu instid0(VALU_DEP_1) | instskip(SKIP_1) | instid1(VALU_DEP_2)
	v_mad_u64_u32 v[15:16], null, v22, s8, v[12:13]
	v_mad_u64_u32 v[19:20], null, v22, s10, v[13:14]
	v_mad_u64_u32 v[16:17], null, v22, s9, v[14:15]
	v_mov_b32_e32 v12, v15
	s_delay_alu instid0(VALU_DEP_2)
	v_dual_mov_b32 v13, v19 :: v_dual_mov_b32 v14, v16
.LBB165_66:
	v_cmp_ne_u32_e32 vcc_lo, 1, v21
	v_add_nc_u32_e32 v19, 0x280, v18
	s_cbranch_vccnz .LBB165_72
; %bb.67:
	v_dual_mov_b32 v15, 0 :: v_dual_mov_b32 v16, 0
	v_mov_b32_e32 v17, 0
	s_cmp_lg_u32 s22, 0
	s_mov_b32 s4, 0
	s_cbranch_scc0 .LBB165_73
; %bb.68:
	s_min_u32 s5, s23, 15
	v_dual_mov_b32 v16, 0 :: v_dual_mov_b32 v17, 0
	s_add_i32 s2, s5, 1
	v_dual_mov_b32 v15, 0 :: v_dual_mov_b32 v20, v19
	s_and_b32 s6, s2, 30
	s_add_u32 s2, s0, 0xffffffec
	s_addc_u32 s3, s1, -1
	s_set_inst_prefetch_distance 0x1
	.p2align	6
.LBB165_69:                             ; =>This Inner Loop Header: Depth=1
	s_clause 0x2
	s_load_b128 s[8:11], s[2:3], 0x18
	s_load_b64 s[16:17], s[2:3], 0x28
	s_load_b128 s[12:15], s[2:3], 0xd8
	s_waitcnt lgkmcnt(0)
	v_mul_hi_u32 v22, s9, v20
	s_delay_alu instid0(VALU_DEP_1) | instskip(NEXT) | instid1(VALU_DEP_1)
	v_add_nc_u32_e32 v22, v20, v22
	v_lshrrev_b32_e32 v22, s10, v22
	s_delay_alu instid0(VALU_DEP_1)
	v_mul_hi_u32 v23, s16, v22
	v_mul_lo_u32 v25, v22, s8
	s_load_b64 s[8:9], s[2:3], 0xe8
	s_add_u32 s2, s2, 24
	s_addc_u32 s3, s3, 0
	s_add_i32 s6, s6, -2
	s_delay_alu instid0(SALU_CYCLE_1) | instskip(NEXT) | instid1(VALU_DEP_2)
	s_cmp_lg_u32 s6, 0
	v_add_nc_u32_e32 v23, v22, v23
	s_delay_alu instid0(VALU_DEP_2) | instskip(NEXT) | instid1(VALU_DEP_2)
	v_sub_nc_u32_e32 v25, v20, v25
	v_lshrrev_b32_e32 v20, s17, v23
	s_delay_alu instid0(VALU_DEP_2) | instskip(NEXT) | instid1(VALU_DEP_2)
	v_mul_lo_u32 v26, v25, s12
	v_mul_lo_u32 v23, v20, s11
	s_delay_alu instid0(VALU_DEP_1) | instskip(SKIP_2) | instid1(VALU_DEP_3)
	v_sub_nc_u32_e32 v22, v22, v23
	v_mul_lo_u32 v23, v25, s13
	v_mul_lo_u32 v25, v25, s14
	;; [unrolled: 1-line block ×3, first 2 shown]
	s_waitcnt lgkmcnt(0)
	v_mul_lo_u32 v28, v22, s8
	v_mul_lo_u32 v22, v22, s9
	s_delay_alu instid0(VALU_DEP_3) | instskip(NEXT) | instid1(VALU_DEP_3)
	v_add3_u32 v15, v26, v15, v27
	v_add3_u32 v17, v23, v17, v28
	s_delay_alu instid0(VALU_DEP_3)
	v_add3_u32 v16, v25, v16, v22
	s_cbranch_scc1 .LBB165_69
; %bb.70:
	s_set_inst_prefetch_distance 0x2
	s_bitcmp1_b32 s5, 0
	s_cselect_b32 s5, -1, 0
	s_delay_alu instid0(SALU_CYCLE_1)
	s_and_b32 vcc_lo, exec_lo, s5
	s_cbranch_vccnz .LBB165_73
; %bb.71:
	s_clause 0x3
	s_load_b64 s[6:7], s[2:3], 0x18
	s_load_b32 s5, s[2:3], 0x20
	s_load_b64 s[8:9], s[2:3], 0xd8
	s_load_b32 s2, s[2:3], 0xe0
	s_waitcnt lgkmcnt(0)
	v_mul_hi_u32 v22, s7, v20
	s_delay_alu instid0(VALU_DEP_1) | instskip(NEXT) | instid1(VALU_DEP_1)
	v_add_nc_u32_e32 v22, v20, v22
	v_lshrrev_b32_e32 v22, s5, v22
	s_delay_alu instid0(VALU_DEP_1) | instskip(NEXT) | instid1(VALU_DEP_1)
	v_mul_lo_u32 v22, v22, s6
	v_sub_nc_u32_e32 v20, v20, v22
	s_delay_alu instid0(VALU_DEP_1) | instskip(SKIP_2) | instid1(VALU_DEP_3)
	v_mad_u64_u32 v[25:26], null, v20, s9, v[17:18]
	v_mad_u64_u32 v[22:23], null, v20, s8, v[15:16]
	;; [unrolled: 1-line block ×3, first 2 shown]
	v_mov_b32_e32 v17, v25
	s_delay_alu instid0(VALU_DEP_3) | instskip(NEXT) | instid1(VALU_DEP_3)
	v_mov_b32_e32 v15, v22
	v_mov_b32_e32 v16, v26
	s_branch .LBB165_73
.LBB165_72:
	s_mov_b32 s4, -1
                                        ; implicit-def: $vgpr15
                                        ; implicit-def: $vgpr17
                                        ; implicit-def: $vgpr16
.LBB165_73:
	s_delay_alu instid0(SALU_CYCLE_1)
	s_and_not1_b32 vcc_lo, exec_lo, s4
	s_cbranch_vccnz .LBB165_76
; %bb.74:
	s_clause 0x1
	s_load_b128 s[4:7], s[0:1], 0x4
	s_load_b128 s[8:11], s[0:1], 0xc4
	s_cmp_lt_u32 s22, 2
	s_waitcnt lgkmcnt(0)
	v_mul_hi_u32 v15, s5, v19
	s_delay_alu instid0(VALU_DEP_1) | instskip(NEXT) | instid1(VALU_DEP_1)
	v_add_nc_u32_e32 v15, v19, v15
	v_lshrrev_b32_e32 v20, s6, v15
	s_delay_alu instid0(VALU_DEP_1) | instskip(NEXT) | instid1(VALU_DEP_1)
	v_mul_lo_u32 v15, v20, s4
	v_sub_nc_u32_e32 v16, v19, v15
	s_delay_alu instid0(VALU_DEP_1)
	v_mul_lo_u32 v15, v16, s8
	v_mul_lo_u32 v17, v16, s9
	;; [unrolled: 1-line block ×3, first 2 shown]
	s_cbranch_scc1 .LBB165_76
; %bb.75:
	s_clause 0x1
	s_load_b128 s[4:7], s[0:1], 0x10
	s_load_b128 s[8:11], s[0:1], 0xd0
	s_waitcnt lgkmcnt(0)
	v_mul_hi_u32 v19, s5, v20
	s_delay_alu instid0(VALU_DEP_1) | instskip(NEXT) | instid1(VALU_DEP_1)
	v_add_nc_u32_e32 v19, v20, v19
	v_lshrrev_b32_e32 v19, s6, v19
	s_delay_alu instid0(VALU_DEP_1) | instskip(NEXT) | instid1(VALU_DEP_1)
	v_mul_lo_u32 v19, v19, s4
	v_sub_nc_u32_e32 v27, v20, v19
	s_delay_alu instid0(VALU_DEP_1) | instskip(SKIP_2) | instid1(VALU_DEP_3)
	v_mad_u64_u32 v[19:20], null, v27, s8, v[15:16]
	v_mad_u64_u32 v[22:23], null, v27, s9, v[17:18]
	;; [unrolled: 1-line block ×3, first 2 shown]
	v_mov_b32_e32 v15, v19
	s_delay_alu instid0(VALU_DEP_2)
	v_dual_mov_b32 v17, v22 :: v_dual_mov_b32 v16, v25
.LBB165_76:
	v_cmp_ne_u32_e32 vcc_lo, 1, v21
	v_add_nc_u32_e32 v22, 0x300, v18
	s_cbranch_vccnz .LBB165_82
; %bb.77:
	v_dual_mov_b32 v18, 0 :: v_dual_mov_b32 v19, 0
	v_mov_b32_e32 v20, 0
	s_cmp_lg_u32 s22, 0
	s_mov_b32 s4, 0
	s_cbranch_scc0 .LBB165_83
; %bb.78:
	s_min_u32 s5, s23, 15
	v_dual_mov_b32 v19, 0 :: v_dual_mov_b32 v20, 0
	s_add_i32 s2, s5, 1
	v_dual_mov_b32 v18, 0 :: v_dual_mov_b32 v23, v22
	s_and_b32 s6, s2, 30
	s_add_u32 s2, s0, 0xffffffec
	s_addc_u32 s3, s1, -1
	s_set_inst_prefetch_distance 0x1
	.p2align	6
.LBB165_79:                             ; =>This Inner Loop Header: Depth=1
	s_clause 0x2
	s_load_b128 s[8:11], s[2:3], 0x18
	s_load_b64 s[16:17], s[2:3], 0x28
	s_load_b128 s[12:15], s[2:3], 0xd8
	s_waitcnt lgkmcnt(0)
	v_mul_hi_u32 v25, s9, v23
	s_delay_alu instid0(VALU_DEP_1) | instskip(NEXT) | instid1(VALU_DEP_1)
	v_add_nc_u32_e32 v25, v23, v25
	v_lshrrev_b32_e32 v25, s10, v25
	s_delay_alu instid0(VALU_DEP_1)
	v_mul_hi_u32 v26, s16, v25
	v_mul_lo_u32 v27, v25, s8
	s_load_b64 s[8:9], s[2:3], 0xe8
	s_add_u32 s2, s2, 24
	s_addc_u32 s3, s3, 0
	s_add_i32 s6, s6, -2
	s_delay_alu instid0(SALU_CYCLE_1) | instskip(NEXT) | instid1(VALU_DEP_2)
	s_cmp_lg_u32 s6, 0
	v_add_nc_u32_e32 v26, v25, v26
	s_delay_alu instid0(VALU_DEP_2) | instskip(NEXT) | instid1(VALU_DEP_2)
	v_sub_nc_u32_e32 v27, v23, v27
	v_lshrrev_b32_e32 v23, s17, v26
	s_delay_alu instid0(VALU_DEP_2) | instskip(NEXT) | instid1(VALU_DEP_2)
	v_mul_lo_u32 v28, v27, s12
	v_mul_lo_u32 v26, v23, s11
	s_delay_alu instid0(VALU_DEP_1) | instskip(SKIP_2) | instid1(VALU_DEP_3)
	v_sub_nc_u32_e32 v25, v25, v26
	v_mul_lo_u32 v26, v27, s13
	v_mul_lo_u32 v27, v27, s14
	;; [unrolled: 1-line block ×3, first 2 shown]
	s_waitcnt lgkmcnt(0)
	v_mul_lo_u32 v30, v25, s8
	v_mul_lo_u32 v25, v25, s9
	s_delay_alu instid0(VALU_DEP_3) | instskip(NEXT) | instid1(VALU_DEP_3)
	v_add3_u32 v18, v28, v18, v29
	v_add3_u32 v20, v26, v20, v30
	s_delay_alu instid0(VALU_DEP_3)
	v_add3_u32 v19, v27, v19, v25
	s_cbranch_scc1 .LBB165_79
; %bb.80:
	s_set_inst_prefetch_distance 0x2
	s_bitcmp1_b32 s5, 0
	s_cselect_b32 s5, -1, 0
	s_delay_alu instid0(SALU_CYCLE_1)
	s_and_b32 vcc_lo, exec_lo, s5
	s_cbranch_vccnz .LBB165_83
; %bb.81:
	s_clause 0x3
	s_load_b64 s[6:7], s[2:3], 0x18
	s_load_b32 s5, s[2:3], 0x20
	s_load_b64 s[8:9], s[2:3], 0xd8
	s_load_b32 s2, s[2:3], 0xe0
	s_waitcnt lgkmcnt(0)
	v_mul_hi_u32 v25, s7, v23
	s_delay_alu instid0(VALU_DEP_1) | instskip(NEXT) | instid1(VALU_DEP_1)
	v_add_nc_u32_e32 v25, v23, v25
	v_lshrrev_b32_e32 v25, s5, v25
	s_delay_alu instid0(VALU_DEP_1) | instskip(NEXT) | instid1(VALU_DEP_1)
	v_mul_lo_u32 v25, v25, s6
	v_sub_nc_u32_e32 v23, v23, v25
	s_delay_alu instid0(VALU_DEP_1) | instskip(SKIP_2) | instid1(VALU_DEP_3)
	v_mad_u64_u32 v[25:26], null, v23, s8, v[18:19]
	v_mad_u64_u32 v[26:27], null, v23, s9, v[20:21]
	v_mad_u64_u32 v[27:28], null, v23, s2, v[19:20]
	v_mov_b32_e32 v18, v25
	s_delay_alu instid0(VALU_DEP_2)
	v_dual_mov_b32 v20, v26 :: v_dual_mov_b32 v19, v27
	s_branch .LBB165_83
.LBB165_82:
	s_mov_b32 s4, -1
                                        ; implicit-def: $vgpr18
                                        ; implicit-def: $vgpr20
                                        ; implicit-def: $vgpr19
.LBB165_83:
	s_delay_alu instid0(SALU_CYCLE_1)
	s_and_not1_b32 vcc_lo, exec_lo, s4
	s_cbranch_vccnz .LBB165_86
; %bb.84:
	s_clause 0x1
	s_load_b128 s[4:7], s[0:1], 0x4
	s_load_b128 s[8:11], s[0:1], 0xc4
	s_cmp_lt_u32 s22, 2
	s_waitcnt lgkmcnt(0)
	v_mul_hi_u32 v18, s5, v22
	s_delay_alu instid0(VALU_DEP_1) | instskip(NEXT) | instid1(VALU_DEP_1)
	v_add_nc_u32_e32 v18, v22, v18
	v_lshrrev_b32_e32 v23, s6, v18
	s_delay_alu instid0(VALU_DEP_1) | instskip(NEXT) | instid1(VALU_DEP_1)
	v_mul_lo_u32 v18, v23, s4
	v_sub_nc_u32_e32 v19, v22, v18
	s_delay_alu instid0(VALU_DEP_1)
	v_mul_lo_u32 v18, v19, s8
	v_mul_lo_u32 v20, v19, s9
	;; [unrolled: 1-line block ×3, first 2 shown]
	s_cbranch_scc1 .LBB165_86
; %bb.85:
	s_clause 0x1
	s_load_b128 s[4:7], s[0:1], 0x10
	s_load_b128 s[8:11], s[0:1], 0xd0
	s_waitcnt lgkmcnt(0)
	v_mul_hi_u32 v22, s5, v23
	s_delay_alu instid0(VALU_DEP_1) | instskip(NEXT) | instid1(VALU_DEP_1)
	v_add_nc_u32_e32 v22, v23, v22
	v_lshrrev_b32_e32 v22, s6, v22
	s_delay_alu instid0(VALU_DEP_1) | instskip(NEXT) | instid1(VALU_DEP_1)
	v_mul_lo_u32 v22, v22, s4
	v_sub_nc_u32_e32 v28, v23, v22
	s_delay_alu instid0(VALU_DEP_1) | instskip(SKIP_2) | instid1(VALU_DEP_3)
	v_mad_u64_u32 v[25:26], null, v28, s9, v[20:21]
	v_mad_u64_u32 v[22:23], null, v28, s8, v[18:19]
	;; [unrolled: 1-line block ×3, first 2 shown]
	v_mov_b32_e32 v20, v25
	s_delay_alu instid0(VALU_DEP_3) | instskip(NEXT) | instid1(VALU_DEP_3)
	v_mov_b32_e32 v18, v22
	v_mov_b32_e32 v19, v26
.LBB165_86:
	v_cmp_ne_u32_e32 vcc_lo, 1, v21
	s_cbranch_vccnz .LBB165_92
; %bb.87:
	v_dual_mov_b32 v21, 0 :: v_dual_mov_b32 v22, 0
	v_mov_b32_e32 v23, 0
	s_cmp_lg_u32 s22, 0
	s_mov_b32 s4, 0
	s_cbranch_scc0 .LBB165_93
; %bb.88:
	s_min_u32 s5, s23, 15
	v_dual_mov_b32 v22, 0 :: v_dual_mov_b32 v23, 0
	s_add_i32 s2, s5, 1
	v_mov_b32_e32 v21, 0
	v_mov_b32_e32 v25, v24
	s_and_b32 s6, s2, 30
	s_add_u32 s2, s0, 0xffffffec
	s_addc_u32 s3, s1, -1
	s_set_inst_prefetch_distance 0x1
	.p2align	6
.LBB165_89:                             ; =>This Inner Loop Header: Depth=1
	s_clause 0x2
	s_load_b128 s[8:11], s[2:3], 0x18
	s_load_b64 s[16:17], s[2:3], 0x28
	s_load_b128 s[12:15], s[2:3], 0xd8
	s_waitcnt lgkmcnt(0)
	v_mul_hi_u32 v26, s9, v25
	s_delay_alu instid0(VALU_DEP_1) | instskip(NEXT) | instid1(VALU_DEP_1)
	v_add_nc_u32_e32 v26, v25, v26
	v_lshrrev_b32_e32 v26, s10, v26
	s_delay_alu instid0(VALU_DEP_1)
	v_mul_hi_u32 v27, s16, v26
	v_mul_lo_u32 v28, v26, s8
	s_load_b64 s[8:9], s[2:3], 0xe8
	s_add_u32 s2, s2, 24
	s_addc_u32 s3, s3, 0
	s_add_i32 s6, s6, -2
	s_delay_alu instid0(SALU_CYCLE_1) | instskip(NEXT) | instid1(VALU_DEP_2)
	s_cmp_lg_u32 s6, 0
	v_add_nc_u32_e32 v27, v26, v27
	s_delay_alu instid0(VALU_DEP_2) | instskip(NEXT) | instid1(VALU_DEP_2)
	v_sub_nc_u32_e32 v28, v25, v28
	v_lshrrev_b32_e32 v25, s17, v27
	s_delay_alu instid0(VALU_DEP_2) | instskip(NEXT) | instid1(VALU_DEP_2)
	v_mul_lo_u32 v29, v28, s12
	v_mul_lo_u32 v27, v25, s11
	s_delay_alu instid0(VALU_DEP_1) | instskip(SKIP_2) | instid1(VALU_DEP_3)
	v_sub_nc_u32_e32 v26, v26, v27
	v_mul_lo_u32 v27, v28, s13
	v_mul_lo_u32 v28, v28, s14
	;; [unrolled: 1-line block ×3, first 2 shown]
	s_waitcnt lgkmcnt(0)
	v_mul_lo_u32 v31, v26, s8
	v_mul_lo_u32 v26, v26, s9
	s_delay_alu instid0(VALU_DEP_3) | instskip(NEXT) | instid1(VALU_DEP_3)
	v_add3_u32 v21, v29, v21, v30
	v_add3_u32 v23, v27, v23, v31
	s_delay_alu instid0(VALU_DEP_3)
	v_add3_u32 v22, v28, v22, v26
	s_cbranch_scc1 .LBB165_89
; %bb.90:
	s_set_inst_prefetch_distance 0x2
	s_bitcmp1_b32 s5, 0
	s_cselect_b32 s5, -1, 0
	s_delay_alu instid0(SALU_CYCLE_1)
	s_and_b32 vcc_lo, exec_lo, s5
	s_cbranch_vccnz .LBB165_93
; %bb.91:
	s_clause 0x3
	s_load_b64 s[6:7], s[2:3], 0x18
	s_load_b32 s5, s[2:3], 0x20
	s_load_b64 s[8:9], s[2:3], 0xd8
	s_load_b32 s2, s[2:3], 0xe0
	s_waitcnt lgkmcnt(0)
	v_mul_hi_u32 v26, s7, v25
	s_delay_alu instid0(VALU_DEP_1) | instskip(NEXT) | instid1(VALU_DEP_1)
	v_add_nc_u32_e32 v26, v25, v26
	v_lshrrev_b32_e32 v26, s5, v26
	s_delay_alu instid0(VALU_DEP_1) | instskip(NEXT) | instid1(VALU_DEP_1)
	v_mul_lo_u32 v26, v26, s6
	v_sub_nc_u32_e32 v29, v25, v26
	s_delay_alu instid0(VALU_DEP_1) | instskip(SKIP_2) | instid1(VALU_DEP_3)
	v_mad_u64_u32 v[25:26], null, v29, s8, v[21:22]
	v_mad_u64_u32 v[26:27], null, v29, s9, v[23:24]
	;; [unrolled: 1-line block ×3, first 2 shown]
	v_mov_b32_e32 v21, v25
	s_delay_alu instid0(VALU_DEP_2)
	v_dual_mov_b32 v23, v26 :: v_dual_mov_b32 v22, v27
	s_branch .LBB165_93
.LBB165_92:
	s_mov_b32 s4, -1
                                        ; implicit-def: $vgpr21
                                        ; implicit-def: $vgpr23
                                        ; implicit-def: $vgpr22
.LBB165_93:
	s_delay_alu instid0(SALU_CYCLE_1)
	s_and_not1_b32 vcc_lo, exec_lo, s4
	s_cbranch_vccnz .LBB165_96
; %bb.94:
	s_clause 0x1
	s_load_b128 s[4:7], s[0:1], 0x4
	s_load_b128 s[8:11], s[0:1], 0xc4
	s_cmp_lt_u32 s22, 2
	s_waitcnt lgkmcnt(0)
	v_mul_hi_u32 v21, s5, v24
	s_delay_alu instid0(VALU_DEP_1) | instskip(NEXT) | instid1(VALU_DEP_1)
	v_add_nc_u32_e32 v21, v24, v21
	v_lshrrev_b32_e32 v25, s6, v21
	s_delay_alu instid0(VALU_DEP_1) | instskip(NEXT) | instid1(VALU_DEP_1)
	v_mul_lo_u32 v21, v25, s4
	v_sub_nc_u32_e32 v22, v24, v21
	s_delay_alu instid0(VALU_DEP_1)
	v_mul_lo_u32 v21, v22, s8
	v_mul_lo_u32 v23, v22, s9
	;; [unrolled: 1-line block ×3, first 2 shown]
	s_cbranch_scc1 .LBB165_96
; %bb.95:
	s_clause 0x1
	s_load_b128 s[4:7], s[0:1], 0x10
	s_load_b128 s[8:11], s[0:1], 0xd0
	s_waitcnt lgkmcnt(0)
	v_mul_hi_u32 v24, s5, v25
	s_delay_alu instid0(VALU_DEP_1) | instskip(NEXT) | instid1(VALU_DEP_1)
	v_add_nc_u32_e32 v24, v25, v24
	v_lshrrev_b32_e32 v24, s6, v24
	s_delay_alu instid0(VALU_DEP_1) | instskip(NEXT) | instid1(VALU_DEP_1)
	v_mul_lo_u32 v24, v24, s4
	v_sub_nc_u32_e32 v28, v25, v24
	s_delay_alu instid0(VALU_DEP_1) | instskip(NEXT) | instid1(VALU_DEP_1)
	v_mad_u64_u32 v[24:25], null, v28, s8, v[21:22]
	v_mad_u64_u32 v[25:26], null, v28, s9, v[23:24]
	;; [unrolled: 1-line block ×3, first 2 shown]
	v_mov_b32_e32 v21, v24
	s_delay_alu instid0(VALU_DEP_2)
	v_dual_mov_b32 v23, v25 :: v_dual_mov_b32 v22, v26
.LBB165_96:
	s_clause 0x2
	s_load_b64 s[2:3], s[0:1], 0x198
	s_load_b128 s[4:7], s[0:1], 0x188
	s_load_b32 s0, s[0:1], 0x1a0
	s_waitcnt lgkmcnt(0)
	global_load_u8 v1, v1, s[2:3]
	global_load_u16 v2, v2, s[6:7]
	global_load_u8 v4, v4, s[2:3]
	global_load_u16 v5, v5, s[6:7]
	;; [unrolled: 2-line block ×8, first 2 shown]
	s_waitcnt vmcnt(15)
	v_cvt_f32_ubyte0_e32 v1, v1
	s_waitcnt vmcnt(14)
	v_cvt_f32_f16_e32 v2, v2
	s_waitcnt vmcnt(13)
	v_cvt_f32_ubyte0_e32 v4, v4
	s_waitcnt vmcnt(12)
	v_cvt_f32_f16_e32 v5, v5
	;; [unrolled: 4-line block ×8, first 2 shown]
	v_dual_mul_f32 v1, v2, v1 :: v_dual_mul_f32 v2, v5, v4
	v_dual_mul_f32 v4, v8, v7 :: v_dual_mul_f32 v5, v11, v10
	v_dual_mul_f32 v7, v14, v13 :: v_dual_mul_f32 v8, v17, v16
	s_delay_alu instid0(VALU_DEP_4) | instskip(NEXT) | instid1(VALU_DEP_4)
	v_dual_mul_f32 v10, v20, v19 :: v_dual_mul_f32 v11, v23, v22
	v_fma_mixlo_f16 v1, s0, v1, 0
	v_fma_mixlo_f16 v2, s0, v2, 0
	;; [unrolled: 1-line block ×8, first 2 shown]
	s_clause 0x7
	global_store_b16 v0, v1, s[4:5]
	global_store_b16 v3, v2, s[4:5]
	global_store_b16 v6, v4, s[4:5]
	global_store_b16 v9, v5, s[4:5]
	global_store_b16 v12, v7, s[4:5]
	global_store_b16 v15, v8, s[4:5]
	global_store_b16 v18, v10, s[4:5]
	global_store_b16 v21, v11, s[4:5]
	s_nop 0
	s_sendmsg sendmsg(MSG_DEALLOC_VGPRS)
	s_endpgm
.LBB165_97:
	s_mov_b32 s33, -1
                                        ; implicit-def: $vgpr0
                                        ; implicit-def: $vgpr2
                                        ; implicit-def: $vgpr1
.LBB165_98:
	s_delay_alu instid0(SALU_CYCLE_1)
	s_and_not1_b32 vcc_lo, exec_lo, s33
	s_cbranch_vccnz .LBB165_101
; %bb.99:
	s_waitcnt lgkmcnt(0)
	v_mul_hi_u32 v0, s13, v18
	s_and_not1_b32 vcc_lo, exec_lo, s27
	s_delay_alu instid0(VALU_DEP_1) | instskip(NEXT) | instid1(VALU_DEP_1)
	v_add_nc_u32_e32 v0, v18, v0
	v_lshrrev_b32_e32 v3, s14, v0
	s_delay_alu instid0(VALU_DEP_1) | instskip(NEXT) | instid1(VALU_DEP_1)
	v_mul_lo_u32 v0, v3, s12
	v_sub_nc_u32_e32 v1, v18, v0
	s_delay_alu instid0(VALU_DEP_1)
	v_mul_lo_u32 v0, v1, s8
	v_mul_lo_u32 v2, v1, s9
	;; [unrolled: 1-line block ×3, first 2 shown]
	s_cbranch_vccnz .LBB165_101
; %bb.100:
	v_mul_hi_u32 v4, s18, v3
	s_delay_alu instid0(VALU_DEP_1) | instskip(NEXT) | instid1(VALU_DEP_1)
	v_add_nc_u32_e32 v4, v3, v4
	v_lshrrev_b32_e32 v4, s19, v4
	s_delay_alu instid0(VALU_DEP_1) | instskip(NEXT) | instid1(VALU_DEP_1)
	v_mul_lo_u32 v4, v4, s15
	v_sub_nc_u32_e32 v7, v3, v4
	s_delay_alu instid0(VALU_DEP_1) | instskip(NEXT) | instid1(VALU_DEP_1)
	v_mad_u64_u32 v[3:4], null, v7, s11, v[0:1]
	v_mad_u64_u32 v[4:5], null, v7, s16, v[2:3]
	;; [unrolled: 1-line block ×3, first 2 shown]
	v_mov_b32_e32 v0, v3
	s_delay_alu instid0(VALU_DEP_2)
	v_dual_mov_b32 v2, v4 :: v_dual_mov_b32 v1, v5
.LBB165_101:
	s_waitcnt lgkmcnt(0)
	global_load_u8 v1, v1, s[2:3]
	global_load_u16 v2, v2, s[6:7]
	v_add_nc_u32_e32 v18, 0x80, v18
	s_waitcnt vmcnt(1)
	v_cvt_f32_ubyte0_e32 v1, v1
	s_waitcnt vmcnt(0)
	v_cvt_f32_f16_e32 v2, v2
	s_delay_alu instid0(VALU_DEP_1) | instskip(NEXT) | instid1(VALU_DEP_1)
	v_mul_f32_e32 v1, v2, v1
	v_fma_mixlo_f16 v1, s26, v1, 0
	global_store_b16 v0, v1, s[4:5]
	s_or_b32 exec_lo, exec_lo, s31
	s_delay_alu instid0(SALU_CYCLE_1)
	s_mov_b32 s31, exec_lo
	v_cmpx_gt_i32_e64 s29, v18
	s_cbranch_execnz .LBB165_16
.LBB165_102:
	s_or_b32 exec_lo, exec_lo, s31
	s_delay_alu instid0(SALU_CYCLE_1)
	s_mov_b32 s31, exec_lo
	v_cmpx_gt_i32_e64 s29, v18
	s_cbranch_execz .LBB165_114
.LBB165_103:
	s_and_not1_b32 vcc_lo, exec_lo, s24
	s_cbranch_vccnz .LBB165_121
; %bb.104:
	v_dual_mov_b32 v0, 0 :: v_dual_mov_b32 v1, 0
	v_mov_b32_e32 v2, 0
	s_and_not1_b32 vcc_lo, exec_lo, s30
	s_mov_b32 s33, 0
	s_cbranch_vccnz .LBB165_122
; %bb.105:
	s_add_i32 s20, s28, 1
	v_dual_mov_b32 v1, 0 :: v_dual_mov_b32 v2, 0
	v_dual_mov_b32 v0, 0 :: v_dual_mov_b32 v3, v18
	s_and_b32 s34, s20, 30
	s_add_u32 s20, s0, 0xffffffec
	s_addc_u32 s21, s1, -1
	s_set_inst_prefetch_distance 0x1
	.p2align	6
.LBB165_106:                            ; =>This Inner Loop Header: Depth=1
	s_clause 0x2
	s_load_b128 s[36:39], s[20:21], 0x18
	s_load_b64 s[44:45], s[20:21], 0x28
	s_load_b128 s[40:43], s[20:21], 0xd8
	s_waitcnt lgkmcnt(0)
	v_mul_hi_u32 v4, s37, v3
	s_delay_alu instid0(VALU_DEP_1) | instskip(NEXT) | instid1(VALU_DEP_1)
	v_add_nc_u32_e32 v4, v3, v4
	v_lshrrev_b32_e32 v4, s38, v4
	s_delay_alu instid0(VALU_DEP_1)
	v_mul_hi_u32 v5, s44, v4
	v_mul_lo_u32 v6, v4, s36
	s_load_b64 s[36:37], s[20:21], 0xe8
	s_add_u32 s20, s20, 24
	s_addc_u32 s21, s21, 0
	s_add_i32 s34, s34, -2
	s_delay_alu instid0(SALU_CYCLE_1) | instskip(NEXT) | instid1(VALU_DEP_2)
	s_cmp_eq_u32 s34, 0
	v_add_nc_u32_e32 v5, v4, v5
	s_delay_alu instid0(VALU_DEP_2) | instskip(NEXT) | instid1(VALU_DEP_2)
	v_sub_nc_u32_e32 v6, v3, v6
	v_lshrrev_b32_e32 v3, s45, v5
	s_delay_alu instid0(VALU_DEP_2) | instskip(NEXT) | instid1(VALU_DEP_2)
	v_mul_lo_u32 v7, v6, s40
	v_mul_lo_u32 v5, v3, s39
	s_delay_alu instid0(VALU_DEP_1) | instskip(SKIP_2) | instid1(VALU_DEP_3)
	v_sub_nc_u32_e32 v4, v4, v5
	v_mul_lo_u32 v5, v6, s41
	v_mul_lo_u32 v6, v6, s42
	;; [unrolled: 1-line block ×3, first 2 shown]
	s_waitcnt lgkmcnt(0)
	v_mul_lo_u32 v9, v4, s36
	v_mul_lo_u32 v4, v4, s37
	s_delay_alu instid0(VALU_DEP_3) | instskip(NEXT) | instid1(VALU_DEP_3)
	v_add3_u32 v0, v7, v0, v8
	v_add3_u32 v2, v5, v2, v9
	s_delay_alu instid0(VALU_DEP_3)
	v_add3_u32 v1, v6, v1, v4
	s_cbranch_scc0 .LBB165_106
; %bb.107:
	s_set_inst_prefetch_distance 0x2
	s_bitcmp1_b32 s28, 0
	s_cselect_b32 s34, -1, 0
	s_delay_alu instid0(SALU_CYCLE_1)
	s_and_b32 vcc_lo, exec_lo, s34
	s_cbranch_vccnz .LBB165_122
; %bb.108:
	s_clause 0x3
	s_load_b64 s[34:35], s[20:21], 0x18
	s_load_b32 s38, s[20:21], 0x20
	s_load_b64 s[36:37], s[20:21], 0xd8
	s_load_b32 s20, s[20:21], 0xe0
	s_waitcnt lgkmcnt(0)
	v_mul_hi_u32 v4, s35, v3
	s_delay_alu instid0(VALU_DEP_1) | instskip(NEXT) | instid1(VALU_DEP_1)
	v_add_nc_u32_e32 v4, v3, v4
	v_lshrrev_b32_e32 v4, s38, v4
	s_delay_alu instid0(VALU_DEP_1) | instskip(NEXT) | instid1(VALU_DEP_1)
	v_mul_lo_u32 v4, v4, s34
	v_sub_nc_u32_e32 v7, v3, v4
	s_delay_alu instid0(VALU_DEP_1) | instskip(NEXT) | instid1(VALU_DEP_1)
	v_mad_u64_u32 v[3:4], null, v7, s36, v[0:1]
	v_mad_u64_u32 v[4:5], null, v7, s37, v[2:3]
	v_mad_u64_u32 v[5:6], null, v7, s20, v[1:2]
	v_mov_b32_e32 v0, v3
	s_delay_alu instid0(VALU_DEP_2)
	v_dual_mov_b32 v2, v4 :: v_dual_mov_b32 v1, v5
	s_branch .LBB165_122
.LBB165_109:
	s_mov_b32 s33, -1
                                        ; implicit-def: $vgpr0
                                        ; implicit-def: $vgpr2
                                        ; implicit-def: $vgpr1
.LBB165_110:
	s_delay_alu instid0(SALU_CYCLE_1)
	s_and_not1_b32 vcc_lo, exec_lo, s33
	s_cbranch_vccnz .LBB165_113
; %bb.111:
	s_waitcnt lgkmcnt(0)
	v_mul_hi_u32 v0, s13, v18
	s_and_not1_b32 vcc_lo, exec_lo, s27
	s_delay_alu instid0(VALU_DEP_1) | instskip(NEXT) | instid1(VALU_DEP_1)
	v_add_nc_u32_e32 v0, v18, v0
	v_lshrrev_b32_e32 v3, s14, v0
	s_delay_alu instid0(VALU_DEP_1) | instskip(NEXT) | instid1(VALU_DEP_1)
	v_mul_lo_u32 v0, v3, s12
	v_sub_nc_u32_e32 v1, v18, v0
	s_delay_alu instid0(VALU_DEP_1)
	v_mul_lo_u32 v0, v1, s8
	v_mul_lo_u32 v2, v1, s9
	;; [unrolled: 1-line block ×3, first 2 shown]
	s_cbranch_vccnz .LBB165_113
; %bb.112:
	v_mul_hi_u32 v4, s18, v3
	s_delay_alu instid0(VALU_DEP_1) | instskip(NEXT) | instid1(VALU_DEP_1)
	v_add_nc_u32_e32 v4, v3, v4
	v_lshrrev_b32_e32 v4, s19, v4
	s_delay_alu instid0(VALU_DEP_1) | instskip(NEXT) | instid1(VALU_DEP_1)
	v_mul_lo_u32 v4, v4, s15
	v_sub_nc_u32_e32 v7, v3, v4
	s_delay_alu instid0(VALU_DEP_1) | instskip(NEXT) | instid1(VALU_DEP_1)
	v_mad_u64_u32 v[3:4], null, v7, s11, v[0:1]
	v_mad_u64_u32 v[4:5], null, v7, s16, v[2:3]
	;; [unrolled: 1-line block ×3, first 2 shown]
	v_mov_b32_e32 v0, v3
	s_delay_alu instid0(VALU_DEP_2)
	v_dual_mov_b32 v2, v4 :: v_dual_mov_b32 v1, v5
.LBB165_113:
	s_waitcnt lgkmcnt(0)
	global_load_u8 v1, v1, s[2:3]
	global_load_u16 v2, v2, s[6:7]
	v_add_nc_u32_e32 v18, 0x80, v18
	s_waitcnt vmcnt(1)
	v_cvt_f32_ubyte0_e32 v1, v1
	s_waitcnt vmcnt(0)
	v_cvt_f32_f16_e32 v2, v2
	s_delay_alu instid0(VALU_DEP_1) | instskip(NEXT) | instid1(VALU_DEP_1)
	v_mul_f32_e32 v1, v2, v1
	v_fma_mixlo_f16 v1, s26, v1, 0
	global_store_b16 v0, v1, s[4:5]
	s_or_b32 exec_lo, exec_lo, s31
	s_delay_alu instid0(SALU_CYCLE_1)
	s_mov_b32 s31, exec_lo
	v_cmpx_gt_i32_e64 s29, v18
	s_cbranch_execnz .LBB165_103
.LBB165_114:
	s_or_b32 exec_lo, exec_lo, s31
	s_delay_alu instid0(SALU_CYCLE_1)
	s_mov_b32 s31, exec_lo
	v_cmpx_gt_i32_e64 s29, v18
	s_cbranch_execz .LBB165_126
.LBB165_115:
	s_and_not1_b32 vcc_lo, exec_lo, s24
	s_cbranch_vccnz .LBB165_133
; %bb.116:
	v_dual_mov_b32 v0, 0 :: v_dual_mov_b32 v1, 0
	v_mov_b32_e32 v2, 0
	s_and_not1_b32 vcc_lo, exec_lo, s30
	s_mov_b32 s33, 0
	s_cbranch_vccnz .LBB165_134
; %bb.117:
	s_add_i32 s20, s28, 1
	v_dual_mov_b32 v1, 0 :: v_dual_mov_b32 v2, 0
	v_dual_mov_b32 v0, 0 :: v_dual_mov_b32 v3, v18
	s_and_b32 s34, s20, 30
	s_add_u32 s20, s0, 0xffffffec
	s_addc_u32 s21, s1, -1
	s_set_inst_prefetch_distance 0x1
	.p2align	6
.LBB165_118:                            ; =>This Inner Loop Header: Depth=1
	s_clause 0x2
	s_load_b128 s[36:39], s[20:21], 0x18
	s_load_b64 s[44:45], s[20:21], 0x28
	s_load_b128 s[40:43], s[20:21], 0xd8
	s_waitcnt lgkmcnt(0)
	v_mul_hi_u32 v4, s37, v3
	s_delay_alu instid0(VALU_DEP_1) | instskip(NEXT) | instid1(VALU_DEP_1)
	v_add_nc_u32_e32 v4, v3, v4
	v_lshrrev_b32_e32 v4, s38, v4
	s_delay_alu instid0(VALU_DEP_1)
	v_mul_hi_u32 v5, s44, v4
	v_mul_lo_u32 v6, v4, s36
	s_load_b64 s[36:37], s[20:21], 0xe8
	s_add_u32 s20, s20, 24
	s_addc_u32 s21, s21, 0
	s_add_i32 s34, s34, -2
	s_delay_alu instid0(SALU_CYCLE_1) | instskip(NEXT) | instid1(VALU_DEP_2)
	s_cmp_eq_u32 s34, 0
	v_add_nc_u32_e32 v5, v4, v5
	s_delay_alu instid0(VALU_DEP_2) | instskip(NEXT) | instid1(VALU_DEP_2)
	v_sub_nc_u32_e32 v6, v3, v6
	v_lshrrev_b32_e32 v3, s45, v5
	s_delay_alu instid0(VALU_DEP_2) | instskip(NEXT) | instid1(VALU_DEP_2)
	v_mul_lo_u32 v7, v6, s40
	v_mul_lo_u32 v5, v3, s39
	s_delay_alu instid0(VALU_DEP_1) | instskip(SKIP_2) | instid1(VALU_DEP_3)
	v_sub_nc_u32_e32 v4, v4, v5
	v_mul_lo_u32 v5, v6, s41
	v_mul_lo_u32 v6, v6, s42
	;; [unrolled: 1-line block ×3, first 2 shown]
	s_waitcnt lgkmcnt(0)
	v_mul_lo_u32 v9, v4, s36
	v_mul_lo_u32 v4, v4, s37
	s_delay_alu instid0(VALU_DEP_3) | instskip(NEXT) | instid1(VALU_DEP_3)
	v_add3_u32 v0, v7, v0, v8
	v_add3_u32 v2, v5, v2, v9
	s_delay_alu instid0(VALU_DEP_3)
	v_add3_u32 v1, v6, v1, v4
	s_cbranch_scc0 .LBB165_118
; %bb.119:
	s_set_inst_prefetch_distance 0x2
	s_bitcmp1_b32 s28, 0
	s_cselect_b32 s34, -1, 0
	s_delay_alu instid0(SALU_CYCLE_1)
	s_and_b32 vcc_lo, exec_lo, s34
	s_cbranch_vccnz .LBB165_134
; %bb.120:
	s_clause 0x3
	s_load_b64 s[34:35], s[20:21], 0x18
	s_load_b32 s38, s[20:21], 0x20
	s_load_b64 s[36:37], s[20:21], 0xd8
	s_load_b32 s20, s[20:21], 0xe0
	s_waitcnt lgkmcnt(0)
	v_mul_hi_u32 v4, s35, v3
	s_delay_alu instid0(VALU_DEP_1) | instskip(NEXT) | instid1(VALU_DEP_1)
	v_add_nc_u32_e32 v4, v3, v4
	v_lshrrev_b32_e32 v4, s38, v4
	s_delay_alu instid0(VALU_DEP_1) | instskip(NEXT) | instid1(VALU_DEP_1)
	v_mul_lo_u32 v4, v4, s34
	v_sub_nc_u32_e32 v7, v3, v4
	s_delay_alu instid0(VALU_DEP_1) | instskip(NEXT) | instid1(VALU_DEP_1)
	v_mad_u64_u32 v[3:4], null, v7, s36, v[0:1]
	v_mad_u64_u32 v[4:5], null, v7, s37, v[2:3]
	;; [unrolled: 1-line block ×3, first 2 shown]
	v_mov_b32_e32 v0, v3
	s_delay_alu instid0(VALU_DEP_2)
	v_dual_mov_b32 v2, v4 :: v_dual_mov_b32 v1, v5
	s_branch .LBB165_134
.LBB165_121:
	s_mov_b32 s33, -1
                                        ; implicit-def: $vgpr0
                                        ; implicit-def: $vgpr2
                                        ; implicit-def: $vgpr1
.LBB165_122:
	s_delay_alu instid0(SALU_CYCLE_1)
	s_and_not1_b32 vcc_lo, exec_lo, s33
	s_cbranch_vccnz .LBB165_125
; %bb.123:
	s_waitcnt lgkmcnt(0)
	v_mul_hi_u32 v0, s13, v18
	s_and_not1_b32 vcc_lo, exec_lo, s27
	s_delay_alu instid0(VALU_DEP_1) | instskip(NEXT) | instid1(VALU_DEP_1)
	v_add_nc_u32_e32 v0, v18, v0
	v_lshrrev_b32_e32 v3, s14, v0
	s_delay_alu instid0(VALU_DEP_1) | instskip(NEXT) | instid1(VALU_DEP_1)
	v_mul_lo_u32 v0, v3, s12
	v_sub_nc_u32_e32 v1, v18, v0
	s_delay_alu instid0(VALU_DEP_1)
	v_mul_lo_u32 v0, v1, s8
	v_mul_lo_u32 v2, v1, s9
	;; [unrolled: 1-line block ×3, first 2 shown]
	s_cbranch_vccnz .LBB165_125
; %bb.124:
	v_mul_hi_u32 v4, s18, v3
	s_delay_alu instid0(VALU_DEP_1) | instskip(NEXT) | instid1(VALU_DEP_1)
	v_add_nc_u32_e32 v4, v3, v4
	v_lshrrev_b32_e32 v4, s19, v4
	s_delay_alu instid0(VALU_DEP_1) | instskip(NEXT) | instid1(VALU_DEP_1)
	v_mul_lo_u32 v4, v4, s15
	v_sub_nc_u32_e32 v7, v3, v4
	s_delay_alu instid0(VALU_DEP_1) | instskip(NEXT) | instid1(VALU_DEP_1)
	v_mad_u64_u32 v[3:4], null, v7, s11, v[0:1]
	v_mad_u64_u32 v[4:5], null, v7, s16, v[2:3]
	;; [unrolled: 1-line block ×3, first 2 shown]
	v_mov_b32_e32 v0, v3
	s_delay_alu instid0(VALU_DEP_2)
	v_dual_mov_b32 v2, v4 :: v_dual_mov_b32 v1, v5
.LBB165_125:
	s_waitcnt lgkmcnt(0)
	global_load_u8 v1, v1, s[2:3]
	global_load_u16 v2, v2, s[6:7]
	v_add_nc_u32_e32 v18, 0x80, v18
	s_waitcnt vmcnt(1)
	v_cvt_f32_ubyte0_e32 v1, v1
	s_waitcnt vmcnt(0)
	v_cvt_f32_f16_e32 v2, v2
	s_delay_alu instid0(VALU_DEP_1) | instskip(NEXT) | instid1(VALU_DEP_1)
	v_mul_f32_e32 v1, v2, v1
	v_fma_mixlo_f16 v1, s26, v1, 0
	global_store_b16 v0, v1, s[4:5]
	s_or_b32 exec_lo, exec_lo, s31
	s_delay_alu instid0(SALU_CYCLE_1)
	s_mov_b32 s31, exec_lo
	v_cmpx_gt_i32_e64 s29, v18
	s_cbranch_execnz .LBB165_115
.LBB165_126:
	s_or_b32 exec_lo, exec_lo, s31
	s_delay_alu instid0(SALU_CYCLE_1)
	s_mov_b32 s31, exec_lo
	v_cmpx_gt_i32_e64 s29, v18
	s_cbranch_execz .LBB165_138
.LBB165_127:
	s_and_not1_b32 vcc_lo, exec_lo, s24
	s_cbranch_vccnz .LBB165_145
; %bb.128:
	v_dual_mov_b32 v0, 0 :: v_dual_mov_b32 v1, 0
	v_mov_b32_e32 v2, 0
	s_and_not1_b32 vcc_lo, exec_lo, s30
	s_mov_b32 s33, 0
	s_cbranch_vccnz .LBB165_146
; %bb.129:
	s_add_i32 s20, s28, 1
	v_dual_mov_b32 v1, 0 :: v_dual_mov_b32 v2, 0
	v_dual_mov_b32 v0, 0 :: v_dual_mov_b32 v3, v18
	s_and_b32 s34, s20, 30
	s_add_u32 s20, s0, 0xffffffec
	s_addc_u32 s21, s1, -1
	s_set_inst_prefetch_distance 0x1
	.p2align	6
.LBB165_130:                            ; =>This Inner Loop Header: Depth=1
	s_clause 0x2
	s_load_b128 s[36:39], s[20:21], 0x18
	s_load_b64 s[44:45], s[20:21], 0x28
	s_load_b128 s[40:43], s[20:21], 0xd8
	s_waitcnt lgkmcnt(0)
	v_mul_hi_u32 v4, s37, v3
	s_delay_alu instid0(VALU_DEP_1) | instskip(NEXT) | instid1(VALU_DEP_1)
	v_add_nc_u32_e32 v4, v3, v4
	v_lshrrev_b32_e32 v4, s38, v4
	s_delay_alu instid0(VALU_DEP_1)
	v_mul_hi_u32 v5, s44, v4
	v_mul_lo_u32 v6, v4, s36
	s_load_b64 s[36:37], s[20:21], 0xe8
	s_add_u32 s20, s20, 24
	s_addc_u32 s21, s21, 0
	s_add_i32 s34, s34, -2
	s_delay_alu instid0(SALU_CYCLE_1) | instskip(NEXT) | instid1(VALU_DEP_2)
	s_cmp_eq_u32 s34, 0
	v_add_nc_u32_e32 v5, v4, v5
	s_delay_alu instid0(VALU_DEP_2) | instskip(NEXT) | instid1(VALU_DEP_2)
	v_sub_nc_u32_e32 v6, v3, v6
	v_lshrrev_b32_e32 v3, s45, v5
	s_delay_alu instid0(VALU_DEP_2) | instskip(NEXT) | instid1(VALU_DEP_2)
	v_mul_lo_u32 v7, v6, s40
	v_mul_lo_u32 v5, v3, s39
	s_delay_alu instid0(VALU_DEP_1) | instskip(SKIP_2) | instid1(VALU_DEP_3)
	v_sub_nc_u32_e32 v4, v4, v5
	v_mul_lo_u32 v5, v6, s41
	v_mul_lo_u32 v6, v6, s42
	;; [unrolled: 1-line block ×3, first 2 shown]
	s_waitcnt lgkmcnt(0)
	v_mul_lo_u32 v9, v4, s36
	v_mul_lo_u32 v4, v4, s37
	s_delay_alu instid0(VALU_DEP_3) | instskip(NEXT) | instid1(VALU_DEP_3)
	v_add3_u32 v0, v7, v0, v8
	v_add3_u32 v2, v5, v2, v9
	s_delay_alu instid0(VALU_DEP_3)
	v_add3_u32 v1, v6, v1, v4
	s_cbranch_scc0 .LBB165_130
; %bb.131:
	s_set_inst_prefetch_distance 0x2
	s_bitcmp1_b32 s28, 0
	s_cselect_b32 s34, -1, 0
	s_delay_alu instid0(SALU_CYCLE_1)
	s_and_b32 vcc_lo, exec_lo, s34
	s_cbranch_vccnz .LBB165_146
; %bb.132:
	s_clause 0x3
	s_load_b64 s[34:35], s[20:21], 0x18
	s_load_b32 s38, s[20:21], 0x20
	s_load_b64 s[36:37], s[20:21], 0xd8
	s_load_b32 s20, s[20:21], 0xe0
	s_waitcnt lgkmcnt(0)
	v_mul_hi_u32 v4, s35, v3
	s_delay_alu instid0(VALU_DEP_1) | instskip(NEXT) | instid1(VALU_DEP_1)
	v_add_nc_u32_e32 v4, v3, v4
	v_lshrrev_b32_e32 v4, s38, v4
	s_delay_alu instid0(VALU_DEP_1) | instskip(NEXT) | instid1(VALU_DEP_1)
	v_mul_lo_u32 v4, v4, s34
	v_sub_nc_u32_e32 v7, v3, v4
	s_delay_alu instid0(VALU_DEP_1) | instskip(NEXT) | instid1(VALU_DEP_1)
	v_mad_u64_u32 v[3:4], null, v7, s36, v[0:1]
	v_mad_u64_u32 v[4:5], null, v7, s37, v[2:3]
	;; [unrolled: 1-line block ×3, first 2 shown]
	v_mov_b32_e32 v0, v3
	s_delay_alu instid0(VALU_DEP_2)
	v_dual_mov_b32 v2, v4 :: v_dual_mov_b32 v1, v5
	s_branch .LBB165_146
.LBB165_133:
	s_mov_b32 s33, -1
                                        ; implicit-def: $vgpr0
                                        ; implicit-def: $vgpr2
                                        ; implicit-def: $vgpr1
.LBB165_134:
	s_delay_alu instid0(SALU_CYCLE_1)
	s_and_not1_b32 vcc_lo, exec_lo, s33
	s_cbranch_vccnz .LBB165_137
; %bb.135:
	s_waitcnt lgkmcnt(0)
	v_mul_hi_u32 v0, s13, v18
	s_and_not1_b32 vcc_lo, exec_lo, s27
	s_delay_alu instid0(VALU_DEP_1) | instskip(NEXT) | instid1(VALU_DEP_1)
	v_add_nc_u32_e32 v0, v18, v0
	v_lshrrev_b32_e32 v3, s14, v0
	s_delay_alu instid0(VALU_DEP_1) | instskip(NEXT) | instid1(VALU_DEP_1)
	v_mul_lo_u32 v0, v3, s12
	v_sub_nc_u32_e32 v1, v18, v0
	s_delay_alu instid0(VALU_DEP_1)
	v_mul_lo_u32 v0, v1, s8
	v_mul_lo_u32 v2, v1, s9
	;; [unrolled: 1-line block ×3, first 2 shown]
	s_cbranch_vccnz .LBB165_137
; %bb.136:
	v_mul_hi_u32 v4, s18, v3
	s_delay_alu instid0(VALU_DEP_1) | instskip(NEXT) | instid1(VALU_DEP_1)
	v_add_nc_u32_e32 v4, v3, v4
	v_lshrrev_b32_e32 v4, s19, v4
	s_delay_alu instid0(VALU_DEP_1) | instskip(NEXT) | instid1(VALU_DEP_1)
	v_mul_lo_u32 v4, v4, s15
	v_sub_nc_u32_e32 v7, v3, v4
	s_delay_alu instid0(VALU_DEP_1) | instskip(NEXT) | instid1(VALU_DEP_1)
	v_mad_u64_u32 v[3:4], null, v7, s11, v[0:1]
	v_mad_u64_u32 v[4:5], null, v7, s16, v[2:3]
	;; [unrolled: 1-line block ×3, first 2 shown]
	v_mov_b32_e32 v0, v3
	s_delay_alu instid0(VALU_DEP_2)
	v_dual_mov_b32 v2, v4 :: v_dual_mov_b32 v1, v5
.LBB165_137:
	s_waitcnt lgkmcnt(0)
	global_load_u8 v1, v1, s[2:3]
	global_load_u16 v2, v2, s[6:7]
	v_add_nc_u32_e32 v18, 0x80, v18
	s_waitcnt vmcnt(1)
	v_cvt_f32_ubyte0_e32 v1, v1
	s_waitcnt vmcnt(0)
	v_cvt_f32_f16_e32 v2, v2
	s_delay_alu instid0(VALU_DEP_1) | instskip(NEXT) | instid1(VALU_DEP_1)
	v_mul_f32_e32 v1, v2, v1
	v_fma_mixlo_f16 v1, s26, v1, 0
	global_store_b16 v0, v1, s[4:5]
	s_or_b32 exec_lo, exec_lo, s31
	s_delay_alu instid0(SALU_CYCLE_1)
	s_mov_b32 s31, exec_lo
	v_cmpx_gt_i32_e64 s29, v18
	s_cbranch_execnz .LBB165_127
.LBB165_138:
	s_or_b32 exec_lo, exec_lo, s31
	s_delay_alu instid0(SALU_CYCLE_1)
	s_mov_b32 s31, exec_lo
	v_cmpx_gt_i32_e64 s29, v18
	s_cbranch_execz .LBB165_150
.LBB165_139:
	s_and_not1_b32 vcc_lo, exec_lo, s24
	s_cbranch_vccnz .LBB165_157
; %bb.140:
	v_dual_mov_b32 v0, 0 :: v_dual_mov_b32 v1, 0
	v_mov_b32_e32 v2, 0
	s_and_not1_b32 vcc_lo, exec_lo, s30
	s_mov_b32 s33, 0
	s_cbranch_vccnz .LBB165_158
; %bb.141:
	s_add_i32 s20, s28, 1
	v_dual_mov_b32 v1, 0 :: v_dual_mov_b32 v2, 0
	v_dual_mov_b32 v0, 0 :: v_dual_mov_b32 v3, v18
	s_and_b32 s34, s20, 30
	s_add_u32 s20, s0, 0xffffffec
	s_addc_u32 s21, s1, -1
	s_set_inst_prefetch_distance 0x1
	.p2align	6
.LBB165_142:                            ; =>This Inner Loop Header: Depth=1
	s_clause 0x2
	s_load_b128 s[36:39], s[20:21], 0x18
	s_load_b64 s[44:45], s[20:21], 0x28
	s_load_b128 s[40:43], s[20:21], 0xd8
	s_waitcnt lgkmcnt(0)
	v_mul_hi_u32 v4, s37, v3
	s_delay_alu instid0(VALU_DEP_1) | instskip(NEXT) | instid1(VALU_DEP_1)
	v_add_nc_u32_e32 v4, v3, v4
	v_lshrrev_b32_e32 v4, s38, v4
	s_delay_alu instid0(VALU_DEP_1)
	v_mul_hi_u32 v5, s44, v4
	v_mul_lo_u32 v6, v4, s36
	s_load_b64 s[36:37], s[20:21], 0xe8
	s_add_u32 s20, s20, 24
	s_addc_u32 s21, s21, 0
	s_add_i32 s34, s34, -2
	s_delay_alu instid0(SALU_CYCLE_1) | instskip(NEXT) | instid1(VALU_DEP_2)
	s_cmp_eq_u32 s34, 0
	v_add_nc_u32_e32 v5, v4, v5
	s_delay_alu instid0(VALU_DEP_2) | instskip(NEXT) | instid1(VALU_DEP_2)
	v_sub_nc_u32_e32 v6, v3, v6
	v_lshrrev_b32_e32 v3, s45, v5
	s_delay_alu instid0(VALU_DEP_2) | instskip(NEXT) | instid1(VALU_DEP_2)
	v_mul_lo_u32 v7, v6, s40
	v_mul_lo_u32 v5, v3, s39
	s_delay_alu instid0(VALU_DEP_1) | instskip(SKIP_2) | instid1(VALU_DEP_3)
	v_sub_nc_u32_e32 v4, v4, v5
	v_mul_lo_u32 v5, v6, s41
	v_mul_lo_u32 v6, v6, s42
	;; [unrolled: 1-line block ×3, first 2 shown]
	s_waitcnt lgkmcnt(0)
	v_mul_lo_u32 v9, v4, s36
	v_mul_lo_u32 v4, v4, s37
	s_delay_alu instid0(VALU_DEP_3) | instskip(NEXT) | instid1(VALU_DEP_3)
	v_add3_u32 v0, v7, v0, v8
	v_add3_u32 v2, v5, v2, v9
	s_delay_alu instid0(VALU_DEP_3)
	v_add3_u32 v1, v6, v1, v4
	s_cbranch_scc0 .LBB165_142
; %bb.143:
	s_set_inst_prefetch_distance 0x2
	s_bitcmp1_b32 s28, 0
	s_cselect_b32 s34, -1, 0
	s_delay_alu instid0(SALU_CYCLE_1)
	s_and_b32 vcc_lo, exec_lo, s34
	s_cbranch_vccnz .LBB165_158
; %bb.144:
	s_clause 0x3
	s_load_b64 s[34:35], s[20:21], 0x18
	s_load_b32 s38, s[20:21], 0x20
	s_load_b64 s[36:37], s[20:21], 0xd8
	s_load_b32 s20, s[20:21], 0xe0
	s_waitcnt lgkmcnt(0)
	v_mul_hi_u32 v4, s35, v3
	s_delay_alu instid0(VALU_DEP_1) | instskip(NEXT) | instid1(VALU_DEP_1)
	v_add_nc_u32_e32 v4, v3, v4
	v_lshrrev_b32_e32 v4, s38, v4
	s_delay_alu instid0(VALU_DEP_1) | instskip(NEXT) | instid1(VALU_DEP_1)
	v_mul_lo_u32 v4, v4, s34
	v_sub_nc_u32_e32 v7, v3, v4
	s_delay_alu instid0(VALU_DEP_1) | instskip(NEXT) | instid1(VALU_DEP_1)
	v_mad_u64_u32 v[3:4], null, v7, s36, v[0:1]
	v_mad_u64_u32 v[4:5], null, v7, s37, v[2:3]
	;; [unrolled: 1-line block ×3, first 2 shown]
	v_mov_b32_e32 v0, v3
	s_delay_alu instid0(VALU_DEP_2)
	v_dual_mov_b32 v2, v4 :: v_dual_mov_b32 v1, v5
	s_branch .LBB165_158
.LBB165_145:
	s_mov_b32 s33, -1
                                        ; implicit-def: $vgpr0
                                        ; implicit-def: $vgpr2
                                        ; implicit-def: $vgpr1
.LBB165_146:
	s_delay_alu instid0(SALU_CYCLE_1)
	s_and_not1_b32 vcc_lo, exec_lo, s33
	s_cbranch_vccnz .LBB165_149
; %bb.147:
	s_waitcnt lgkmcnt(0)
	v_mul_hi_u32 v0, s13, v18
	s_and_not1_b32 vcc_lo, exec_lo, s27
	s_delay_alu instid0(VALU_DEP_1) | instskip(NEXT) | instid1(VALU_DEP_1)
	v_add_nc_u32_e32 v0, v18, v0
	v_lshrrev_b32_e32 v3, s14, v0
	s_delay_alu instid0(VALU_DEP_1) | instskip(NEXT) | instid1(VALU_DEP_1)
	v_mul_lo_u32 v0, v3, s12
	v_sub_nc_u32_e32 v1, v18, v0
	s_delay_alu instid0(VALU_DEP_1)
	v_mul_lo_u32 v0, v1, s8
	v_mul_lo_u32 v2, v1, s9
	v_mul_lo_u32 v1, v1, s10
	s_cbranch_vccnz .LBB165_149
; %bb.148:
	v_mul_hi_u32 v4, s18, v3
	s_delay_alu instid0(VALU_DEP_1) | instskip(NEXT) | instid1(VALU_DEP_1)
	v_add_nc_u32_e32 v4, v3, v4
	v_lshrrev_b32_e32 v4, s19, v4
	s_delay_alu instid0(VALU_DEP_1) | instskip(NEXT) | instid1(VALU_DEP_1)
	v_mul_lo_u32 v4, v4, s15
	v_sub_nc_u32_e32 v7, v3, v4
	s_delay_alu instid0(VALU_DEP_1) | instskip(NEXT) | instid1(VALU_DEP_1)
	v_mad_u64_u32 v[3:4], null, v7, s11, v[0:1]
	v_mad_u64_u32 v[4:5], null, v7, s16, v[2:3]
	;; [unrolled: 1-line block ×3, first 2 shown]
	v_mov_b32_e32 v0, v3
	s_delay_alu instid0(VALU_DEP_2)
	v_dual_mov_b32 v2, v4 :: v_dual_mov_b32 v1, v5
.LBB165_149:
	s_waitcnt lgkmcnt(0)
	global_load_u8 v1, v1, s[2:3]
	global_load_u16 v2, v2, s[6:7]
	v_add_nc_u32_e32 v18, 0x80, v18
	s_waitcnt vmcnt(1)
	v_cvt_f32_ubyte0_e32 v1, v1
	s_waitcnt vmcnt(0)
	v_cvt_f32_f16_e32 v2, v2
	s_delay_alu instid0(VALU_DEP_1) | instskip(NEXT) | instid1(VALU_DEP_1)
	v_mul_f32_e32 v1, v2, v1
	v_fma_mixlo_f16 v1, s26, v1, 0
	global_store_b16 v0, v1, s[4:5]
	s_or_b32 exec_lo, exec_lo, s31
	s_delay_alu instid0(SALU_CYCLE_1)
	s_mov_b32 s31, exec_lo
	v_cmpx_gt_i32_e64 s29, v18
	s_cbranch_execnz .LBB165_139
.LBB165_150:
	s_or_b32 exec_lo, exec_lo, s31
	s_delay_alu instid0(SALU_CYCLE_1)
	s_mov_b32 s31, exec_lo
	v_cmpx_gt_i32_e64 s29, v18
	s_cbranch_execz .LBB165_162
.LBB165_151:
	s_and_not1_b32 vcc_lo, exec_lo, s24
	s_cbranch_vccnz .LBB165_165
; %bb.152:
	v_dual_mov_b32 v0, 0 :: v_dual_mov_b32 v1, 0
	v_mov_b32_e32 v2, 0
	s_and_not1_b32 vcc_lo, exec_lo, s30
	s_mov_b32 s33, 0
	s_cbranch_vccnz .LBB165_166
; %bb.153:
	s_add_i32 s20, s28, 1
	v_dual_mov_b32 v1, 0 :: v_dual_mov_b32 v2, 0
	v_dual_mov_b32 v0, 0 :: v_dual_mov_b32 v3, v18
	s_and_b32 s34, s20, 30
	s_add_u32 s20, s0, 0xffffffec
	s_addc_u32 s21, s1, -1
	s_set_inst_prefetch_distance 0x1
	.p2align	6
.LBB165_154:                            ; =>This Inner Loop Header: Depth=1
	s_clause 0x2
	s_load_b128 s[36:39], s[20:21], 0x18
	s_load_b64 s[44:45], s[20:21], 0x28
	s_load_b128 s[40:43], s[20:21], 0xd8
	s_waitcnt lgkmcnt(0)
	v_mul_hi_u32 v4, s37, v3
	s_delay_alu instid0(VALU_DEP_1) | instskip(NEXT) | instid1(VALU_DEP_1)
	v_add_nc_u32_e32 v4, v3, v4
	v_lshrrev_b32_e32 v4, s38, v4
	s_delay_alu instid0(VALU_DEP_1)
	v_mul_hi_u32 v5, s44, v4
	v_mul_lo_u32 v6, v4, s36
	s_load_b64 s[36:37], s[20:21], 0xe8
	s_add_u32 s20, s20, 24
	s_addc_u32 s21, s21, 0
	s_add_i32 s34, s34, -2
	s_delay_alu instid0(SALU_CYCLE_1) | instskip(NEXT) | instid1(VALU_DEP_2)
	s_cmp_eq_u32 s34, 0
	v_add_nc_u32_e32 v5, v4, v5
	s_delay_alu instid0(VALU_DEP_2) | instskip(NEXT) | instid1(VALU_DEP_2)
	v_sub_nc_u32_e32 v6, v3, v6
	v_lshrrev_b32_e32 v3, s45, v5
	s_delay_alu instid0(VALU_DEP_2) | instskip(NEXT) | instid1(VALU_DEP_2)
	v_mul_lo_u32 v7, v6, s40
	v_mul_lo_u32 v5, v3, s39
	s_delay_alu instid0(VALU_DEP_1) | instskip(SKIP_2) | instid1(VALU_DEP_3)
	v_sub_nc_u32_e32 v4, v4, v5
	v_mul_lo_u32 v5, v6, s41
	v_mul_lo_u32 v6, v6, s42
	;; [unrolled: 1-line block ×3, first 2 shown]
	s_waitcnt lgkmcnt(0)
	v_mul_lo_u32 v9, v4, s36
	v_mul_lo_u32 v4, v4, s37
	s_delay_alu instid0(VALU_DEP_3) | instskip(NEXT) | instid1(VALU_DEP_3)
	v_add3_u32 v0, v7, v0, v8
	v_add3_u32 v2, v5, v2, v9
	s_delay_alu instid0(VALU_DEP_3)
	v_add3_u32 v1, v6, v1, v4
	s_cbranch_scc0 .LBB165_154
; %bb.155:
	s_set_inst_prefetch_distance 0x2
	s_bitcmp1_b32 s28, 0
	s_cselect_b32 s34, -1, 0
	s_delay_alu instid0(SALU_CYCLE_1)
	s_and_b32 vcc_lo, exec_lo, s34
	s_cbranch_vccnz .LBB165_166
; %bb.156:
	s_clause 0x3
	s_load_b64 s[34:35], s[20:21], 0x18
	s_load_b32 s38, s[20:21], 0x20
	s_load_b64 s[36:37], s[20:21], 0xd8
	s_load_b32 s20, s[20:21], 0xe0
	s_waitcnt lgkmcnt(0)
	v_mul_hi_u32 v4, s35, v3
	s_delay_alu instid0(VALU_DEP_1) | instskip(NEXT) | instid1(VALU_DEP_1)
	v_add_nc_u32_e32 v4, v3, v4
	v_lshrrev_b32_e32 v4, s38, v4
	s_delay_alu instid0(VALU_DEP_1) | instskip(NEXT) | instid1(VALU_DEP_1)
	v_mul_lo_u32 v4, v4, s34
	v_sub_nc_u32_e32 v7, v3, v4
	s_delay_alu instid0(VALU_DEP_1) | instskip(NEXT) | instid1(VALU_DEP_1)
	v_mad_u64_u32 v[3:4], null, v7, s36, v[0:1]
	v_mad_u64_u32 v[4:5], null, v7, s37, v[2:3]
	;; [unrolled: 1-line block ×3, first 2 shown]
	v_mov_b32_e32 v0, v3
	s_delay_alu instid0(VALU_DEP_2)
	v_dual_mov_b32 v2, v4 :: v_dual_mov_b32 v1, v5
	s_branch .LBB165_166
.LBB165_157:
	s_mov_b32 s33, -1
                                        ; implicit-def: $vgpr0
                                        ; implicit-def: $vgpr2
                                        ; implicit-def: $vgpr1
.LBB165_158:
	s_delay_alu instid0(SALU_CYCLE_1)
	s_and_not1_b32 vcc_lo, exec_lo, s33
	s_cbranch_vccnz .LBB165_161
; %bb.159:
	s_waitcnt lgkmcnt(0)
	v_mul_hi_u32 v0, s13, v18
	s_and_not1_b32 vcc_lo, exec_lo, s27
	s_delay_alu instid0(VALU_DEP_1) | instskip(NEXT) | instid1(VALU_DEP_1)
	v_add_nc_u32_e32 v0, v18, v0
	v_lshrrev_b32_e32 v3, s14, v0
	s_delay_alu instid0(VALU_DEP_1) | instskip(NEXT) | instid1(VALU_DEP_1)
	v_mul_lo_u32 v0, v3, s12
	v_sub_nc_u32_e32 v1, v18, v0
	s_delay_alu instid0(VALU_DEP_1)
	v_mul_lo_u32 v0, v1, s8
	v_mul_lo_u32 v2, v1, s9
	;; [unrolled: 1-line block ×3, first 2 shown]
	s_cbranch_vccnz .LBB165_161
; %bb.160:
	v_mul_hi_u32 v4, s18, v3
	s_delay_alu instid0(VALU_DEP_1) | instskip(NEXT) | instid1(VALU_DEP_1)
	v_add_nc_u32_e32 v4, v3, v4
	v_lshrrev_b32_e32 v4, s19, v4
	s_delay_alu instid0(VALU_DEP_1) | instskip(NEXT) | instid1(VALU_DEP_1)
	v_mul_lo_u32 v4, v4, s15
	v_sub_nc_u32_e32 v7, v3, v4
	s_delay_alu instid0(VALU_DEP_1) | instskip(NEXT) | instid1(VALU_DEP_1)
	v_mad_u64_u32 v[3:4], null, v7, s11, v[0:1]
	v_mad_u64_u32 v[4:5], null, v7, s16, v[2:3]
	;; [unrolled: 1-line block ×3, first 2 shown]
	v_mov_b32_e32 v0, v3
	s_delay_alu instid0(VALU_DEP_2)
	v_dual_mov_b32 v2, v4 :: v_dual_mov_b32 v1, v5
.LBB165_161:
	s_waitcnt lgkmcnt(0)
	global_load_u8 v1, v1, s[2:3]
	global_load_u16 v2, v2, s[6:7]
	v_add_nc_u32_e32 v18, 0x80, v18
	s_waitcnt vmcnt(1)
	v_cvt_f32_ubyte0_e32 v1, v1
	s_waitcnt vmcnt(0)
	v_cvt_f32_f16_e32 v2, v2
	s_delay_alu instid0(VALU_DEP_1) | instskip(NEXT) | instid1(VALU_DEP_1)
	v_mul_f32_e32 v1, v2, v1
	v_fma_mixlo_f16 v1, s26, v1, 0
	global_store_b16 v0, v1, s[4:5]
	s_or_b32 exec_lo, exec_lo, s31
	s_delay_alu instid0(SALU_CYCLE_1)
	s_mov_b32 s31, exec_lo
	v_cmpx_gt_i32_e64 s29, v18
	s_cbranch_execnz .LBB165_151
.LBB165_162:
	s_or_b32 exec_lo, exec_lo, s31
	v_cmp_gt_i32_e32 vcc_lo, s29, v18
	s_and_saveexec_b32 s29, vcc_lo
	s_cbranch_execnz .LBB165_170
.LBB165_163:
	s_or_b32 exec_lo, exec_lo, s29
                                        ; implicit-def: $vgpr24
                                        ; implicit-def: $vgpr18
	s_waitcnt lgkmcnt(0)
	s_and_not1_saveexec_b32 s2, s25
	s_cbranch_execnz .LBB165_9
.LBB165_164:
	s_nop 0
	s_sendmsg sendmsg(MSG_DEALLOC_VGPRS)
	s_endpgm
.LBB165_165:
	s_mov_b32 s33, -1
                                        ; implicit-def: $vgpr0
                                        ; implicit-def: $vgpr2
                                        ; implicit-def: $vgpr1
.LBB165_166:
	s_delay_alu instid0(SALU_CYCLE_1)
	s_and_not1_b32 vcc_lo, exec_lo, s33
	s_cbranch_vccnz .LBB165_169
; %bb.167:
	s_waitcnt lgkmcnt(0)
	v_mul_hi_u32 v0, s13, v18
	s_and_not1_b32 vcc_lo, exec_lo, s27
	s_delay_alu instid0(VALU_DEP_1) | instskip(NEXT) | instid1(VALU_DEP_1)
	v_add_nc_u32_e32 v0, v18, v0
	v_lshrrev_b32_e32 v3, s14, v0
	s_delay_alu instid0(VALU_DEP_1) | instskip(NEXT) | instid1(VALU_DEP_1)
	v_mul_lo_u32 v0, v3, s12
	v_sub_nc_u32_e32 v1, v18, v0
	s_delay_alu instid0(VALU_DEP_1)
	v_mul_lo_u32 v0, v1, s8
	v_mul_lo_u32 v2, v1, s9
	;; [unrolled: 1-line block ×3, first 2 shown]
	s_cbranch_vccnz .LBB165_169
; %bb.168:
	v_mul_hi_u32 v4, s18, v3
	s_delay_alu instid0(VALU_DEP_1) | instskip(NEXT) | instid1(VALU_DEP_1)
	v_add_nc_u32_e32 v4, v3, v4
	v_lshrrev_b32_e32 v4, s19, v4
	s_delay_alu instid0(VALU_DEP_1) | instskip(NEXT) | instid1(VALU_DEP_1)
	v_mul_lo_u32 v4, v4, s15
	v_sub_nc_u32_e32 v7, v3, v4
	s_delay_alu instid0(VALU_DEP_1) | instskip(NEXT) | instid1(VALU_DEP_1)
	v_mad_u64_u32 v[3:4], null, v7, s11, v[0:1]
	v_mad_u64_u32 v[4:5], null, v7, s16, v[2:3]
	;; [unrolled: 1-line block ×3, first 2 shown]
	v_mov_b32_e32 v0, v3
	s_delay_alu instid0(VALU_DEP_2)
	v_dual_mov_b32 v2, v4 :: v_dual_mov_b32 v1, v5
.LBB165_169:
	s_waitcnt lgkmcnt(0)
	global_load_u8 v1, v1, s[2:3]
	global_load_u16 v2, v2, s[6:7]
	v_add_nc_u32_e32 v18, 0x80, v18
	s_waitcnt vmcnt(1)
	v_cvt_f32_ubyte0_e32 v1, v1
	s_waitcnt vmcnt(0)
	v_cvt_f32_f16_e32 v2, v2
	s_delay_alu instid0(VALU_DEP_1) | instskip(NEXT) | instid1(VALU_DEP_1)
	v_mul_f32_e32 v1, v2, v1
	v_fma_mixlo_f16 v1, s26, v1, 0
	global_store_b16 v0, v1, s[4:5]
	s_or_b32 exec_lo, exec_lo, s31
	v_cmp_gt_i32_e32 vcc_lo, s29, v18
	s_and_saveexec_b32 s29, vcc_lo
	s_cbranch_execz .LBB165_163
.LBB165_170:
	s_and_not1_b32 vcc_lo, exec_lo, s24
	s_cbranch_vccnz .LBB165_176
; %bb.171:
	v_dual_mov_b32 v0, 0 :: v_dual_mov_b32 v1, 0
	v_mov_b32_e32 v2, 0
	s_and_not1_b32 vcc_lo, exec_lo, s30
	s_mov_b32 s30, 0
	s_cbranch_vccnz .LBB165_177
; %bb.172:
	s_add_i32 s20, s28, 1
	v_dual_mov_b32 v1, 0 :: v_dual_mov_b32 v2, 0
	v_dual_mov_b32 v0, 0 :: v_dual_mov_b32 v3, v18
	s_and_b32 s31, s20, 30
	s_add_u32 s20, s0, 0xffffffec
	s_addc_u32 s21, s1, -1
	s_set_inst_prefetch_distance 0x1
	.p2align	6
.LBB165_173:                            ; =>This Inner Loop Header: Depth=1
	s_clause 0x2
	s_load_b128 s[36:39], s[20:21], 0x18
	s_load_b64 s[34:35], s[20:21], 0x28
	s_load_b128 s[40:43], s[20:21], 0xd8
	s_waitcnt lgkmcnt(0)
	v_mul_hi_u32 v4, s37, v3
	s_delay_alu instid0(VALU_DEP_1) | instskip(NEXT) | instid1(VALU_DEP_1)
	v_add_nc_u32_e32 v4, v3, v4
	v_lshrrev_b32_e32 v4, s38, v4
	s_delay_alu instid0(VALU_DEP_1)
	v_mul_hi_u32 v5, s34, v4
	v_mul_lo_u32 v6, v4, s36
	s_load_b64 s[36:37], s[20:21], 0xe8
	s_add_u32 s20, s20, 24
	s_addc_u32 s21, s21, 0
	s_add_i32 s31, s31, -2
	s_delay_alu instid0(SALU_CYCLE_1) | instskip(NEXT) | instid1(VALU_DEP_2)
	s_cmp_eq_u32 s31, 0
	v_add_nc_u32_e32 v5, v4, v5
	s_delay_alu instid0(VALU_DEP_2) | instskip(NEXT) | instid1(VALU_DEP_2)
	v_sub_nc_u32_e32 v6, v3, v6
	v_lshrrev_b32_e32 v3, s35, v5
	s_delay_alu instid0(VALU_DEP_2) | instskip(NEXT) | instid1(VALU_DEP_2)
	v_mul_lo_u32 v7, v6, s40
	v_mul_lo_u32 v5, v3, s39
	s_delay_alu instid0(VALU_DEP_1) | instskip(SKIP_2) | instid1(VALU_DEP_3)
	v_sub_nc_u32_e32 v4, v4, v5
	v_mul_lo_u32 v5, v6, s41
	v_mul_lo_u32 v6, v6, s42
	;; [unrolled: 1-line block ×3, first 2 shown]
	s_waitcnt lgkmcnt(0)
	v_mul_lo_u32 v9, v4, s36
	v_mul_lo_u32 v4, v4, s37
	s_delay_alu instid0(VALU_DEP_3) | instskip(NEXT) | instid1(VALU_DEP_3)
	v_add3_u32 v0, v7, v0, v8
	v_add3_u32 v2, v5, v2, v9
	s_delay_alu instid0(VALU_DEP_3)
	v_add3_u32 v1, v6, v1, v4
	s_cbranch_scc0 .LBB165_173
; %bb.174:
	s_set_inst_prefetch_distance 0x2
	s_bitcmp1_b32 s28, 0
	s_cselect_b32 s28, -1, 0
	s_delay_alu instid0(SALU_CYCLE_1)
	s_and_b32 vcc_lo, exec_lo, s28
	s_cbranch_vccnz .LBB165_177
; %bb.175:
	s_clause 0x3
	s_load_b64 s[34:35], s[20:21], 0x18
	s_load_b32 s28, s[20:21], 0x20
	s_load_b64 s[36:37], s[20:21], 0xd8
	s_load_b32 s20, s[20:21], 0xe0
	s_waitcnt lgkmcnt(0)
	v_mul_hi_u32 v4, s35, v3
	s_delay_alu instid0(VALU_DEP_1) | instskip(NEXT) | instid1(VALU_DEP_1)
	v_add_nc_u32_e32 v4, v3, v4
	v_lshrrev_b32_e32 v4, s28, v4
	s_delay_alu instid0(VALU_DEP_1) | instskip(NEXT) | instid1(VALU_DEP_1)
	v_mul_lo_u32 v4, v4, s34
	v_sub_nc_u32_e32 v7, v3, v4
	s_delay_alu instid0(VALU_DEP_1) | instskip(NEXT) | instid1(VALU_DEP_1)
	v_mad_u64_u32 v[3:4], null, v7, s36, v[0:1]
	v_mad_u64_u32 v[4:5], null, v7, s37, v[2:3]
	;; [unrolled: 1-line block ×3, first 2 shown]
	v_mov_b32_e32 v0, v3
	s_delay_alu instid0(VALU_DEP_2)
	v_dual_mov_b32 v2, v4 :: v_dual_mov_b32 v1, v5
	s_branch .LBB165_177
.LBB165_176:
	s_mov_b32 s30, -1
                                        ; implicit-def: $vgpr0
                                        ; implicit-def: $vgpr2
                                        ; implicit-def: $vgpr1
.LBB165_177:
	s_delay_alu instid0(SALU_CYCLE_1)
	s_and_not1_b32 vcc_lo, exec_lo, s30
	s_cbranch_vccnz .LBB165_180
; %bb.178:
	s_waitcnt lgkmcnt(0)
	v_mul_hi_u32 v0, s13, v18
	s_and_not1_b32 vcc_lo, exec_lo, s27
	s_delay_alu instid0(VALU_DEP_1) | instskip(NEXT) | instid1(VALU_DEP_1)
	v_add_nc_u32_e32 v0, v18, v0
	v_lshrrev_b32_e32 v3, s14, v0
	s_delay_alu instid0(VALU_DEP_1) | instskip(NEXT) | instid1(VALU_DEP_1)
	v_mul_lo_u32 v0, v3, s12
	v_sub_nc_u32_e32 v1, v18, v0
	s_delay_alu instid0(VALU_DEP_1)
	v_mul_lo_u32 v0, v1, s8
	v_mul_lo_u32 v2, v1, s9
	;; [unrolled: 1-line block ×3, first 2 shown]
	s_cbranch_vccnz .LBB165_180
; %bb.179:
	v_mul_hi_u32 v4, s18, v3
	s_delay_alu instid0(VALU_DEP_1) | instskip(NEXT) | instid1(VALU_DEP_1)
	v_add_nc_u32_e32 v4, v3, v4
	v_lshrrev_b32_e32 v4, s19, v4
	s_delay_alu instid0(VALU_DEP_1) | instskip(NEXT) | instid1(VALU_DEP_1)
	v_mul_lo_u32 v4, v4, s15
	v_sub_nc_u32_e32 v7, v3, v4
	s_delay_alu instid0(VALU_DEP_1) | instskip(NEXT) | instid1(VALU_DEP_1)
	v_mad_u64_u32 v[3:4], null, v7, s11, v[0:1]
	v_mad_u64_u32 v[4:5], null, v7, s16, v[2:3]
	v_mad_u64_u32 v[5:6], null, v7, s17, v[1:2]
	v_mov_b32_e32 v0, v3
	s_delay_alu instid0(VALU_DEP_2)
	v_dual_mov_b32 v2, v4 :: v_dual_mov_b32 v1, v5
.LBB165_180:
	s_waitcnt lgkmcnt(0)
	global_load_u8 v1, v1, s[2:3]
	global_load_u16 v2, v2, s[6:7]
	s_waitcnt vmcnt(1)
	v_cvt_f32_ubyte0_e32 v1, v1
	s_waitcnt vmcnt(0)
	v_cvt_f32_f16_e32 v2, v2
	s_delay_alu instid0(VALU_DEP_1) | instskip(NEXT) | instid1(VALU_DEP_1)
	v_mul_f32_e32 v1, v2, v1
	v_fma_mixlo_f16 v1, s26, v1, 0
	global_store_b16 v0, v1, s[4:5]
	s_or_b32 exec_lo, exec_lo, s29
                                        ; implicit-def: $vgpr24
                                        ; implicit-def: $vgpr18
	s_and_not1_saveexec_b32 s2, s25
	s_cbranch_execz .LBB165_164
	s_branch .LBB165_9
	.section	.rodata,"a",@progbits
	.p2align	6, 0x0
	.amdhsa_kernel _ZN2at6native32elementwise_kernel_manual_unrollILi128ELi8EZNS0_22gpu_kernel_impl_nocastIZNS0_12_GLOBAL__N_119masked_scale_kernelIhN3c104HalfEfEEvRNS_6TensorERKS7_SA_T1_EUlS6_hE_EEvRNS_18TensorIteratorBaseERKT_EUlibE_EEviSB_
		.amdhsa_group_segment_fixed_size 0
		.amdhsa_private_segment_fixed_size 0
		.amdhsa_kernarg_size 432
		.amdhsa_user_sgpr_count 15
		.amdhsa_user_sgpr_dispatch_ptr 0
		.amdhsa_user_sgpr_queue_ptr 0
		.amdhsa_user_sgpr_kernarg_segment_ptr 1
		.amdhsa_user_sgpr_dispatch_id 0
		.amdhsa_user_sgpr_private_segment_size 0
		.amdhsa_wavefront_size32 1
		.amdhsa_uses_dynamic_stack 0
		.amdhsa_enable_private_segment 0
		.amdhsa_system_sgpr_workgroup_id_x 1
		.amdhsa_system_sgpr_workgroup_id_y 0
		.amdhsa_system_sgpr_workgroup_id_z 0
		.amdhsa_system_sgpr_workgroup_info 0
		.amdhsa_system_vgpr_workitem_id 0
		.amdhsa_next_free_vgpr 32
		.amdhsa_next_free_sgpr 46
		.amdhsa_reserve_vcc 1
		.amdhsa_float_round_mode_32 0
		.amdhsa_float_round_mode_16_64 0
		.amdhsa_float_denorm_mode_32 3
		.amdhsa_float_denorm_mode_16_64 3
		.amdhsa_dx10_clamp 1
		.amdhsa_ieee_mode 1
		.amdhsa_fp16_overflow 0
		.amdhsa_workgroup_processor_mode 1
		.amdhsa_memory_ordered 1
		.amdhsa_forward_progress 0
		.amdhsa_shared_vgpr_count 0
		.amdhsa_exception_fp_ieee_invalid_op 0
		.amdhsa_exception_fp_denorm_src 0
		.amdhsa_exception_fp_ieee_div_zero 0
		.amdhsa_exception_fp_ieee_overflow 0
		.amdhsa_exception_fp_ieee_underflow 0
		.amdhsa_exception_fp_ieee_inexact 0
		.amdhsa_exception_int_div_zero 0
	.end_amdhsa_kernel
	.section	.text._ZN2at6native32elementwise_kernel_manual_unrollILi128ELi8EZNS0_22gpu_kernel_impl_nocastIZNS0_12_GLOBAL__N_119masked_scale_kernelIhN3c104HalfEfEEvRNS_6TensorERKS7_SA_T1_EUlS6_hE_EEvRNS_18TensorIteratorBaseERKT_EUlibE_EEviSB_,"axG",@progbits,_ZN2at6native32elementwise_kernel_manual_unrollILi128ELi8EZNS0_22gpu_kernel_impl_nocastIZNS0_12_GLOBAL__N_119masked_scale_kernelIhN3c104HalfEfEEvRNS_6TensorERKS7_SA_T1_EUlS6_hE_EEvRNS_18TensorIteratorBaseERKT_EUlibE_EEviSB_,comdat
.Lfunc_end165:
	.size	_ZN2at6native32elementwise_kernel_manual_unrollILi128ELi8EZNS0_22gpu_kernel_impl_nocastIZNS0_12_GLOBAL__N_119masked_scale_kernelIhN3c104HalfEfEEvRNS_6TensorERKS7_SA_T1_EUlS6_hE_EEvRNS_18TensorIteratorBaseERKT_EUlibE_EEviSB_, .Lfunc_end165-_ZN2at6native32elementwise_kernel_manual_unrollILi128ELi8EZNS0_22gpu_kernel_impl_nocastIZNS0_12_GLOBAL__N_119masked_scale_kernelIhN3c104HalfEfEEvRNS_6TensorERKS7_SA_T1_EUlS6_hE_EEvRNS_18TensorIteratorBaseERKT_EUlibE_EEviSB_
                                        ; -- End function
	.section	.AMDGPU.csdata,"",@progbits
; Kernel info:
; codeLenInByte = 11848
; NumSgprs: 48
; NumVgprs: 32
; ScratchSize: 0
; MemoryBound: 0
; FloatMode: 240
; IeeeMode: 1
; LDSByteSize: 0 bytes/workgroup (compile time only)
; SGPRBlocks: 5
; VGPRBlocks: 3
; NumSGPRsForWavesPerEU: 48
; NumVGPRsForWavesPerEU: 32
; Occupancy: 16
; WaveLimiterHint : 1
; COMPUTE_PGM_RSRC2:SCRATCH_EN: 0
; COMPUTE_PGM_RSRC2:USER_SGPR: 15
; COMPUTE_PGM_RSRC2:TRAP_HANDLER: 0
; COMPUTE_PGM_RSRC2:TGID_X_EN: 1
; COMPUTE_PGM_RSRC2:TGID_Y_EN: 0
; COMPUTE_PGM_RSRC2:TGID_Z_EN: 0
; COMPUTE_PGM_RSRC2:TIDIG_COMP_CNT: 0
	.section	.text._ZN2at6native32elementwise_kernel_manual_unrollILi128ELi4EZNS0_15gpu_kernel_implIZNS0_12_GLOBAL__N_119masked_scale_kernelIhN3c104HalfEfEEvRNS_6TensorERKS7_SA_T1_EUlS6_hE_EEvRNS_18TensorIteratorBaseERKT_EUlibE_EEviSB_,"axG",@progbits,_ZN2at6native32elementwise_kernel_manual_unrollILi128ELi4EZNS0_15gpu_kernel_implIZNS0_12_GLOBAL__N_119masked_scale_kernelIhN3c104HalfEfEEvRNS_6TensorERKS7_SA_T1_EUlS6_hE_EEvRNS_18TensorIteratorBaseERKT_EUlibE_EEviSB_,comdat
	.globl	_ZN2at6native32elementwise_kernel_manual_unrollILi128ELi4EZNS0_15gpu_kernel_implIZNS0_12_GLOBAL__N_119masked_scale_kernelIhN3c104HalfEfEEvRNS_6TensorERKS7_SA_T1_EUlS6_hE_EEvRNS_18TensorIteratorBaseERKT_EUlibE_EEviSB_ ; -- Begin function _ZN2at6native32elementwise_kernel_manual_unrollILi128ELi4EZNS0_15gpu_kernel_implIZNS0_12_GLOBAL__N_119masked_scale_kernelIhN3c104HalfEfEEvRNS_6TensorERKS7_SA_T1_EUlS6_hE_EEvRNS_18TensorIteratorBaseERKT_EUlibE_EEviSB_
	.p2align	8
	.type	_ZN2at6native32elementwise_kernel_manual_unrollILi128ELi4EZNS0_15gpu_kernel_implIZNS0_12_GLOBAL__N_119masked_scale_kernelIhN3c104HalfEfEEvRNS_6TensorERKS7_SA_T1_EUlS6_hE_EEvRNS_18TensorIteratorBaseERKT_EUlibE_EEviSB_,@function
_ZN2at6native32elementwise_kernel_manual_unrollILi128ELi4EZNS0_15gpu_kernel_implIZNS0_12_GLOBAL__N_119masked_scale_kernelIhN3c104HalfEfEEvRNS_6TensorERKS7_SA_T1_EUlS6_hE_EEvRNS_18TensorIteratorBaseERKT_EUlibE_EEviSB_: ; @_ZN2at6native32elementwise_kernel_manual_unrollILi128ELi4EZNS0_15gpu_kernel_implIZNS0_12_GLOBAL__N_119masked_scale_kernelIhN3c104HalfEfEEvRNS_6TensorERKS7_SA_T1_EUlS6_hE_EEvRNS_18TensorIteratorBaseERKT_EUlibE_EEviSB_
; %bb.0:
	s_clause 0x4
	s_load_b32 s12, s[0:1], 0x30
	s_load_b32 s17, s[0:1], 0x0
	s_load_b128 s[4:7], s[0:1], 0x8
	s_load_b64 s[2:3], s[0:1], 0x18
	s_load_b128 s[8:11], s[0:1], 0x20
	v_lshl_or_b32 v7, s15, 9, v0
	s_mov_b32 s13, 0
	s_mov_b32 s16, 0
	s_mov_b32 s0, exec_lo
	s_delay_alu instid0(VALU_DEP_1) | instskip(SKIP_3) | instid1(VALU_DEP_1)
	v_or_b32_e32 v0, 0x180, v7
	s_waitcnt lgkmcnt(0)
	s_lshr_b32 s14, s12, 8
	s_lshr_b32 s1, s12, 16
	v_cmpx_le_i32_e64 s17, v0
	s_xor_b32 s15, exec_lo, s0
	s_cbranch_execz .LBB166_1536
; %bb.1:
	s_mov_b32 s23, -1
	s_mov_b32 s21, 0
	s_mov_b32 s19, 0
	;; [unrolled: 1-line block ×3, first 2 shown]
	s_mov_b32 s20, exec_lo
	v_cmpx_gt_i32_e64 s17, v7
	s_cbranch_execz .LBB166_378
; %bb.2:
	v_mul_lo_u32 v0, v7, s9
	v_and_b32_e64 v2, 0xff, s14
	s_delay_alu instid0(VALU_DEP_1) | instskip(NEXT) | instid1(VALU_DEP_3)
	v_cmp_gt_i16_e32 vcc_lo, 11, v2
	v_ashrrev_i32_e32 v1, 31, v0
	v_add_co_u32 v0, s0, s6, v0
	s_delay_alu instid0(VALU_DEP_1)
	v_add_co_ci_u32_e64 v1, s0, s7, v1, s0
	s_cbranch_vccnz .LBB166_9
; %bb.3:
	v_cmp_lt_i16_e32 vcc_lo, 25, v2
	s_cbranch_vccz .LBB166_18
; %bb.4:
	v_cmp_lt_i16_e32 vcc_lo, 28, v2
	s_cbranch_vccz .LBB166_28
	;; [unrolled: 3-line block ×4, first 2 shown]
; %bb.7:
	v_cmp_eq_u16_e32 vcc_lo, 46, v2
	s_cbranch_vccz .LBB166_37
; %bb.8:
	global_load_b32 v3, v[0:1], off
	s_mov_b32 s0, -1
	s_waitcnt vmcnt(0)
	v_lshlrev_b32_e32 v3, 16, v3
	s_delay_alu instid0(VALU_DEP_1)
	v_cvt_f16_f32_e32 v4, v3
	s_branch .LBB166_39
.LBB166_9:
	s_mov_b32 s0, 0
                                        ; implicit-def: $vgpr4
	s_cbranch_execnz .LBB166_105
.LBB166_10:
	s_and_not1_b32 vcc_lo, exec_lo, s0
	s_cbranch_vccnz .LBB166_152
.LBB166_11:
	v_mul_lo_u32 v0, v7, s10
	v_and_b32_e64 v5, 0xff, s1
	s_delay_alu instid0(VALU_DEP_1) | instskip(NEXT) | instid1(VALU_DEP_3)
	v_cmp_gt_i16_e32 vcc_lo, 11, v5
	v_ashrrev_i32_e32 v1, 31, v0
	v_add_co_u32 v0, s0, s2, v0
	s_delay_alu instid0(VALU_DEP_1)
	v_add_co_ci_u32_e64 v1, s0, s3, v1, s0
	s_cbranch_vccnz .LBB166_19
; %bb.12:
	v_cmp_lt_i16_e32 vcc_lo, 25, v5
	s_cbranch_vccz .LBB166_29
; %bb.13:
	v_cmp_lt_i16_e32 vcc_lo, 28, v5
	s_cbranch_vccz .LBB166_32
	;; [unrolled: 3-line block ×4, first 2 shown]
; %bb.16:
	v_cmp_eq_u16_e32 vcc_lo, 46, v5
	s_mov_b32 s16, 0
	s_cbranch_vccz .LBB166_153
; %bb.17:
	global_load_b32 v2, v[0:1], off
	s_mov_b32 s0, -1
	s_mov_b32 s18, 0
	s_waitcnt vmcnt(0)
	v_lshlrev_b32_e32 v2, 16, v2
	s_delay_alu instid0(VALU_DEP_1) | instskip(NEXT) | instid1(VALU_DEP_1)
	v_trunc_f32_e32 v2, v2
	v_mul_f32_e64 v3, 0x2f800000, |v2|
	s_delay_alu instid0(VALU_DEP_1) | instskip(NEXT) | instid1(VALU_DEP_1)
	v_floor_f32_e32 v3, v3
	v_fma_f32 v3, 0xcf800000, v3, |v2|
	v_ashrrev_i32_e32 v2, 31, v2
	s_delay_alu instid0(VALU_DEP_2) | instskip(NEXT) | instid1(VALU_DEP_1)
	v_cvt_u32_f32_e32 v3, v3
	v_xor_b32_e32 v3, v3, v2
	s_delay_alu instid0(VALU_DEP_1)
	v_sub_nc_u32_e32 v2, v3, v2
	s_branch .LBB166_155
.LBB166_18:
	s_mov_b32 s0, 0
                                        ; implicit-def: $vgpr4
	s_cbranch_execnz .LBB166_70
	s_branch .LBB166_104
.LBB166_19:
	s_mov_b32 s18, 0
	s_mov_b32 s0, 0
                                        ; implicit-def: $vgpr2
	s_cbranch_execnz .LBB166_327
.LBB166_20:
	s_and_not1_b32 vcc_lo, exec_lo, s0
	s_cbranch_vccnz .LBB166_375
.LBB166_21:
	s_waitcnt vmcnt(0)
	v_cvt_f32_f16_e32 v1, v4
	v_mul_lo_u32 v4, v7, s8
	s_delay_alu instid0(VALU_DEP_3) | instskip(SKIP_1) | instid1(VALU_DEP_2)
	v_cvt_f32_ubyte0_e32 v0, v2
	v_and_b32_e64 v3, 0xff, s12
	v_mul_f32_e32 v0, v1, v0
	s_delay_alu instid0(VALU_DEP_2) | instskip(SKIP_1) | instid1(VALU_DEP_3)
	v_cmp_gt_i16_e32 vcc_lo, 11, v3
	v_ashrrev_i32_e32 v1, 31, v4
	v_fma_mixlo_f16 v2, s11, v0, 0
	v_add_co_u32 v0, s0, s4, v4
	s_delay_alu instid0(VALU_DEP_1)
	v_add_co_ci_u32_e64 v1, s0, s5, v1, s0
	s_cbranch_vccnz .LBB166_30
; %bb.22:
	v_cmp_lt_i16_e32 vcc_lo, 25, v3
	s_cbranch_vccz .LBB166_33
; %bb.23:
	v_cmp_lt_i16_e32 vcc_lo, 28, v3
	s_cbranch_vccz .LBB166_36
	;; [unrolled: 3-line block ×4, first 2 shown]
; %bb.26:
	v_cmp_eq_u16_e32 vcc_lo, 46, v3
	s_mov_b32 s22, 0
	s_mov_b32 s0, -1
	s_mov_b32 s16, 0
	s_cbranch_vccz .LBB166_159
; %bb.27:
	v_cvt_f32_f16_e32 v4, v2
	v_cmp_o_f16_e32 vcc_lo, v2, v2
	s_mov_b32 s16, -1
	s_mov_b32 s0, 0
	s_delay_alu instid0(VALU_DEP_2) | instskip(NEXT) | instid1(VALU_DEP_1)
	v_bfe_u32 v5, v4, 16, 1
	v_add3_u32 v4, v4, v5, 0x7fff
	s_delay_alu instid0(VALU_DEP_1) | instskip(NEXT) | instid1(VALU_DEP_1)
	v_lshrrev_b32_e32 v4, 16, v4
	v_cndmask_b32_e32 v4, 0x7fc0, v4, vcc_lo
	global_store_b32 v[0:1], v4, off
	s_branch .LBB166_159
.LBB166_28:
	s_mov_b32 s16, -1
	s_mov_b32 s0, 0
                                        ; implicit-def: $vgpr4
	s_branch .LBB166_51
.LBB166_29:
	s_mov_b32 s16, -1
	s_mov_b32 s18, 0
	s_mov_b32 s0, 0
                                        ; implicit-def: $vgpr2
	s_branch .LBB166_293
.LBB166_30:
	s_mov_b32 s22, -1
	s_mov_b32 s0, 0
	s_mov_b32 s16, 0
	s_branch .LBB166_228
.LBB166_31:
	s_mov_b32 s16, -1
	s_mov_b32 s0, 0
                                        ; implicit-def: $vgpr4
	s_branch .LBB166_46
.LBB166_32:
	s_mov_b32 s16, -1
	s_mov_b32 s18, 0
	s_mov_b32 s0, 0
                                        ; implicit-def: $vgpr2
	s_branch .LBB166_276
.LBB166_33:
	s_mov_b32 s22, -1
	s_mov_b32 s0, 0
	s_mov_b32 s16, 0
	s_branch .LBB166_186
.LBB166_34:
	s_mov_b32 s16, -1
	s_branch .LBB166_38
.LBB166_35:
	s_mov_b32 s16, -1
	s_mov_b32 s18, 0
	s_mov_b32 s0, 0
                                        ; implicit-def: $vgpr2
	s_branch .LBB166_271
.LBB166_36:
	s_mov_b32 s22, -1
	s_mov_b32 s0, 0
	s_mov_b32 s16, 0
	s_branch .LBB166_169
.LBB166_37:
	s_mov_b32 s19, -1
.LBB166_38:
	s_mov_b32 s0, 0
                                        ; implicit-def: $vgpr4
.LBB166_39:
	s_and_b32 vcc_lo, exec_lo, s16
	s_cbranch_vccz .LBB166_45
; %bb.40:
	v_cmp_eq_u16_e32 vcc_lo, 44, v2
	s_cbranch_vccz .LBB166_44
; %bb.41:
	global_load_u8 v3, v[0:1], off
	s_mov_b32 s19, 0
	s_mov_b32 s0, -1
	s_waitcnt vmcnt(0)
	v_lshlrev_b32_e32 v4, 23, v3
	v_cmp_ne_u32_e32 vcc_lo, 0xff, v3
	s_delay_alu instid0(VALU_DEP_2) | instskip(NEXT) | instid1(VALU_DEP_1)
	v_cvt_f16_f32_e32 v4, v4
	v_cndmask_b32_e32 v4, 0x7e00, v4, vcc_lo
	v_cmp_ne_u32_e32 vcc_lo, 0, v3
	s_delay_alu instid0(VALU_DEP_2)
	v_cndmask_b32_e32 v4, 0, v4, vcc_lo
	s_branch .LBB166_45
.LBB166_42:
	s_mov_b32 s16, -1
	s_mov_b32 s18, 0
	s_branch .LBB166_154
.LBB166_43:
	s_mov_b32 s22, -1
	s_mov_b32 s0, 0
	s_mov_b32 s16, 0
	s_branch .LBB166_165
.LBB166_44:
	s_mov_b32 s19, -1
                                        ; implicit-def: $vgpr4
.LBB166_45:
	s_mov_b32 s16, 0
.LBB166_46:
	s_delay_alu instid0(SALU_CYCLE_1)
	s_and_b32 vcc_lo, exec_lo, s16
	s_cbranch_vccz .LBB166_50
; %bb.47:
	v_cmp_eq_u16_e32 vcc_lo, 29, v2
	s_cbranch_vccz .LBB166_49
; %bb.48:
	global_load_b64 v[3:4], v[0:1], off
	s_mov_b32 s0, -1
	s_mov_b32 s19, 0
	s_mov_b32 s16, 0
	s_waitcnt vmcnt(0)
	v_clz_i32_u32_e32 v5, v4
	s_delay_alu instid0(VALU_DEP_1) | instskip(NEXT) | instid1(VALU_DEP_1)
	v_min_u32_e32 v5, 32, v5
	v_lshlrev_b64 v[3:4], v5, v[3:4]
	s_delay_alu instid0(VALU_DEP_1) | instskip(NEXT) | instid1(VALU_DEP_1)
	v_min_u32_e32 v3, 1, v3
	v_or_b32_e32 v3, v4, v3
	v_sub_nc_u32_e32 v4, 32, v5
	s_delay_alu instid0(VALU_DEP_2) | instskip(NEXT) | instid1(VALU_DEP_1)
	v_cvt_f32_u32_e32 v3, v3
	v_ldexp_f32 v3, v3, v4
	s_delay_alu instid0(VALU_DEP_1)
	v_cvt_f16_f32_e32 v4, v3
	s_branch .LBB166_51
.LBB166_49:
	s_mov_b32 s19, -1
                                        ; implicit-def: $vgpr4
.LBB166_50:
	s_mov_b32 s16, 0
.LBB166_51:
	s_delay_alu instid0(SALU_CYCLE_1)
	s_and_b32 vcc_lo, exec_lo, s16
	s_cbranch_vccz .LBB166_69
; %bb.52:
	v_cmp_gt_i16_e32 vcc_lo, 27, v2
	s_cbranch_vccnz .LBB166_55
; %bb.53:
	v_cmp_lt_i16_e32 vcc_lo, 27, v2
	s_cbranch_vccz .LBB166_56
; %bb.54:
	global_load_b32 v3, v[0:1], off
	s_mov_b32 s0, 0
	s_waitcnt vmcnt(0)
	v_cvt_f32_u32_e32 v3, v3
	s_delay_alu instid0(VALU_DEP_1)
	v_cvt_f16_f32_e32 v4, v3
	s_branch .LBB166_57
.LBB166_55:
	s_mov_b32 s0, -1
                                        ; implicit-def: $vgpr4
	s_branch .LBB166_60
.LBB166_56:
	s_mov_b32 s0, -1
                                        ; implicit-def: $vgpr4
.LBB166_57:
	s_delay_alu instid0(SALU_CYCLE_1)
	s_and_not1_b32 vcc_lo, exec_lo, s0
	s_cbranch_vccnz .LBB166_59
; %bb.58:
	global_load_u16 v3, v[0:1], off
	s_waitcnt vmcnt(0)
	v_cvt_f16_u16_e32 v4, v3
.LBB166_59:
	s_mov_b32 s0, 0
.LBB166_60:
	s_delay_alu instid0(SALU_CYCLE_1)
	s_and_not1_b32 vcc_lo, exec_lo, s0
	s_cbranch_vccnz .LBB166_68
; %bb.61:
	global_load_u8 v3, v[0:1], off
	s_mov_b32 s0, 0
	s_mov_b32 s18, exec_lo
                                        ; implicit-def: $sgpr16
	s_waitcnt vmcnt(0)
	v_cmpx_lt_i16_e32 0x7f, v3
	s_xor_b32 s18, exec_lo, s18
	s_cbranch_execz .LBB166_81
; %bb.62:
	s_mov_b32 s0, -1
	s_mov_b32 s22, exec_lo
                                        ; implicit-def: $sgpr16
	v_cmpx_eq_u16_e32 0x80, v3
; %bb.63:
	s_movk_i32 s16, 0x7e00
	s_xor_b32 s0, exec_lo, -1
; %bb.64:
	s_or_b32 exec_lo, exec_lo, s22
	s_delay_alu instid0(SALU_CYCLE_1)
	s_and_b32 s0, s0, exec_lo
	s_or_saveexec_b32 s18, s18
	v_mov_b32_e32 v4, s16
	s_xor_b32 exec_lo, exec_lo, s18
	s_cbranch_execnz .LBB166_82
.LBB166_65:
	s_or_b32 exec_lo, exec_lo, s18
	s_and_saveexec_b32 s16, s0
	s_cbranch_execz .LBB166_67
.LBB166_66:
	v_and_b32_e32 v4, 0xffff, v3
	v_lshlrev_b32_e32 v3, 24, v3
	s_delay_alu instid0(VALU_DEP_2) | instskip(NEXT) | instid1(VALU_DEP_2)
	v_and_b32_e32 v5, 7, v4
	v_and_b32_e32 v3, 0x80000000, v3
	s_delay_alu instid0(VALU_DEP_2) | instskip(NEXT) | instid1(VALU_DEP_1)
	v_clz_i32_u32_e32 v6, v5
	v_min_u32_e32 v6, 32, v6
	s_delay_alu instid0(VALU_DEP_1) | instskip(SKIP_1) | instid1(VALU_DEP_2)
	v_subrev_nc_u32_e32 v8, 28, v6
	v_sub_nc_u32_e32 v6, 29, v6
	v_lshlrev_b32_e32 v8, v8, v4
	v_bfe_u32 v4, v4, 3, 4
	s_delay_alu instid0(VALU_DEP_2) | instskip(NEXT) | instid1(VALU_DEP_2)
	v_and_b32_e32 v8, 7, v8
	v_cmp_eq_u32_e32 vcc_lo, 0, v4
	s_delay_alu instid0(VALU_DEP_2) | instskip(NEXT) | instid1(VALU_DEP_1)
	v_dual_cndmask_b32 v4, v4, v6 :: v_dual_cndmask_b32 v5, v5, v8
	v_lshl_add_u32 v4, v4, 23, 0x3b800000
	s_delay_alu instid0(VALU_DEP_2) | instskip(NEXT) | instid1(VALU_DEP_1)
	v_lshlrev_b32_e32 v5, 20, v5
	v_or3_b32 v3, v3, v4, v5
	s_delay_alu instid0(VALU_DEP_1)
	v_cvt_f16_f32_e32 v4, v3
.LBB166_67:
	s_or_b32 exec_lo, exec_lo, s16
.LBB166_68:
	s_mov_b32 s0, -1
.LBB166_69:
	s_branch .LBB166_104
.LBB166_70:
	v_cmp_lt_i16_e32 vcc_lo, 22, v2
	s_cbranch_vccz .LBB166_80
; %bb.71:
	v_cmp_gt_i16_e32 vcc_lo, 24, v2
	s_cbranch_vccnz .LBB166_83
; %bb.72:
	v_cmp_lt_i16_e32 vcc_lo, 24, v2
	s_cbranch_vccz .LBB166_84
; %bb.73:
	global_load_u8 v3, v[0:1], off
	s_mov_b32 s0, 0
	s_mov_b32 s18, exec_lo
                                        ; implicit-def: $sgpr16
	s_waitcnt vmcnt(0)
	v_cmpx_lt_i16_e32 0x7f, v3
	s_xor_b32 s18, exec_lo, s18
	s_cbranch_execz .LBB166_96
; %bb.74:
	s_mov_b32 s0, -1
	s_mov_b32 s22, exec_lo
                                        ; implicit-def: $sgpr16
	v_cmpx_eq_u16_e32 0x80, v3
; %bb.75:
	s_movk_i32 s16, 0x7e00
	s_xor_b32 s0, exec_lo, -1
; %bb.76:
	s_or_b32 exec_lo, exec_lo, s22
	s_delay_alu instid0(SALU_CYCLE_1)
	s_and_b32 s0, s0, exec_lo
	s_or_saveexec_b32 s18, s18
	v_mov_b32_e32 v4, s16
	s_xor_b32 exec_lo, exec_lo, s18
	s_cbranch_execnz .LBB166_97
.LBB166_77:
	s_or_b32 exec_lo, exec_lo, s18
	s_and_saveexec_b32 s16, s0
	s_cbranch_execz .LBB166_79
.LBB166_78:
	v_and_b32_e32 v4, 0xffff, v3
	v_lshlrev_b32_e32 v3, 24, v3
	s_delay_alu instid0(VALU_DEP_2) | instskip(NEXT) | instid1(VALU_DEP_2)
	v_and_b32_e32 v5, 3, v4
	v_and_b32_e32 v3, 0x80000000, v3
	s_delay_alu instid0(VALU_DEP_2) | instskip(NEXT) | instid1(VALU_DEP_1)
	v_clz_i32_u32_e32 v6, v5
	v_min_u32_e32 v6, 32, v6
	s_delay_alu instid0(VALU_DEP_1) | instskip(SKIP_1) | instid1(VALU_DEP_2)
	v_subrev_nc_u32_e32 v8, 29, v6
	v_sub_nc_u32_e32 v6, 30, v6
	v_lshlrev_b32_e32 v8, v8, v4
	v_bfe_u32 v4, v4, 2, 5
	s_delay_alu instid0(VALU_DEP_2) | instskip(NEXT) | instid1(VALU_DEP_2)
	v_and_b32_e32 v8, 3, v8
	v_cmp_eq_u32_e32 vcc_lo, 0, v4
	s_delay_alu instid0(VALU_DEP_2) | instskip(NEXT) | instid1(VALU_DEP_1)
	v_dual_cndmask_b32 v4, v4, v6 :: v_dual_cndmask_b32 v5, v5, v8
	v_lshl_add_u32 v4, v4, 23, 0x37800000
	s_delay_alu instid0(VALU_DEP_2) | instskip(NEXT) | instid1(VALU_DEP_1)
	v_lshlrev_b32_e32 v5, 21, v5
	v_or3_b32 v3, v3, v4, v5
	s_delay_alu instid0(VALU_DEP_1)
	v_cvt_f16_f32_e32 v4, v3
.LBB166_79:
	s_or_b32 exec_lo, exec_lo, s16
	s_mov_b32 s0, 0
	s_branch .LBB166_85
.LBB166_80:
	s_mov_b32 s16, -1
                                        ; implicit-def: $vgpr4
	s_branch .LBB166_91
.LBB166_81:
	s_or_saveexec_b32 s18, s18
	v_mov_b32_e32 v4, s16
	s_xor_b32 exec_lo, exec_lo, s18
	s_cbranch_execz .LBB166_65
.LBB166_82:
	v_cmp_ne_u16_e32 vcc_lo, 0, v3
	v_mov_b32_e32 v4, v3
	s_and_not1_b32 s0, s0, exec_lo
	s_and_b32 s16, vcc_lo, exec_lo
	s_delay_alu instid0(SALU_CYCLE_1)
	s_or_b32 s0, s0, s16
	s_or_b32 exec_lo, exec_lo, s18
	s_and_saveexec_b32 s16, s0
	s_cbranch_execnz .LBB166_66
	s_branch .LBB166_67
.LBB166_83:
	s_mov_b32 s0, -1
                                        ; implicit-def: $vgpr4
	s_branch .LBB166_88
.LBB166_84:
	s_mov_b32 s0, -1
                                        ; implicit-def: $vgpr4
.LBB166_85:
	s_delay_alu instid0(SALU_CYCLE_1)
	s_and_b32 vcc_lo, exec_lo, s0
	s_cbranch_vccz .LBB166_87
; %bb.86:
	global_load_u8 v3, v[0:1], off
	s_waitcnt vmcnt(0)
	v_lshlrev_b32_e32 v3, 24, v3
	s_delay_alu instid0(VALU_DEP_1) | instskip(NEXT) | instid1(VALU_DEP_1)
	v_and_b32_e32 v4, 0x7f000000, v3
	v_clz_i32_u32_e32 v5, v4
	v_add_nc_u32_e32 v8, 0x1000000, v4
	v_cmp_ne_u32_e32 vcc_lo, 0, v4
	s_delay_alu instid0(VALU_DEP_3) | instskip(NEXT) | instid1(VALU_DEP_1)
	v_min_u32_e32 v5, 32, v5
	v_sub_nc_u32_e64 v5, v5, 4 clamp
	s_delay_alu instid0(VALU_DEP_1) | instskip(SKIP_1) | instid1(VALU_DEP_2)
	v_lshlrev_b32_e32 v6, v5, v4
	v_lshlrev_b32_e32 v5, 23, v5
	v_lshrrev_b32_e32 v6, 4, v6
	s_delay_alu instid0(VALU_DEP_1) | instskip(SKIP_1) | instid1(VALU_DEP_2)
	v_sub_nc_u32_e32 v5, v6, v5
	v_ashrrev_i32_e32 v6, 8, v8
	v_add_nc_u32_e32 v5, 0x3c000000, v5
	s_delay_alu instid0(VALU_DEP_1) | instskip(NEXT) | instid1(VALU_DEP_1)
	v_and_or_b32 v5, 0x7f800000, v6, v5
	v_cndmask_b32_e32 v4, 0, v5, vcc_lo
	s_delay_alu instid0(VALU_DEP_1) | instskip(NEXT) | instid1(VALU_DEP_1)
	v_and_or_b32 v3, 0x80000000, v3, v4
	v_cvt_f16_f32_e32 v4, v3
.LBB166_87:
	s_mov_b32 s0, 0
.LBB166_88:
	s_delay_alu instid0(SALU_CYCLE_1)
	s_and_not1_b32 vcc_lo, exec_lo, s0
	s_cbranch_vccnz .LBB166_90
; %bb.89:
	global_load_u8 v3, v[0:1], off
	s_waitcnt vmcnt(0)
	v_lshlrev_b32_e32 v4, 25, v3
	v_lshlrev_b16 v3, 8, v3
	s_delay_alu instid0(VALU_DEP_2) | instskip(NEXT) | instid1(VALU_DEP_2)
	v_lshrrev_b32_e32 v5, 4, v4
	v_and_or_b32 v6, 0x7f00, v3, 0.5
	v_bfe_i32 v3, v3, 0, 16
	s_delay_alu instid0(VALU_DEP_3) | instskip(NEXT) | instid1(VALU_DEP_1)
	v_or_b32_e32 v5, 0x70000000, v5
	v_dual_add_f32 v6, -0.5, v6 :: v_dual_mul_f32 v5, 0x7800000, v5
	v_cmp_gt_u32_e32 vcc_lo, 0x8000000, v4
	s_delay_alu instid0(VALU_DEP_2) | instskip(NEXT) | instid1(VALU_DEP_1)
	v_cndmask_b32_e32 v4, v5, v6, vcc_lo
	v_and_or_b32 v3, 0x80000000, v3, v4
	s_delay_alu instid0(VALU_DEP_1)
	v_cvt_f16_f32_e32 v4, v3
.LBB166_90:
	s_mov_b32 s16, 0
	s_mov_b32 s0, -1
.LBB166_91:
	s_and_not1_b32 vcc_lo, exec_lo, s16
	s_cbranch_vccnz .LBB166_104
; %bb.92:
	v_cmp_lt_i16_e32 vcc_lo, 14, v2
	s_cbranch_vccz .LBB166_95
; %bb.93:
	v_cmp_eq_u16_e32 vcc_lo, 15, v2
	s_cbranch_vccz .LBB166_98
; %bb.94:
	global_load_u16 v3, v[0:1], off
	s_mov_b32 s0, -1
	s_mov_b32 s19, 0
	s_waitcnt vmcnt(0)
	v_lshlrev_b32_e32 v3, 16, v3
	s_delay_alu instid0(VALU_DEP_1)
	v_cvt_f16_f32_e32 v4, v3
	s_branch .LBB166_99
.LBB166_95:
	s_mov_b32 s16, -1
                                        ; implicit-def: $vgpr4
	s_branch .LBB166_100
.LBB166_96:
	s_or_saveexec_b32 s18, s18
	v_mov_b32_e32 v4, s16
	s_xor_b32 exec_lo, exec_lo, s18
	s_cbranch_execz .LBB166_77
.LBB166_97:
	v_cmp_ne_u16_e32 vcc_lo, 0, v3
	v_mov_b32_e32 v4, v3
	s_and_not1_b32 s0, s0, exec_lo
	s_and_b32 s16, vcc_lo, exec_lo
	s_delay_alu instid0(SALU_CYCLE_1)
	s_or_b32 s0, s0, s16
	s_or_b32 exec_lo, exec_lo, s18
	s_and_saveexec_b32 s16, s0
	s_cbranch_execnz .LBB166_78
	s_branch .LBB166_79
.LBB166_98:
	s_mov_b32 s19, -1
                                        ; implicit-def: $vgpr4
.LBB166_99:
	s_mov_b32 s16, 0
.LBB166_100:
	s_delay_alu instid0(SALU_CYCLE_1)
	s_and_b32 vcc_lo, exec_lo, s16
	s_cbranch_vccz .LBB166_104
; %bb.101:
	v_cmp_eq_u16_e32 vcc_lo, 11, v2
	s_cbranch_vccz .LBB166_103
; %bb.102:
	global_load_u8 v3, v[0:1], off
	s_mov_b32 s19, 0
	s_mov_b32 s0, -1
	s_waitcnt vmcnt(0)
	v_cmp_ne_u16_e32 vcc_lo, 0, v3
	v_cndmask_b32_e64 v4, 0, 0x3c00, vcc_lo
	s_branch .LBB166_104
.LBB166_103:
	s_mov_b32 s19, -1
                                        ; implicit-def: $vgpr4
.LBB166_104:
	s_branch .LBB166_10
.LBB166_105:
	v_cmp_gt_i16_e32 vcc_lo, 5, v2
	s_cbranch_vccnz .LBB166_110
; %bb.106:
	v_cmp_gt_i16_e32 vcc_lo, 8, v2
	s_cbranch_vccnz .LBB166_111
; %bb.107:
	;; [unrolled: 3-line block ×3, first 2 shown]
	v_cmp_lt_i16_e32 vcc_lo, 9, v2
	s_cbranch_vccz .LBB166_113
; %bb.109:
	global_load_b64 v[3:4], v[0:1], off
	s_mov_b32 s0, 0
	s_waitcnt vmcnt(0)
	v_cvt_f32_f64_e32 v3, v[3:4]
	s_delay_alu instid0(VALU_DEP_1)
	v_cvt_f16_f32_e32 v4, v3
	s_branch .LBB166_114
.LBB166_110:
                                        ; implicit-def: $vgpr4
	s_branch .LBB166_132
.LBB166_111:
	s_mov_b32 s0, -1
                                        ; implicit-def: $vgpr4
	s_branch .LBB166_120
.LBB166_112:
	s_mov_b32 s0, -1
                                        ; implicit-def: $vgpr4
	s_branch .LBB166_117
.LBB166_113:
	s_mov_b32 s0, -1
                                        ; implicit-def: $vgpr4
.LBB166_114:
	s_delay_alu instid0(SALU_CYCLE_1)
	s_and_not1_b32 vcc_lo, exec_lo, s0
	s_cbranch_vccnz .LBB166_116
; %bb.115:
	global_load_b32 v3, v[0:1], off
	s_waitcnt vmcnt(0)
	v_cvt_f16_f32_e32 v4, v3
.LBB166_116:
	s_mov_b32 s0, 0
.LBB166_117:
	s_delay_alu instid0(SALU_CYCLE_1)
	s_and_not1_b32 vcc_lo, exec_lo, s0
	s_cbranch_vccnz .LBB166_119
; %bb.118:
	global_load_b32 v4, v[0:1], off
.LBB166_119:
	s_mov_b32 s0, 0
.LBB166_120:
	s_delay_alu instid0(SALU_CYCLE_1)
	s_and_not1_b32 vcc_lo, exec_lo, s0
	s_cbranch_vccnz .LBB166_131
; %bb.121:
	v_cmp_gt_i16_e32 vcc_lo, 6, v2
	s_cbranch_vccnz .LBB166_124
; %bb.122:
	v_cmp_lt_i16_e32 vcc_lo, 6, v2
	s_cbranch_vccz .LBB166_125
; %bb.123:
	global_load_b64 v[3:4], v[0:1], off
	s_mov_b32 s0, 0
	s_waitcnt vmcnt(0)
	v_cvt_f32_f64_e32 v3, v[3:4]
	s_delay_alu instid0(VALU_DEP_1)
	v_cvt_f16_f32_e32 v4, v3
	s_branch .LBB166_126
.LBB166_124:
	s_mov_b32 s0, -1
                                        ; implicit-def: $vgpr4
	s_branch .LBB166_129
.LBB166_125:
	s_mov_b32 s0, -1
                                        ; implicit-def: $vgpr4
.LBB166_126:
	s_delay_alu instid0(SALU_CYCLE_1)
	s_and_not1_b32 vcc_lo, exec_lo, s0
	s_cbranch_vccnz .LBB166_128
; %bb.127:
	global_load_b32 v3, v[0:1], off
	s_waitcnt vmcnt(0)
	v_cvt_f16_f32_e32 v4, v3
.LBB166_128:
	s_mov_b32 s0, 0
.LBB166_129:
	s_delay_alu instid0(SALU_CYCLE_1)
	s_and_not1_b32 vcc_lo, exec_lo, s0
	s_cbranch_vccnz .LBB166_131
; %bb.130:
	global_load_u16 v4, v[0:1], off
.LBB166_131:
	s_cbranch_execnz .LBB166_151
.LBB166_132:
	v_cmp_gt_i16_e32 vcc_lo, 2, v2
	s_cbranch_vccnz .LBB166_136
; %bb.133:
	v_cmp_gt_i16_e32 vcc_lo, 3, v2
	s_cbranch_vccnz .LBB166_137
; %bb.134:
	v_cmp_lt_i16_e32 vcc_lo, 3, v2
	s_cbranch_vccz .LBB166_138
; %bb.135:
	global_load_b64 v[3:4], v[0:1], off
	s_mov_b32 s0, 0
	s_waitcnt vmcnt(0)
	v_xor_b32_e32 v5, v3, v4
	v_cls_i32_e32 v6, v4
	s_delay_alu instid0(VALU_DEP_2) | instskip(NEXT) | instid1(VALU_DEP_2)
	v_ashrrev_i32_e32 v5, 31, v5
	v_add_nc_u32_e32 v6, -1, v6
	s_delay_alu instid0(VALU_DEP_2) | instskip(NEXT) | instid1(VALU_DEP_1)
	v_add_nc_u32_e32 v5, 32, v5
	v_min_u32_e32 v5, v6, v5
	s_delay_alu instid0(VALU_DEP_1) | instskip(NEXT) | instid1(VALU_DEP_1)
	v_lshlrev_b64 v[3:4], v5, v[3:4]
	v_min_u32_e32 v3, 1, v3
	s_delay_alu instid0(VALU_DEP_1) | instskip(SKIP_1) | instid1(VALU_DEP_2)
	v_or_b32_e32 v3, v4, v3
	v_sub_nc_u32_e32 v4, 32, v5
	v_cvt_f32_i32_e32 v3, v3
	s_delay_alu instid0(VALU_DEP_1) | instskip(NEXT) | instid1(VALU_DEP_1)
	v_ldexp_f32 v3, v3, v4
	v_cvt_f16_f32_e32 v4, v3
	s_branch .LBB166_139
.LBB166_136:
	s_mov_b32 s0, -1
                                        ; implicit-def: $vgpr4
	s_branch .LBB166_145
.LBB166_137:
	s_mov_b32 s0, -1
                                        ; implicit-def: $vgpr4
	s_branch .LBB166_142
.LBB166_138:
	s_mov_b32 s0, -1
                                        ; implicit-def: $vgpr4
.LBB166_139:
	s_delay_alu instid0(SALU_CYCLE_1)
	s_and_not1_b32 vcc_lo, exec_lo, s0
	s_cbranch_vccnz .LBB166_141
; %bb.140:
	global_load_b32 v3, v[0:1], off
	s_waitcnt vmcnt(0)
	v_cvt_f32_i32_e32 v3, v3
	s_delay_alu instid0(VALU_DEP_1)
	v_cvt_f16_f32_e32 v4, v3
.LBB166_141:
	s_mov_b32 s0, 0
.LBB166_142:
	s_delay_alu instid0(SALU_CYCLE_1)
	s_and_not1_b32 vcc_lo, exec_lo, s0
	s_cbranch_vccnz .LBB166_144
; %bb.143:
	global_load_u16 v3, v[0:1], off
	s_waitcnt vmcnt(0)
	v_cvt_f16_i16_e32 v4, v3
.LBB166_144:
	s_mov_b32 s0, 0
.LBB166_145:
	s_delay_alu instid0(SALU_CYCLE_1)
	s_and_not1_b32 vcc_lo, exec_lo, s0
	s_cbranch_vccnz .LBB166_151
; %bb.146:
	v_cmp_lt_i16_e32 vcc_lo, 0, v2
	s_mov_b32 s0, 0
	s_cbranch_vccz .LBB166_148
; %bb.147:
	global_load_i8 v2, v[0:1], off
	s_waitcnt vmcnt(0)
	v_cvt_f16_i16_e32 v4, v2
	s_branch .LBB166_149
.LBB166_148:
	s_mov_b32 s0, -1
                                        ; implicit-def: $vgpr4
.LBB166_149:
	s_delay_alu instid0(SALU_CYCLE_1)
	s_and_not1_b32 vcc_lo, exec_lo, s0
	s_cbranch_vccnz .LBB166_151
; %bb.150:
	global_load_u8 v0, v[0:1], off
	s_waitcnt vmcnt(0)
	v_cvt_f16_u16_e32 v4, v0
.LBB166_151:
	s_branch .LBB166_11
.LBB166_152:
	s_mov_b32 s0, 0
	s_mov_b32 s18, 0
	s_branch .LBB166_376
.LBB166_153:
	s_mov_b32 s18, -1
.LBB166_154:
	s_mov_b32 s0, 0
                                        ; implicit-def: $vgpr2
.LBB166_155:
	s_and_b32 vcc_lo, exec_lo, s16
	s_cbranch_vccz .LBB166_270
; %bb.156:
	v_cmp_eq_u16_e32 vcc_lo, 44, v5
	s_cbranch_vccz .LBB166_269
; %bb.157:
	global_load_u8 v2, v[0:1], off
	s_mov_b32 s18, 0
	s_mov_b32 s0, -1
	s_waitcnt vmcnt(0)
	v_lshlrev_b32_e32 v3, 23, v2
	v_cmp_ne_u32_e32 vcc_lo, 0, v2
	s_delay_alu instid0(VALU_DEP_2) | instskip(NEXT) | instid1(VALU_DEP_1)
	v_trunc_f32_e32 v3, v3
	v_mul_f32_e64 v6, 0x2f800000, |v3|
	s_delay_alu instid0(VALU_DEP_1) | instskip(NEXT) | instid1(VALU_DEP_1)
	v_floor_f32_e32 v6, v6
	v_fma_f32 v6, 0xcf800000, v6, |v3|
	v_ashrrev_i32_e32 v3, 31, v3
	s_delay_alu instid0(VALU_DEP_2) | instskip(NEXT) | instid1(VALU_DEP_1)
	v_cvt_u32_f32_e32 v6, v6
	v_xor_b32_e32 v6, v6, v3
	s_delay_alu instid0(VALU_DEP_1) | instskip(NEXT) | instid1(VALU_DEP_1)
	v_sub_nc_u32_e32 v3, v6, v3
	v_cndmask_b32_e32 v2, 0, v3, vcc_lo
	s_branch .LBB166_270
.LBB166_158:
	s_mov_b32 s22, -1
	s_mov_b32 s0, 0
	s_mov_b32 s16, 0
.LBB166_159:
	s_and_b32 vcc_lo, exec_lo, s22
	s_cbranch_vccz .LBB166_164
; %bb.160:
	v_cmp_eq_u16_e32 vcc_lo, 44, v3
	s_mov_b32 s0, -1
	s_cbranch_vccz .LBB166_164
; %bb.161:
	v_cvt_f32_f16_e32 v4, v2
	v_mov_b32_e32 v5, 0xff
	s_mov_b32 s16, exec_lo
	s_delay_alu instid0(VALU_DEP_2) | instskip(NEXT) | instid1(VALU_DEP_1)
	v_bfe_u32 v6, v4, 23, 8
	v_cmpx_ne_u32_e32 0xff, v6
; %bb.162:
	v_and_b32_e32 v5, 0x400000, v4
	v_and_or_b32 v6, 0x3fffff, v4, v6
	v_lshrrev_b32_e32 v4, 23, v4
	s_delay_alu instid0(VALU_DEP_3) | instskip(NEXT) | instid1(VALU_DEP_3)
	v_cmp_ne_u32_e32 vcc_lo, 0, v5
	v_cmp_ne_u32_e64 s0, 0, v6
	s_delay_alu instid0(VALU_DEP_1) | instskip(NEXT) | instid1(SALU_CYCLE_1)
	s_and_b32 s0, vcc_lo, s0
	v_cndmask_b32_e64 v5, 0, 1, s0
	s_delay_alu instid0(VALU_DEP_1)
	v_add_nc_u32_e32 v5, v4, v5
; %bb.163:
	s_or_b32 exec_lo, exec_lo, s16
	s_mov_b32 s16, -1
	s_mov_b32 s0, 0
	global_store_b8 v[0:1], v5, off
.LBB166_164:
	s_mov_b32 s22, 0
.LBB166_165:
	s_delay_alu instid0(SALU_CYCLE_1)
	s_and_b32 vcc_lo, exec_lo, s22
	s_cbranch_vccz .LBB166_168
; %bb.166:
	v_cmp_eq_u16_e32 vcc_lo, 29, v3
	s_mov_b32 s0, -1
	s_cbranch_vccz .LBB166_168
; %bb.167:
	v_cvt_f32_f16_e32 v4, v2
	v_mov_b32_e32 v5, 0
	s_mov_b32 s0, 0
	s_mov_b32 s16, -1
	s_mov_b32 s22, 0
	v_cvt_u32_f32_e32 v4, v4
	global_store_b64 v[0:1], v[4:5], off
	s_branch .LBB166_169
.LBB166_168:
	s_mov_b32 s22, 0
.LBB166_169:
	s_delay_alu instid0(SALU_CYCLE_1)
	s_and_b32 vcc_lo, exec_lo, s22
	s_cbranch_vccz .LBB166_185
; %bb.170:
	v_cmp_gt_i16_e32 vcc_lo, 27, v3
	s_mov_b32 s16, -1
	s_cbranch_vccnz .LBB166_176
; %bb.171:
	v_cmp_lt_i16_e32 vcc_lo, 27, v3
	s_cbranch_vccz .LBB166_173
; %bb.172:
	v_cvt_f32_f16_e32 v4, v2
	s_mov_b32 s16, 0
	s_delay_alu instid0(VALU_DEP_1)
	v_cvt_u32_f32_e32 v4, v4
	global_store_b32 v[0:1], v4, off
.LBB166_173:
	s_and_not1_b32 vcc_lo, exec_lo, s16
	s_cbranch_vccnz .LBB166_175
; %bb.174:
	v_cvt_u16_f16_e32 v4, v2
	global_store_b16 v[0:1], v4, off
.LBB166_175:
	s_mov_b32 s16, 0
.LBB166_176:
	s_delay_alu instid0(SALU_CYCLE_1)
	s_and_not1_b32 vcc_lo, exec_lo, s16
	s_cbranch_vccnz .LBB166_184
; %bb.177:
	v_cvt_f32_f16_e32 v4, v2
	v_mov_b32_e32 v6, 0x80
	s_mov_b32 s16, exec_lo
	s_delay_alu instid0(VALU_DEP_2) | instskip(NEXT) | instid1(VALU_DEP_1)
	v_and_b32_e32 v5, 0x7fffffff, v4
	v_cmpx_gt_u32_e32 0x43800000, v5
	s_cbranch_execz .LBB166_183
; %bb.178:
	v_cmp_lt_u32_e32 vcc_lo, 0x3bffffff, v5
	s_mov_b32 s22, 0
                                        ; implicit-def: $vgpr5
	s_and_saveexec_b32 s23, vcc_lo
	s_delay_alu instid0(SALU_CYCLE_1)
	s_xor_b32 s23, exec_lo, s23
	s_cbranch_execz .LBB166_404
; %bb.179:
	v_bfe_u32 v5, v4, 20, 1
	s_mov_b32 s22, exec_lo
	s_delay_alu instid0(VALU_DEP_1) | instskip(NEXT) | instid1(VALU_DEP_1)
	v_add3_u32 v5, v4, v5, 0x487ffff
	v_lshrrev_b32_e32 v5, 20, v5
	s_or_saveexec_b32 s23, s23
                                        ; implicit-def: $sgpr24
	s_delay_alu instid0(SALU_CYCLE_1)
	s_xor_b32 exec_lo, exec_lo, s23
	s_cbranch_execnz .LBB166_405
.LBB166_180:
	s_or_b32 exec_lo, exec_lo, s23
	v_mov_b32_e32 v6, s24
	s_and_saveexec_b32 s23, s22
.LBB166_181:
	v_lshrrev_b32_e32 v4, 24, v4
	s_delay_alu instid0(VALU_DEP_1)
	v_and_or_b32 v6, 0x80, v4, v5
.LBB166_182:
	s_or_b32 exec_lo, exec_lo, s23
.LBB166_183:
	s_delay_alu instid0(SALU_CYCLE_1)
	s_or_b32 exec_lo, exec_lo, s16
	global_store_b8 v[0:1], v6, off
.LBB166_184:
	s_mov_b32 s16, -1
.LBB166_185:
	s_mov_b32 s22, 0
.LBB166_186:
	s_delay_alu instid0(SALU_CYCLE_1)
	s_and_b32 vcc_lo, exec_lo, s22
	s_cbranch_vccz .LBB166_227
; %bb.187:
	v_cmp_lt_i16_e32 vcc_lo, 22, v3
	s_mov_b32 s22, -1
	s_cbranch_vccz .LBB166_219
; %bb.188:
	v_cmp_gt_i16_e32 vcc_lo, 24, v3
	s_mov_b32 s16, -1
	s_cbranch_vccnz .LBB166_208
; %bb.189:
	v_cmp_lt_i16_e32 vcc_lo, 24, v3
	s_cbranch_vccz .LBB166_197
; %bb.190:
	v_cvt_f32_f16_e32 v4, v2
	v_mov_b32_e32 v6, 0x80
	s_mov_b32 s16, exec_lo
	s_delay_alu instid0(VALU_DEP_2) | instskip(NEXT) | instid1(VALU_DEP_1)
	v_and_b32_e32 v5, 0x7fffffff, v4
	v_cmpx_gt_u32_e32 0x47800000, v5
	s_cbranch_execz .LBB166_196
; %bb.191:
	v_cmp_lt_u32_e32 vcc_lo, 0x37ffffff, v5
	s_mov_b32 s22, 0
                                        ; implicit-def: $vgpr5
	s_and_saveexec_b32 s23, vcc_lo
	s_delay_alu instid0(SALU_CYCLE_1)
	s_xor_b32 s23, exec_lo, s23
	s_cbranch_execz .LBB166_523
; %bb.192:
	v_bfe_u32 v5, v4, 21, 1
	s_mov_b32 s22, exec_lo
	s_delay_alu instid0(VALU_DEP_1) | instskip(NEXT) | instid1(VALU_DEP_1)
	v_add3_u32 v5, v4, v5, 0x88fffff
	v_lshrrev_b32_e32 v5, 21, v5
	s_or_saveexec_b32 s23, s23
                                        ; implicit-def: $sgpr24
	s_delay_alu instid0(SALU_CYCLE_1)
	s_xor_b32 exec_lo, exec_lo, s23
	s_cbranch_execnz .LBB166_524
.LBB166_193:
	s_or_b32 exec_lo, exec_lo, s23
	v_mov_b32_e32 v6, s24
	s_and_saveexec_b32 s23, s22
.LBB166_194:
	v_lshrrev_b32_e32 v4, 24, v4
	s_delay_alu instid0(VALU_DEP_1)
	v_and_or_b32 v6, 0x80, v4, v5
.LBB166_195:
	s_or_b32 exec_lo, exec_lo, s23
.LBB166_196:
	s_delay_alu instid0(SALU_CYCLE_1)
	s_or_b32 exec_lo, exec_lo, s16
	s_mov_b32 s16, 0
	global_store_b8 v[0:1], v6, off
.LBB166_197:
	s_and_b32 vcc_lo, exec_lo, s16
	s_cbranch_vccz .LBB166_207
; %bb.198:
	v_cvt_f32_f16_e32 v4, v2
	s_mov_b32 s16, exec_lo
                                        ; implicit-def: $vgpr5
	s_delay_alu instid0(VALU_DEP_1) | instskip(NEXT) | instid1(VALU_DEP_1)
	v_and_b32_e32 v6, 0x7fffffff, v4
	v_cmpx_gt_u32_e32 0x43f00000, v6
	s_xor_b32 s16, exec_lo, s16
	s_cbranch_execz .LBB166_204
; %bb.199:
	s_mov_b32 s22, exec_lo
                                        ; implicit-def: $vgpr5
	v_cmpx_lt_u32_e32 0x3c7fffff, v6
	s_xor_b32 s22, exec_lo, s22
; %bb.200:
	v_bfe_u32 v5, v4, 20, 1
	s_delay_alu instid0(VALU_DEP_1) | instskip(NEXT) | instid1(VALU_DEP_1)
	v_add3_u32 v5, v4, v5, 0x407ffff
	v_and_b32_e32 v6, 0xff00000, v5
	v_lshrrev_b32_e32 v5, 20, v5
	s_delay_alu instid0(VALU_DEP_2) | instskip(NEXT) | instid1(VALU_DEP_2)
	v_cmp_ne_u32_e32 vcc_lo, 0x7f00000, v6
	v_cndmask_b32_e32 v5, 0x7e, v5, vcc_lo
; %bb.201:
	s_and_not1_saveexec_b32 s22, s22
; %bb.202:
	v_add_f32_e64 v5, 0x46800000, |v4|
; %bb.203:
	s_or_b32 exec_lo, exec_lo, s22
                                        ; implicit-def: $vgpr6
.LBB166_204:
	s_and_not1_saveexec_b32 s16, s16
; %bb.205:
	v_mov_b32_e32 v5, 0x7f
	v_cmp_lt_u32_e32 vcc_lo, 0x7f800000, v6
	s_delay_alu instid0(VALU_DEP_2)
	v_cndmask_b32_e32 v5, 0x7e, v5, vcc_lo
; %bb.206:
	s_or_b32 exec_lo, exec_lo, s16
	v_lshrrev_b32_e32 v4, 24, v4
	s_delay_alu instid0(VALU_DEP_1)
	v_and_or_b32 v4, 0x80, v4, v5
	global_store_b8 v[0:1], v4, off
.LBB166_207:
	s_mov_b32 s16, 0
.LBB166_208:
	s_delay_alu instid0(SALU_CYCLE_1)
	s_and_not1_b32 vcc_lo, exec_lo, s16
	s_cbranch_vccnz .LBB166_218
; %bb.209:
	v_cvt_f32_f16_e32 v4, v2
	s_mov_b32 s16, exec_lo
                                        ; implicit-def: $vgpr5
	s_delay_alu instid0(VALU_DEP_1) | instskip(NEXT) | instid1(VALU_DEP_1)
	v_and_b32_e32 v6, 0x7fffffff, v4
	v_cmpx_gt_u32_e32 0x47800000, v6
	s_xor_b32 s16, exec_lo, s16
	s_cbranch_execz .LBB166_215
; %bb.210:
	s_mov_b32 s22, exec_lo
                                        ; implicit-def: $vgpr5
	v_cmpx_lt_u32_e32 0x387fffff, v6
	s_xor_b32 s22, exec_lo, s22
; %bb.211:
	v_bfe_u32 v5, v4, 21, 1
	s_delay_alu instid0(VALU_DEP_1) | instskip(NEXT) | instid1(VALU_DEP_1)
	v_add3_u32 v5, v4, v5, 0x80fffff
	v_lshrrev_b32_e32 v5, 21, v5
; %bb.212:
	s_and_not1_saveexec_b32 s22, s22
; %bb.213:
	v_add_f32_e64 v5, 0x43000000, |v4|
; %bb.214:
	s_or_b32 exec_lo, exec_lo, s22
                                        ; implicit-def: $vgpr6
.LBB166_215:
	s_and_not1_saveexec_b32 s16, s16
; %bb.216:
	v_mov_b32_e32 v5, 0x7f
	v_cmp_lt_u32_e32 vcc_lo, 0x7f800000, v6
	s_delay_alu instid0(VALU_DEP_2)
	v_cndmask_b32_e32 v5, 0x7c, v5, vcc_lo
; %bb.217:
	s_or_b32 exec_lo, exec_lo, s16
	v_lshrrev_b32_e32 v4, 24, v4
	s_delay_alu instid0(VALU_DEP_1)
	v_and_or_b32 v4, 0x80, v4, v5
	global_store_b8 v[0:1], v4, off
.LBB166_218:
	s_mov_b32 s22, 0
	s_mov_b32 s16, -1
.LBB166_219:
	s_and_not1_b32 vcc_lo, exec_lo, s22
	s_cbranch_vccnz .LBB166_227
; %bb.220:
	v_cmp_lt_i16_e32 vcc_lo, 14, v3
	s_mov_b32 s22, -1
	s_cbranch_vccz .LBB166_224
; %bb.221:
	v_cmp_eq_u16_e32 vcc_lo, 15, v3
	s_mov_b32 s0, -1
	s_cbranch_vccz .LBB166_223
; %bb.222:
	v_cvt_f32_f16_e32 v4, v2
	v_cmp_o_f16_e32 vcc_lo, v2, v2
	s_mov_b32 s16, -1
	s_mov_b32 s0, 0
	s_delay_alu instid0(VALU_DEP_2) | instskip(NEXT) | instid1(VALU_DEP_1)
	v_bfe_u32 v5, v4, 16, 1
	v_add3_u32 v4, v4, v5, 0x7fff
	s_delay_alu instid0(VALU_DEP_1) | instskip(NEXT) | instid1(VALU_DEP_1)
	v_lshrrev_b32_e32 v4, 16, v4
	v_cndmask_b32_e32 v4, 0x7fc0, v4, vcc_lo
	global_store_b16 v[0:1], v4, off
.LBB166_223:
	s_mov_b32 s22, 0
.LBB166_224:
	s_delay_alu instid0(SALU_CYCLE_1)
	s_and_b32 vcc_lo, exec_lo, s22
	s_cbranch_vccz .LBB166_227
; %bb.225:
	v_cmp_eq_u16_e32 vcc_lo, 11, v3
	s_mov_b32 s0, -1
	s_cbranch_vccz .LBB166_227
; %bb.226:
	v_cmp_neq_f16_e32 vcc_lo, 0, v2
	s_mov_b32 s0, 0
	s_mov_b32 s16, -1
	v_cndmask_b32_e64 v4, 0, 1, vcc_lo
	global_store_b8 v[0:1], v4, off
.LBB166_227:
	s_mov_b32 s22, 0
.LBB166_228:
	s_delay_alu instid0(SALU_CYCLE_1)
	s_and_b32 vcc_lo, exec_lo, s22
	s_cbranch_vccz .LBB166_267
; %bb.229:
	v_cmp_gt_i16_e32 vcc_lo, 5, v3
	s_mov_b32 s16, -1
	s_cbranch_vccnz .LBB166_250
; %bb.230:
	v_cmp_gt_i16_e32 vcc_lo, 8, v3
	s_cbranch_vccnz .LBB166_240
; %bb.231:
	v_cmp_gt_i16_e32 vcc_lo, 9, v3
	s_cbranch_vccnz .LBB166_237
; %bb.232:
	v_cmp_lt_i16_e32 vcc_lo, 9, v3
	s_cbranch_vccz .LBB166_234
; %bb.233:
	v_cvt_f32_f16_e32 v4, v2
	v_mov_b32_e32 v10, 0
	s_mov_b32 s16, 0
	s_delay_alu instid0(VALU_DEP_2) | instskip(NEXT) | instid1(VALU_DEP_2)
	v_cvt_f64_f32_e32 v[8:9], v4
	v_mov_b32_e32 v11, v10
	global_store_b128 v[0:1], v[8:11], off
.LBB166_234:
	s_and_not1_b32 vcc_lo, exec_lo, s16
	s_cbranch_vccnz .LBB166_236
; %bb.235:
	v_cvt_f32_f16_e32 v4, v2
	v_mov_b32_e32 v5, 0
	global_store_b64 v[0:1], v[4:5], off
.LBB166_236:
	s_mov_b32 s16, 0
.LBB166_237:
	s_delay_alu instid0(SALU_CYCLE_1)
	s_and_not1_b32 vcc_lo, exec_lo, s16
	s_cbranch_vccnz .LBB166_239
; %bb.238:
	v_and_b32_e32 v4, 0xffff, v2
	global_store_b32 v[0:1], v4, off
.LBB166_239:
	s_mov_b32 s16, 0
.LBB166_240:
	s_delay_alu instid0(SALU_CYCLE_1)
	s_and_not1_b32 vcc_lo, exec_lo, s16
	s_cbranch_vccnz .LBB166_249
; %bb.241:
	v_cmp_gt_i16_e32 vcc_lo, 6, v3
	s_mov_b32 s16, -1
	s_cbranch_vccnz .LBB166_247
; %bb.242:
	v_cmp_lt_i16_e32 vcc_lo, 6, v3
	s_cbranch_vccz .LBB166_244
; %bb.243:
	v_cvt_f32_f16_e32 v4, v2
	s_mov_b32 s16, 0
	s_delay_alu instid0(VALU_DEP_1)
	v_cvt_f64_f32_e32 v[4:5], v4
	global_store_b64 v[0:1], v[4:5], off
.LBB166_244:
	s_and_not1_b32 vcc_lo, exec_lo, s16
	s_cbranch_vccnz .LBB166_246
; %bb.245:
	v_cvt_f32_f16_e32 v4, v2
	global_store_b32 v[0:1], v4, off
.LBB166_246:
	s_mov_b32 s16, 0
.LBB166_247:
	s_delay_alu instid0(SALU_CYCLE_1)
	s_and_not1_b32 vcc_lo, exec_lo, s16
	s_cbranch_vccnz .LBB166_249
; %bb.248:
	global_store_b16 v[0:1], v2, off
.LBB166_249:
	s_mov_b32 s16, 0
.LBB166_250:
	s_delay_alu instid0(SALU_CYCLE_1)
	s_and_not1_b32 vcc_lo, exec_lo, s16
	s_cbranch_vccnz .LBB166_266
; %bb.251:
	v_cmp_gt_i16_e32 vcc_lo, 2, v3
	s_mov_b32 s16, -1
	s_cbranch_vccnz .LBB166_261
; %bb.252:
	v_cmp_gt_i16_e32 vcc_lo, 3, v3
	s_cbranch_vccnz .LBB166_258
; %bb.253:
	v_cmp_lt_i16_e32 vcc_lo, 3, v3
	s_cbranch_vccz .LBB166_255
; %bb.254:
	v_cvt_f32_f16_e32 v4, v2
	s_mov_b32 s16, 0
	s_delay_alu instid0(VALU_DEP_1) | instskip(NEXT) | instid1(VALU_DEP_1)
	v_cvt_i32_f32_e32 v4, v4
	v_ashrrev_i32_e32 v5, 31, v4
	global_store_b64 v[0:1], v[4:5], off
.LBB166_255:
	s_and_not1_b32 vcc_lo, exec_lo, s16
	s_cbranch_vccnz .LBB166_257
; %bb.256:
	v_cvt_f32_f16_e32 v4, v2
	s_delay_alu instid0(VALU_DEP_1)
	v_cvt_i32_f32_e32 v4, v4
	global_store_b32 v[0:1], v4, off
.LBB166_257:
	s_mov_b32 s16, 0
.LBB166_258:
	s_delay_alu instid0(SALU_CYCLE_1)
	s_and_not1_b32 vcc_lo, exec_lo, s16
	s_cbranch_vccnz .LBB166_260
; %bb.259:
	v_cvt_i16_f16_e32 v4, v2
	global_store_b16 v[0:1], v4, off
.LBB166_260:
	s_mov_b32 s16, 0
.LBB166_261:
	s_delay_alu instid0(SALU_CYCLE_1)
	s_and_not1_b32 vcc_lo, exec_lo, s16
	s_cbranch_vccnz .LBB166_266
; %bb.262:
	v_cmp_lt_i16_e32 vcc_lo, 0, v3
	s_mov_b32 s16, -1
	s_cbranch_vccz .LBB166_264
; %bb.263:
	v_cvt_i16_f16_e32 v3, v2
	s_mov_b32 s16, 0
	global_store_b8 v[0:1], v3, off
.LBB166_264:
	s_and_not1_b32 vcc_lo, exec_lo, s16
	s_cbranch_vccnz .LBB166_266
; %bb.265:
	v_cvt_f32_f16_e32 v2, v2
	s_delay_alu instid0(VALU_DEP_1)
	v_cvt_i32_f32_e32 v2, v2
	global_store_b8 v[0:1], v2, off
.LBB166_266:
	s_mov_b32 s16, -1
.LBB166_267:
	s_delay_alu instid0(SALU_CYCLE_1)
	s_and_not1_b32 vcc_lo, exec_lo, s16
	s_cbranch_vccnz .LBB166_376
; %bb.268:
	v_add_nc_u32_e32 v7, 0x80, v7
	s_mov_b32 s22, -1
	s_branch .LBB166_377
.LBB166_269:
	s_mov_b32 s18, -1
                                        ; implicit-def: $vgpr2
.LBB166_270:
	s_mov_b32 s16, 0
.LBB166_271:
	s_delay_alu instid0(SALU_CYCLE_1)
	s_and_b32 vcc_lo, exec_lo, s16
	s_cbranch_vccz .LBB166_275
; %bb.272:
	v_cmp_eq_u16_e32 vcc_lo, 29, v5
	s_cbranch_vccz .LBB166_274
; %bb.273:
	global_load_b64 v[2:3], v[0:1], off
	s_mov_b32 s0, -1
	s_mov_b32 s18, 0
	s_branch .LBB166_275
.LBB166_274:
	s_mov_b32 s18, -1
                                        ; implicit-def: $vgpr2
.LBB166_275:
	s_mov_b32 s16, 0
.LBB166_276:
	s_delay_alu instid0(SALU_CYCLE_1)
	s_and_b32 vcc_lo, exec_lo, s16
	s_cbranch_vccz .LBB166_292
; %bb.277:
	v_cmp_gt_i16_e32 vcc_lo, 27, v5
	s_cbranch_vccnz .LBB166_280
; %bb.278:
	v_cmp_lt_i16_e32 vcc_lo, 27, v5
	s_cbranch_vccz .LBB166_281
; %bb.279:
	global_load_b32 v2, v[0:1], off
	s_mov_b32 s0, 0
	s_branch .LBB166_282
.LBB166_280:
	s_mov_b32 s0, -1
                                        ; implicit-def: $vgpr2
	s_branch .LBB166_285
.LBB166_281:
	s_mov_b32 s0, -1
                                        ; implicit-def: $vgpr2
.LBB166_282:
	s_delay_alu instid0(SALU_CYCLE_1)
	s_and_not1_b32 vcc_lo, exec_lo, s0
	s_cbranch_vccnz .LBB166_284
; %bb.283:
	global_load_u16 v2, v[0:1], off
.LBB166_284:
	s_mov_b32 s0, 0
.LBB166_285:
	s_delay_alu instid0(SALU_CYCLE_1)
	s_and_not1_b32 vcc_lo, exec_lo, s0
	s_cbranch_vccnz .LBB166_291
; %bb.286:
	global_load_u8 v3, v[0:1], off
	s_mov_b32 s16, 0
	s_mov_b32 s0, exec_lo
                                        ; implicit-def: $sgpr22
	s_waitcnt vmcnt(0)
	v_cmpx_lt_i16_e32 0x7f, v3
	s_xor_b32 s0, exec_lo, s0
	s_cbranch_execz .LBB166_303
; %bb.287:
	v_cmp_ne_u16_e32 vcc_lo, 0x80, v3
	s_mov_b32 s22, 0
	s_and_b32 s16, vcc_lo, exec_lo
	s_or_saveexec_b32 s0, s0
	v_mov_b32_e32 v2, s22
	s_xor_b32 exec_lo, exec_lo, s0
	s_cbranch_execnz .LBB166_304
.LBB166_288:
	s_or_b32 exec_lo, exec_lo, s0
	s_and_saveexec_b32 s0, s16
	s_cbranch_execz .LBB166_290
.LBB166_289:
	v_and_b32_e32 v2, 0xffff, v3
	s_delay_alu instid0(VALU_DEP_1) | instskip(NEXT) | instid1(VALU_DEP_1)
	v_and_b32_e32 v6, 7, v2
	v_clz_i32_u32_e32 v8, v6
	s_delay_alu instid0(VALU_DEP_1) | instskip(NEXT) | instid1(VALU_DEP_1)
	v_min_u32_e32 v8, 32, v8
	v_subrev_nc_u32_e32 v9, 28, v8
	v_sub_nc_u32_e32 v8, 29, v8
	s_delay_alu instid0(VALU_DEP_2) | instskip(SKIP_1) | instid1(VALU_DEP_1)
	v_lshlrev_b32_e32 v9, v9, v2
	v_bfe_u32 v2, v2, 3, 4
	v_cmp_eq_u32_e32 vcc_lo, 0, v2
	s_delay_alu instid0(VALU_DEP_3) | instskip(SKIP_1) | instid1(VALU_DEP_2)
	v_dual_cndmask_b32 v2, v2, v8 :: v_dual_and_b32 v9, 7, v9
	v_lshlrev_b32_e32 v3, 24, v3
	v_lshl_add_u32 v2, v2, 23, 0x3b800000
	s_delay_alu instid0(VALU_DEP_2) | instskip(NEXT) | instid1(VALU_DEP_1)
	v_dual_cndmask_b32 v6, v6, v9 :: v_dual_and_b32 v3, 0x80000000, v3
	v_lshlrev_b32_e32 v6, 20, v6
	s_delay_alu instid0(VALU_DEP_1) | instskip(NEXT) | instid1(VALU_DEP_1)
	v_or3_b32 v2, v3, v2, v6
	v_trunc_f32_e32 v2, v2
	s_delay_alu instid0(VALU_DEP_1) | instskip(NEXT) | instid1(VALU_DEP_1)
	v_mul_f32_e64 v3, 0x2f800000, |v2|
	v_floor_f32_e32 v3, v3
	s_delay_alu instid0(VALU_DEP_1) | instskip(SKIP_1) | instid1(VALU_DEP_2)
	v_fma_f32 v3, 0xcf800000, v3, |v2|
	v_ashrrev_i32_e32 v2, 31, v2
	v_cvt_u32_f32_e32 v3, v3
	s_delay_alu instid0(VALU_DEP_1) | instskip(NEXT) | instid1(VALU_DEP_1)
	v_xor_b32_e32 v3, v3, v2
	v_sub_nc_u32_e32 v2, v3, v2
.LBB166_290:
	s_or_b32 exec_lo, exec_lo, s0
.LBB166_291:
	s_mov_b32 s0, -1
.LBB166_292:
	s_mov_b32 s16, 0
.LBB166_293:
	s_delay_alu instid0(SALU_CYCLE_1)
	s_and_b32 vcc_lo, exec_lo, s16
	s_cbranch_vccz .LBB166_326
; %bb.294:
	v_cmp_lt_i16_e32 vcc_lo, 22, v5
	s_cbranch_vccz .LBB166_302
; %bb.295:
	v_cmp_gt_i16_e32 vcc_lo, 24, v5
	s_cbranch_vccnz .LBB166_305
; %bb.296:
	v_cmp_lt_i16_e32 vcc_lo, 24, v5
	s_cbranch_vccz .LBB166_306
; %bb.297:
	global_load_u8 v3, v[0:1], off
	s_mov_b32 s16, 0
	s_mov_b32 s0, exec_lo
                                        ; implicit-def: $sgpr22
	s_waitcnt vmcnt(0)
	v_cmpx_lt_i16_e32 0x7f, v3
	s_xor_b32 s0, exec_lo, s0
	s_cbranch_execz .LBB166_318
; %bb.298:
	v_cmp_ne_u16_e32 vcc_lo, 0x80, v3
	s_mov_b32 s22, 0
	s_and_b32 s16, vcc_lo, exec_lo
	s_or_saveexec_b32 s0, s0
	v_mov_b32_e32 v2, s22
	s_xor_b32 exec_lo, exec_lo, s0
	s_cbranch_execnz .LBB166_319
.LBB166_299:
	s_or_b32 exec_lo, exec_lo, s0
	s_and_saveexec_b32 s0, s16
	s_cbranch_execz .LBB166_301
.LBB166_300:
	v_and_b32_e32 v2, 0xffff, v3
	s_delay_alu instid0(VALU_DEP_1) | instskip(NEXT) | instid1(VALU_DEP_1)
	v_and_b32_e32 v6, 3, v2
	v_clz_i32_u32_e32 v8, v6
	s_delay_alu instid0(VALU_DEP_1) | instskip(NEXT) | instid1(VALU_DEP_1)
	v_min_u32_e32 v8, 32, v8
	v_subrev_nc_u32_e32 v9, 29, v8
	v_sub_nc_u32_e32 v8, 30, v8
	s_delay_alu instid0(VALU_DEP_2) | instskip(SKIP_1) | instid1(VALU_DEP_1)
	v_lshlrev_b32_e32 v9, v9, v2
	v_bfe_u32 v2, v2, 2, 5
	v_cmp_eq_u32_e32 vcc_lo, 0, v2
	s_delay_alu instid0(VALU_DEP_3) | instskip(SKIP_1) | instid1(VALU_DEP_2)
	v_dual_cndmask_b32 v2, v2, v8 :: v_dual_and_b32 v9, 3, v9
	v_lshlrev_b32_e32 v3, 24, v3
	v_lshl_add_u32 v2, v2, 23, 0x37800000
	s_delay_alu instid0(VALU_DEP_2) | instskip(NEXT) | instid1(VALU_DEP_1)
	v_dual_cndmask_b32 v6, v6, v9 :: v_dual_and_b32 v3, 0x80000000, v3
	v_lshlrev_b32_e32 v6, 21, v6
	s_delay_alu instid0(VALU_DEP_1) | instskip(NEXT) | instid1(VALU_DEP_1)
	v_or3_b32 v2, v3, v2, v6
	v_trunc_f32_e32 v2, v2
	s_delay_alu instid0(VALU_DEP_1) | instskip(NEXT) | instid1(VALU_DEP_1)
	v_mul_f32_e64 v3, 0x2f800000, |v2|
	v_floor_f32_e32 v3, v3
	s_delay_alu instid0(VALU_DEP_1) | instskip(SKIP_1) | instid1(VALU_DEP_2)
	v_fma_f32 v3, 0xcf800000, v3, |v2|
	v_ashrrev_i32_e32 v2, 31, v2
	v_cvt_u32_f32_e32 v3, v3
	s_delay_alu instid0(VALU_DEP_1) | instskip(NEXT) | instid1(VALU_DEP_1)
	v_xor_b32_e32 v3, v3, v2
	v_sub_nc_u32_e32 v2, v3, v2
.LBB166_301:
	s_or_b32 exec_lo, exec_lo, s0
	s_mov_b32 s0, 0
	s_branch .LBB166_307
.LBB166_302:
	s_mov_b32 s16, -1
                                        ; implicit-def: $vgpr2
	s_branch .LBB166_313
.LBB166_303:
	s_or_saveexec_b32 s0, s0
	v_mov_b32_e32 v2, s22
	s_xor_b32 exec_lo, exec_lo, s0
	s_cbranch_execz .LBB166_288
.LBB166_304:
	v_cmp_ne_u16_e32 vcc_lo, 0, v3
	v_mov_b32_e32 v2, 0
	s_and_not1_b32 s16, s16, exec_lo
	s_and_b32 s22, vcc_lo, exec_lo
	s_delay_alu instid0(SALU_CYCLE_1)
	s_or_b32 s16, s16, s22
	s_or_b32 exec_lo, exec_lo, s0
	s_and_saveexec_b32 s0, s16
	s_cbranch_execnz .LBB166_289
	s_branch .LBB166_290
.LBB166_305:
	s_mov_b32 s0, -1
                                        ; implicit-def: $vgpr2
	s_branch .LBB166_310
.LBB166_306:
	s_mov_b32 s0, -1
                                        ; implicit-def: $vgpr2
.LBB166_307:
	s_delay_alu instid0(SALU_CYCLE_1)
	s_and_b32 vcc_lo, exec_lo, s0
	s_cbranch_vccz .LBB166_309
; %bb.308:
	global_load_u8 v2, v[0:1], off
	s_waitcnt vmcnt(0)
	v_lshlrev_b32_e32 v2, 24, v2
	s_delay_alu instid0(VALU_DEP_1) | instskip(NEXT) | instid1(VALU_DEP_1)
	v_and_b32_e32 v3, 0x7f000000, v2
	v_clz_i32_u32_e32 v6, v3
	v_cmp_ne_u32_e32 vcc_lo, 0, v3
	v_add_nc_u32_e32 v9, 0x1000000, v3
	s_delay_alu instid0(VALU_DEP_3) | instskip(NEXT) | instid1(VALU_DEP_1)
	v_min_u32_e32 v6, 32, v6
	v_sub_nc_u32_e64 v6, v6, 4 clamp
	s_delay_alu instid0(VALU_DEP_1) | instskip(SKIP_1) | instid1(VALU_DEP_2)
	v_lshlrev_b32_e32 v8, v6, v3
	v_lshlrev_b32_e32 v6, 23, v6
	v_lshrrev_b32_e32 v8, 4, v8
	s_delay_alu instid0(VALU_DEP_1) | instskip(SKIP_1) | instid1(VALU_DEP_2)
	v_sub_nc_u32_e32 v6, v8, v6
	v_ashrrev_i32_e32 v8, 8, v9
	v_add_nc_u32_e32 v6, 0x3c000000, v6
	s_delay_alu instid0(VALU_DEP_1) | instskip(NEXT) | instid1(VALU_DEP_1)
	v_and_or_b32 v6, 0x7f800000, v8, v6
	v_cndmask_b32_e32 v3, 0, v6, vcc_lo
	s_delay_alu instid0(VALU_DEP_1) | instskip(NEXT) | instid1(VALU_DEP_1)
	v_and_or_b32 v2, 0x80000000, v2, v3
	v_trunc_f32_e32 v2, v2
	s_delay_alu instid0(VALU_DEP_1) | instskip(NEXT) | instid1(VALU_DEP_1)
	v_mul_f32_e64 v3, 0x2f800000, |v2|
	v_floor_f32_e32 v3, v3
	s_delay_alu instid0(VALU_DEP_1) | instskip(SKIP_1) | instid1(VALU_DEP_2)
	v_fma_f32 v3, 0xcf800000, v3, |v2|
	v_ashrrev_i32_e32 v2, 31, v2
	v_cvt_u32_f32_e32 v3, v3
	s_delay_alu instid0(VALU_DEP_1) | instskip(NEXT) | instid1(VALU_DEP_1)
	v_xor_b32_e32 v3, v3, v2
	v_sub_nc_u32_e32 v2, v3, v2
.LBB166_309:
	s_mov_b32 s0, 0
.LBB166_310:
	s_delay_alu instid0(SALU_CYCLE_1)
	s_and_not1_b32 vcc_lo, exec_lo, s0
	s_cbranch_vccnz .LBB166_312
; %bb.311:
	global_load_u8 v2, v[0:1], off
	s_waitcnt vmcnt(0)
	v_lshlrev_b32_e32 v3, 25, v2
	v_lshlrev_b16 v2, 8, v2
	s_delay_alu instid0(VALU_DEP_1) | instskip(SKIP_1) | instid1(VALU_DEP_2)
	v_and_or_b32 v8, 0x7f00, v2, 0.5
	v_bfe_i32 v2, v2, 0, 16
	v_add_f32_e32 v8, -0.5, v8
	v_lshrrev_b32_e32 v6, 4, v3
	v_cmp_gt_u32_e32 vcc_lo, 0x8000000, v3
	s_delay_alu instid0(VALU_DEP_2) | instskip(NEXT) | instid1(VALU_DEP_1)
	v_or_b32_e32 v6, 0x70000000, v6
	v_mul_f32_e32 v6, 0x7800000, v6
	s_delay_alu instid0(VALU_DEP_1) | instskip(NEXT) | instid1(VALU_DEP_1)
	v_cndmask_b32_e32 v3, v6, v8, vcc_lo
	v_and_or_b32 v2, 0x80000000, v2, v3
	s_delay_alu instid0(VALU_DEP_1) | instskip(NEXT) | instid1(VALU_DEP_1)
	v_trunc_f32_e32 v2, v2
	v_mul_f32_e64 v3, 0x2f800000, |v2|
	s_delay_alu instid0(VALU_DEP_1) | instskip(NEXT) | instid1(VALU_DEP_1)
	v_floor_f32_e32 v3, v3
	v_fma_f32 v3, 0xcf800000, v3, |v2|
	v_ashrrev_i32_e32 v2, 31, v2
	s_delay_alu instid0(VALU_DEP_2) | instskip(NEXT) | instid1(VALU_DEP_1)
	v_cvt_u32_f32_e32 v3, v3
	v_xor_b32_e32 v3, v3, v2
	s_delay_alu instid0(VALU_DEP_1)
	v_sub_nc_u32_e32 v2, v3, v2
.LBB166_312:
	s_mov_b32 s16, 0
	s_mov_b32 s0, -1
.LBB166_313:
	s_and_not1_b32 vcc_lo, exec_lo, s16
	s_cbranch_vccnz .LBB166_326
; %bb.314:
	v_cmp_lt_i16_e32 vcc_lo, 14, v5
	s_cbranch_vccz .LBB166_317
; %bb.315:
	v_cmp_eq_u16_e32 vcc_lo, 15, v5
	s_cbranch_vccz .LBB166_320
; %bb.316:
	global_load_u16 v2, v[0:1], off
	s_mov_b32 s0, -1
	s_mov_b32 s18, 0
	s_waitcnt vmcnt(0)
	v_lshlrev_b32_e32 v2, 16, v2
	s_delay_alu instid0(VALU_DEP_1) | instskip(NEXT) | instid1(VALU_DEP_1)
	v_trunc_f32_e32 v2, v2
	v_mul_f32_e64 v3, 0x2f800000, |v2|
	s_delay_alu instid0(VALU_DEP_1) | instskip(NEXT) | instid1(VALU_DEP_1)
	v_floor_f32_e32 v3, v3
	v_fma_f32 v3, 0xcf800000, v3, |v2|
	v_ashrrev_i32_e32 v2, 31, v2
	s_delay_alu instid0(VALU_DEP_2) | instskip(NEXT) | instid1(VALU_DEP_1)
	v_cvt_u32_f32_e32 v3, v3
	v_xor_b32_e32 v3, v3, v2
	s_delay_alu instid0(VALU_DEP_1)
	v_sub_nc_u32_e32 v2, v3, v2
	s_branch .LBB166_321
.LBB166_317:
	s_mov_b32 s16, -1
                                        ; implicit-def: $vgpr2
	s_branch .LBB166_322
.LBB166_318:
	s_or_saveexec_b32 s0, s0
	v_mov_b32_e32 v2, s22
	s_xor_b32 exec_lo, exec_lo, s0
	s_cbranch_execz .LBB166_299
.LBB166_319:
	v_cmp_ne_u16_e32 vcc_lo, 0, v3
	v_mov_b32_e32 v2, 0
	s_and_not1_b32 s16, s16, exec_lo
	s_and_b32 s22, vcc_lo, exec_lo
	s_delay_alu instid0(SALU_CYCLE_1)
	s_or_b32 s16, s16, s22
	s_or_b32 exec_lo, exec_lo, s0
	s_and_saveexec_b32 s0, s16
	s_cbranch_execnz .LBB166_300
	s_branch .LBB166_301
.LBB166_320:
	s_mov_b32 s18, -1
                                        ; implicit-def: $vgpr2
.LBB166_321:
	s_mov_b32 s16, 0
.LBB166_322:
	s_delay_alu instid0(SALU_CYCLE_1)
	s_and_b32 vcc_lo, exec_lo, s16
	s_cbranch_vccz .LBB166_326
; %bb.323:
	v_cmp_eq_u16_e32 vcc_lo, 11, v5
	s_cbranch_vccz .LBB166_325
; %bb.324:
	global_load_u8 v2, v[0:1], off
	s_mov_b32 s18, 0
	s_mov_b32 s0, -1
	s_waitcnt vmcnt(0)
	v_cmp_ne_u16_e32 vcc_lo, 0, v2
	v_cndmask_b32_e64 v2, 0, 1, vcc_lo
	s_branch .LBB166_326
.LBB166_325:
	s_mov_b32 s18, -1
                                        ; implicit-def: $vgpr2
.LBB166_326:
	s_branch .LBB166_20
.LBB166_327:
	v_cmp_gt_i16_e32 vcc_lo, 5, v5
	s_cbranch_vccnz .LBB166_332
; %bb.328:
	v_cmp_gt_i16_e32 vcc_lo, 8, v5
	s_cbranch_vccnz .LBB166_333
; %bb.329:
	;; [unrolled: 3-line block ×3, first 2 shown]
	v_cmp_lt_i16_e32 vcc_lo, 9, v5
	s_cbranch_vccz .LBB166_335
; %bb.331:
	global_load_b64 v[2:3], v[0:1], off
	s_mov_b32 s0, 0
	s_waitcnt vmcnt(0)
	v_trunc_f64_e32 v[2:3], v[2:3]
	s_delay_alu instid0(VALU_DEP_1) | instskip(NEXT) | instid1(VALU_DEP_1)
	v_ldexp_f64 v[8:9], v[2:3], 0xffffffe0
	v_floor_f64_e32 v[8:9], v[8:9]
	s_delay_alu instid0(VALU_DEP_1) | instskip(NEXT) | instid1(VALU_DEP_1)
	v_fma_f64 v[2:3], 0xc1f00000, v[8:9], v[2:3]
	v_cvt_u32_f64_e32 v2, v[2:3]
	s_branch .LBB166_336
.LBB166_332:
	s_mov_b32 s0, -1
                                        ; implicit-def: $vgpr2
	s_branch .LBB166_354
.LBB166_333:
	s_mov_b32 s0, -1
                                        ; implicit-def: $vgpr2
	s_branch .LBB166_342
.LBB166_334:
	s_mov_b32 s0, -1
                                        ; implicit-def: $vgpr2
	s_branch .LBB166_339
.LBB166_335:
	s_mov_b32 s0, -1
                                        ; implicit-def: $vgpr2
.LBB166_336:
	s_delay_alu instid0(SALU_CYCLE_1)
	s_and_not1_b32 vcc_lo, exec_lo, s0
	s_cbranch_vccnz .LBB166_338
; %bb.337:
	global_load_b32 v2, v[0:1], off
	s_waitcnt vmcnt(0)
	v_trunc_f32_e32 v2, v2
	s_delay_alu instid0(VALU_DEP_1) | instskip(NEXT) | instid1(VALU_DEP_1)
	v_mul_f32_e64 v3, 0x2f800000, |v2|
	v_floor_f32_e32 v3, v3
	s_delay_alu instid0(VALU_DEP_1) | instskip(SKIP_1) | instid1(VALU_DEP_2)
	v_fma_f32 v3, 0xcf800000, v3, |v2|
	v_ashrrev_i32_e32 v2, 31, v2
	v_cvt_u32_f32_e32 v3, v3
	s_delay_alu instid0(VALU_DEP_1) | instskip(NEXT) | instid1(VALU_DEP_1)
	v_xor_b32_e32 v3, v3, v2
	v_sub_nc_u32_e32 v2, v3, v2
.LBB166_338:
	s_mov_b32 s0, 0
.LBB166_339:
	s_delay_alu instid0(SALU_CYCLE_1)
	s_and_not1_b32 vcc_lo, exec_lo, s0
	s_cbranch_vccnz .LBB166_341
; %bb.340:
	global_load_b32 v2, v[0:1], off
	s_waitcnt vmcnt(0)
	v_cvt_f32_f16_e32 v2, v2
	s_delay_alu instid0(VALU_DEP_1)
	v_cvt_i32_f32_e32 v2, v2
.LBB166_341:
	s_mov_b32 s0, 0
.LBB166_342:
	s_delay_alu instid0(SALU_CYCLE_1)
	s_and_not1_b32 vcc_lo, exec_lo, s0
	s_cbranch_vccnz .LBB166_353
; %bb.343:
	v_cmp_gt_i16_e32 vcc_lo, 6, v5
	s_cbranch_vccnz .LBB166_346
; %bb.344:
	v_cmp_lt_i16_e32 vcc_lo, 6, v5
	s_cbranch_vccz .LBB166_347
; %bb.345:
	global_load_b64 v[2:3], v[0:1], off
	s_mov_b32 s0, 0
	s_waitcnt vmcnt(0)
	v_trunc_f64_e32 v[2:3], v[2:3]
	s_delay_alu instid0(VALU_DEP_1) | instskip(NEXT) | instid1(VALU_DEP_1)
	v_ldexp_f64 v[8:9], v[2:3], 0xffffffe0
	v_floor_f64_e32 v[8:9], v[8:9]
	s_delay_alu instid0(VALU_DEP_1) | instskip(NEXT) | instid1(VALU_DEP_1)
	v_fma_f64 v[2:3], 0xc1f00000, v[8:9], v[2:3]
	v_cvt_u32_f64_e32 v2, v[2:3]
	s_branch .LBB166_348
.LBB166_346:
	s_mov_b32 s0, -1
                                        ; implicit-def: $vgpr2
	s_branch .LBB166_351
.LBB166_347:
	s_mov_b32 s0, -1
                                        ; implicit-def: $vgpr2
.LBB166_348:
	s_delay_alu instid0(SALU_CYCLE_1)
	s_and_not1_b32 vcc_lo, exec_lo, s0
	s_cbranch_vccnz .LBB166_350
; %bb.349:
	global_load_b32 v2, v[0:1], off
	s_waitcnt vmcnt(0)
	v_trunc_f32_e32 v2, v2
	s_delay_alu instid0(VALU_DEP_1) | instskip(NEXT) | instid1(VALU_DEP_1)
	v_mul_f32_e64 v3, 0x2f800000, |v2|
	v_floor_f32_e32 v3, v3
	s_delay_alu instid0(VALU_DEP_1) | instskip(SKIP_1) | instid1(VALU_DEP_2)
	v_fma_f32 v3, 0xcf800000, v3, |v2|
	v_ashrrev_i32_e32 v2, 31, v2
	v_cvt_u32_f32_e32 v3, v3
	s_delay_alu instid0(VALU_DEP_1) | instskip(NEXT) | instid1(VALU_DEP_1)
	v_xor_b32_e32 v3, v3, v2
	v_sub_nc_u32_e32 v2, v3, v2
.LBB166_350:
	s_mov_b32 s0, 0
.LBB166_351:
	s_delay_alu instid0(SALU_CYCLE_1)
	s_and_not1_b32 vcc_lo, exec_lo, s0
	s_cbranch_vccnz .LBB166_353
; %bb.352:
	global_load_u16 v2, v[0:1], off
	s_waitcnt vmcnt(0)
	v_cvt_f32_f16_e32 v2, v2
	s_delay_alu instid0(VALU_DEP_1)
	v_cvt_i32_f32_e32 v2, v2
.LBB166_353:
	s_mov_b32 s0, 0
.LBB166_354:
	s_delay_alu instid0(SALU_CYCLE_1)
	s_and_not1_b32 vcc_lo, exec_lo, s0
	s_cbranch_vccnz .LBB166_374
; %bb.355:
	v_cmp_gt_i16_e32 vcc_lo, 2, v5
	s_cbranch_vccnz .LBB166_359
; %bb.356:
	v_cmp_gt_i16_e32 vcc_lo, 3, v5
	s_cbranch_vccnz .LBB166_360
; %bb.357:
	v_cmp_lt_i16_e32 vcc_lo, 3, v5
	s_cbranch_vccz .LBB166_361
; %bb.358:
	global_load_b64 v[2:3], v[0:1], off
	s_mov_b32 s0, 0
	s_branch .LBB166_362
.LBB166_359:
	s_mov_b32 s0, -1
                                        ; implicit-def: $vgpr2
	s_branch .LBB166_368
.LBB166_360:
	s_mov_b32 s0, -1
                                        ; implicit-def: $vgpr2
	s_branch .LBB166_365
.LBB166_361:
	s_mov_b32 s0, -1
                                        ; implicit-def: $vgpr2
.LBB166_362:
	s_delay_alu instid0(SALU_CYCLE_1)
	s_and_not1_b32 vcc_lo, exec_lo, s0
	s_cbranch_vccnz .LBB166_364
; %bb.363:
	global_load_b32 v2, v[0:1], off
.LBB166_364:
	s_mov_b32 s0, 0
.LBB166_365:
	s_delay_alu instid0(SALU_CYCLE_1)
	s_and_not1_b32 vcc_lo, exec_lo, s0
	s_cbranch_vccnz .LBB166_367
; %bb.366:
	global_load_u16 v2, v[0:1], off
.LBB166_367:
	s_mov_b32 s0, 0
.LBB166_368:
	s_delay_alu instid0(SALU_CYCLE_1)
	s_and_not1_b32 vcc_lo, exec_lo, s0
	s_cbranch_vccnz .LBB166_374
; %bb.369:
	v_cmp_lt_i16_e32 vcc_lo, 0, v5
	s_mov_b32 s0, 0
	s_cbranch_vccz .LBB166_371
; %bb.370:
	global_load_u8 v2, v[0:1], off
	s_branch .LBB166_372
.LBB166_371:
	s_mov_b32 s0, -1
                                        ; implicit-def: $vgpr2
.LBB166_372:
	s_delay_alu instid0(SALU_CYCLE_1)
	s_and_not1_b32 vcc_lo, exec_lo, s0
	s_cbranch_vccnz .LBB166_374
; %bb.373:
	global_load_u8 v2, v[0:1], off
.LBB166_374:
	s_branch .LBB166_21
.LBB166_375:
	s_mov_b32 s0, 0
.LBB166_376:
	s_mov_b32 s22, 0
                                        ; implicit-def: $vgpr7
.LBB166_377:
	s_and_b32 s16, s0, exec_lo
	s_and_b32 s18, s18, exec_lo
	;; [unrolled: 1-line block ×3, first 2 shown]
	s_or_not1_b32 s23, s22, exec_lo
.LBB166_378:
	s_or_b32 exec_lo, exec_lo, s20
	s_mov_b32 s22, 0
	s_mov_b32 s0, 0
                                        ; implicit-def: $vgpr2
                                        ; implicit-def: $vgpr0_vgpr1
                                        ; implicit-def: $vgpr4
	s_and_saveexec_b32 s20, s23
	s_cbranch_execz .LBB166_1236
; %bb.379:
	s_mov_b32 s26, -1
	s_mov_b32 s21, s19
	s_mov_b32 s23, s18
	;; [unrolled: 1-line block ×3, first 2 shown]
	s_mov_b32 s24, exec_lo
	v_cmpx_gt_i32_e64 s17, v7
	s_cbranch_execz .LBB166_764
; %bb.380:
	v_mul_lo_u32 v0, v7, s9
	s_waitcnt vmcnt(0)
	v_and_b32_e64 v2, 0xff, s14
	s_delay_alu instid0(VALU_DEP_1) | instskip(NEXT) | instid1(VALU_DEP_3)
	v_cmp_gt_i16_e32 vcc_lo, 11, v2
	v_ashrrev_i32_e32 v1, 31, v0
	v_add_co_u32 v0, s0, s6, v0
	s_delay_alu instid0(VALU_DEP_1)
	v_add_co_ci_u32_e64 v1, s0, s7, v1, s0
	s_cbranch_vccnz .LBB166_387
; %bb.381:
	v_cmp_lt_i16_e32 vcc_lo, 25, v2
	s_cbranch_vccz .LBB166_396
; %bb.382:
	v_cmp_lt_i16_e32 vcc_lo, 28, v2
	s_cbranch_vccz .LBB166_398
	;; [unrolled: 3-line block ×4, first 2 shown]
; %bb.385:
	v_cmp_eq_u16_e32 vcc_lo, 46, v2
	s_mov_b32 s22, 0
	s_cbranch_vccz .LBB166_406
; %bb.386:
	global_load_b32 v3, v[0:1], off
	s_mov_b32 s0, -1
	s_mov_b32 s21, 0
	s_waitcnt vmcnt(0)
	v_lshlrev_b32_e32 v3, 16, v3
	s_delay_alu instid0(VALU_DEP_1)
	v_cvt_f16_f32_e32 v4, v3
	s_branch .LBB166_408
.LBB166_387:
	s_mov_b32 s0, 0
	s_mov_b32 s21, s19
                                        ; implicit-def: $vgpr4
	s_cbranch_execnz .LBB166_474
.LBB166_388:
	s_and_not1_b32 vcc_lo, exec_lo, s0
	s_cbranch_vccnz .LBB166_522
.LBB166_389:
	v_mul_lo_u32 v0, v7, s10
	v_and_b32_e64 v5, 0xff, s1
	s_delay_alu instid0(VALU_DEP_1) | instskip(NEXT) | instid1(VALU_DEP_3)
	v_cmp_gt_i16_e32 vcc_lo, 11, v5
	v_ashrrev_i32_e32 v1, 31, v0
	v_add_co_u32 v0, s0, s2, v0
	s_delay_alu instid0(VALU_DEP_1)
	v_add_co_ci_u32_e64 v1, s0, s3, v1, s0
	s_cbranch_vccnz .LBB166_397
; %bb.390:
	v_cmp_lt_i16_e32 vcc_lo, 25, v5
	s_cbranch_vccz .LBB166_399
; %bb.391:
	v_cmp_lt_i16_e32 vcc_lo, 28, v5
	s_cbranch_vccz .LBB166_401
	;; [unrolled: 3-line block ×4, first 2 shown]
; %bb.394:
	v_cmp_eq_u16_e32 vcc_lo, 46, v5
	s_mov_b32 s22, 0
	s_cbranch_vccz .LBB166_525
; %bb.395:
	global_load_b32 v2, v[0:1], off
	s_mov_b32 s0, -1
	s_mov_b32 s23, 0
	s_waitcnt vmcnt(0)
	v_lshlrev_b32_e32 v2, 16, v2
	s_delay_alu instid0(VALU_DEP_1) | instskip(NEXT) | instid1(VALU_DEP_1)
	v_trunc_f32_e32 v2, v2
	v_mul_f32_e64 v3, 0x2f800000, |v2|
	s_delay_alu instid0(VALU_DEP_1) | instskip(NEXT) | instid1(VALU_DEP_1)
	v_floor_f32_e32 v3, v3
	v_fma_f32 v3, 0xcf800000, v3, |v2|
	v_ashrrev_i32_e32 v2, 31, v2
	s_delay_alu instid0(VALU_DEP_2) | instskip(NEXT) | instid1(VALU_DEP_1)
	v_cvt_u32_f32_e32 v3, v3
	v_xor_b32_e32 v3, v3, v2
	s_delay_alu instid0(VALU_DEP_1)
	v_sub_nc_u32_e32 v2, v3, v2
	s_branch .LBB166_527
.LBB166_396:
	s_mov_b32 s22, -1
	s_mov_b32 s0, 0
	s_mov_b32 s21, s19
                                        ; implicit-def: $vgpr4
	s_branch .LBB166_438
.LBB166_397:
	s_mov_b32 s22, -1
	s_mov_b32 s0, 0
	s_mov_b32 s23, s18
                                        ; implicit-def: $vgpr2
	s_branch .LBB166_588
.LBB166_398:
	s_mov_b32 s22, -1
	s_mov_b32 s0, 0
	s_mov_b32 s21, s19
                                        ; implicit-def: $vgpr4
	s_branch .LBB166_419
.LBB166_399:
	s_mov_b32 s22, -1
	s_mov_b32 s0, 0
	s_mov_b32 s23, s18
                                        ; implicit-def: $vgpr2
	s_branch .LBB166_554
.LBB166_400:
	s_mov_b32 s22, -1
	s_mov_b32 s0, 0
	s_mov_b32 s21, s19
                                        ; implicit-def: $vgpr4
	s_branch .LBB166_414
.LBB166_401:
	s_mov_b32 s22, -1
	s_mov_b32 s0, 0
	s_mov_b32 s23, s18
                                        ; implicit-def: $vgpr2
	s_branch .LBB166_537
.LBB166_402:
	s_mov_b32 s22, -1
	s_mov_b32 s0, 0
	s_mov_b32 s21, s19
	s_branch .LBB166_407
.LBB166_403:
	s_mov_b32 s22, -1
	s_mov_b32 s0, 0
	s_mov_b32 s23, s18
                                        ; implicit-def: $vgpr2
	s_branch .LBB166_532
.LBB166_404:
	s_or_saveexec_b32 s23, s23
                                        ; implicit-def: $sgpr24
	s_delay_alu instid0(SALU_CYCLE_1)
	s_xor_b32 exec_lo, exec_lo, s23
	s_cbranch_execz .LBB166_180
.LBB166_405:
	v_add_f32_e64 v5, 0x46000000, |v4|
	s_and_not1_b32 s22, s22, exec_lo
	s_mov_b32 s24, 0
	s_delay_alu instid0(VALU_DEP_1) | instskip(NEXT) | instid1(VALU_DEP_1)
	v_and_b32_e32 v5, 0xff, v5
	v_cmp_ne_u32_e32 vcc_lo, 0, v5
	s_and_b32 s25, vcc_lo, exec_lo
	s_delay_alu instid0(SALU_CYCLE_1)
	s_or_b32 s22, s22, s25
	s_or_b32 exec_lo, exec_lo, s23
	v_mov_b32_e32 v6, s24
	s_and_saveexec_b32 s23, s22
	s_cbranch_execnz .LBB166_181
	s_branch .LBB166_182
.LBB166_406:
	s_mov_b32 s21, -1
	s_mov_b32 s0, 0
.LBB166_407:
                                        ; implicit-def: $vgpr4
.LBB166_408:
	s_and_b32 vcc_lo, exec_lo, s22
	s_cbranch_vccz .LBB166_413
; %bb.409:
	v_cmp_eq_u16_e32 vcc_lo, 44, v2
	s_cbranch_vccz .LBB166_412
; %bb.410:
	global_load_u8 v3, v[0:1], off
	s_mov_b32 s21, 0
	s_mov_b32 s0, -1
	s_waitcnt vmcnt(0)
	v_lshlrev_b32_e32 v4, 23, v3
	v_cmp_ne_u32_e32 vcc_lo, 0xff, v3
	s_delay_alu instid0(VALU_DEP_2) | instskip(NEXT) | instid1(VALU_DEP_1)
	v_cvt_f16_f32_e32 v4, v4
	v_cndmask_b32_e32 v4, 0x7e00, v4, vcc_lo
	v_cmp_ne_u32_e32 vcc_lo, 0, v3
	s_delay_alu instid0(VALU_DEP_2)
	v_cndmask_b32_e32 v4, 0, v4, vcc_lo
	s_branch .LBB166_413
.LBB166_411:
	s_mov_b32 s22, -1
	s_mov_b32 s0, 0
	s_mov_b32 s23, s18
	s_branch .LBB166_526
.LBB166_412:
	s_mov_b32 s21, -1
                                        ; implicit-def: $vgpr4
.LBB166_413:
	s_mov_b32 s22, 0
.LBB166_414:
	s_delay_alu instid0(SALU_CYCLE_1)
	s_and_b32 vcc_lo, exec_lo, s22
	s_cbranch_vccz .LBB166_418
; %bb.415:
	v_cmp_eq_u16_e32 vcc_lo, 29, v2
	s_cbranch_vccz .LBB166_417
; %bb.416:
	global_load_b64 v[3:4], v[0:1], off
	s_mov_b32 s0, -1
	s_mov_b32 s21, 0
	s_mov_b32 s22, 0
	s_waitcnt vmcnt(0)
	v_clz_i32_u32_e32 v5, v4
	s_delay_alu instid0(VALU_DEP_1) | instskip(NEXT) | instid1(VALU_DEP_1)
	v_min_u32_e32 v5, 32, v5
	v_lshlrev_b64 v[3:4], v5, v[3:4]
	s_delay_alu instid0(VALU_DEP_1) | instskip(NEXT) | instid1(VALU_DEP_1)
	v_min_u32_e32 v3, 1, v3
	v_or_b32_e32 v3, v4, v3
	v_sub_nc_u32_e32 v4, 32, v5
	s_delay_alu instid0(VALU_DEP_2) | instskip(NEXT) | instid1(VALU_DEP_1)
	v_cvt_f32_u32_e32 v3, v3
	v_ldexp_f32 v3, v3, v4
	s_delay_alu instid0(VALU_DEP_1)
	v_cvt_f16_f32_e32 v4, v3
	s_branch .LBB166_419
.LBB166_417:
	s_mov_b32 s21, -1
                                        ; implicit-def: $vgpr4
.LBB166_418:
	s_mov_b32 s22, 0
.LBB166_419:
	s_delay_alu instid0(SALU_CYCLE_1)
	s_and_b32 vcc_lo, exec_lo, s22
	s_cbranch_vccz .LBB166_437
; %bb.420:
	v_cmp_gt_i16_e32 vcc_lo, 27, v2
	s_cbranch_vccnz .LBB166_423
; %bb.421:
	v_cmp_lt_i16_e32 vcc_lo, 27, v2
	s_cbranch_vccz .LBB166_424
; %bb.422:
	global_load_b32 v3, v[0:1], off
	s_mov_b32 s0, 0
	s_waitcnt vmcnt(0)
	v_cvt_f32_u32_e32 v3, v3
	s_delay_alu instid0(VALU_DEP_1)
	v_cvt_f16_f32_e32 v4, v3
	s_branch .LBB166_425
.LBB166_423:
	s_mov_b32 s0, -1
                                        ; implicit-def: $vgpr4
	s_branch .LBB166_428
.LBB166_424:
	s_mov_b32 s0, -1
                                        ; implicit-def: $vgpr4
.LBB166_425:
	s_delay_alu instid0(SALU_CYCLE_1)
	s_and_not1_b32 vcc_lo, exec_lo, s0
	s_cbranch_vccnz .LBB166_427
; %bb.426:
	global_load_u16 v3, v[0:1], off
	s_waitcnt vmcnt(0)
	v_cvt_f16_u16_e32 v4, v3
.LBB166_427:
	s_mov_b32 s0, 0
.LBB166_428:
	s_delay_alu instid0(SALU_CYCLE_1)
	s_and_not1_b32 vcc_lo, exec_lo, s0
	s_cbranch_vccnz .LBB166_436
; %bb.429:
	global_load_u8 v3, v[0:1], off
	s_mov_b32 s0, 0
	s_mov_b32 s23, exec_lo
                                        ; implicit-def: $sgpr22
	s_waitcnt vmcnt(0)
	v_cmpx_lt_i16_e32 0x7f, v3
	s_xor_b32 s23, exec_lo, s23
	s_cbranch_execz .LBB166_450
; %bb.430:
	s_mov_b32 s0, -1
	s_mov_b32 s25, exec_lo
                                        ; implicit-def: $sgpr22
	v_cmpx_eq_u16_e32 0x80, v3
; %bb.431:
	s_movk_i32 s22, 0x7e00
	s_xor_b32 s0, exec_lo, -1
; %bb.432:
	s_or_b32 exec_lo, exec_lo, s25
	s_delay_alu instid0(SALU_CYCLE_1)
	s_and_b32 s0, s0, exec_lo
	s_or_saveexec_b32 s23, s23
	v_mov_b32_e32 v4, s22
	s_xor_b32 exec_lo, exec_lo, s23
	s_cbranch_execnz .LBB166_451
.LBB166_433:
	s_or_b32 exec_lo, exec_lo, s23
	s_and_saveexec_b32 s22, s0
	s_cbranch_execz .LBB166_435
.LBB166_434:
	v_and_b32_e32 v4, 0xffff, v3
	v_lshlrev_b32_e32 v3, 24, v3
	s_delay_alu instid0(VALU_DEP_2) | instskip(NEXT) | instid1(VALU_DEP_2)
	v_and_b32_e32 v5, 7, v4
	v_and_b32_e32 v3, 0x80000000, v3
	s_delay_alu instid0(VALU_DEP_2) | instskip(NEXT) | instid1(VALU_DEP_1)
	v_clz_i32_u32_e32 v6, v5
	v_min_u32_e32 v6, 32, v6
	s_delay_alu instid0(VALU_DEP_1) | instskip(SKIP_1) | instid1(VALU_DEP_2)
	v_subrev_nc_u32_e32 v8, 28, v6
	v_sub_nc_u32_e32 v6, 29, v6
	v_lshlrev_b32_e32 v8, v8, v4
	v_bfe_u32 v4, v4, 3, 4
	s_delay_alu instid0(VALU_DEP_2) | instskip(NEXT) | instid1(VALU_DEP_2)
	v_and_b32_e32 v8, 7, v8
	v_cmp_eq_u32_e32 vcc_lo, 0, v4
	s_delay_alu instid0(VALU_DEP_2) | instskip(NEXT) | instid1(VALU_DEP_1)
	v_dual_cndmask_b32 v4, v4, v6 :: v_dual_cndmask_b32 v5, v5, v8
	v_lshl_add_u32 v4, v4, 23, 0x3b800000
	s_delay_alu instid0(VALU_DEP_2) | instskip(NEXT) | instid1(VALU_DEP_1)
	v_lshlrev_b32_e32 v5, 20, v5
	v_or3_b32 v3, v3, v4, v5
	s_delay_alu instid0(VALU_DEP_1)
	v_cvt_f16_f32_e32 v4, v3
.LBB166_435:
	s_or_b32 exec_lo, exec_lo, s22
.LBB166_436:
	s_mov_b32 s0, -1
.LBB166_437:
	s_mov_b32 s22, 0
.LBB166_438:
	s_delay_alu instid0(SALU_CYCLE_1)
	s_and_b32 vcc_lo, exec_lo, s22
	s_cbranch_vccz .LBB166_473
; %bb.439:
	v_cmp_lt_i16_e32 vcc_lo, 22, v2
	s_cbranch_vccz .LBB166_449
; %bb.440:
	v_cmp_gt_i16_e32 vcc_lo, 24, v2
	s_cbranch_vccnz .LBB166_452
; %bb.441:
	v_cmp_lt_i16_e32 vcc_lo, 24, v2
	s_cbranch_vccz .LBB166_453
; %bb.442:
	global_load_u8 v3, v[0:1], off
	s_mov_b32 s0, 0
	s_mov_b32 s23, exec_lo
                                        ; implicit-def: $sgpr22
	s_waitcnt vmcnt(0)
	v_cmpx_lt_i16_e32 0x7f, v3
	s_xor_b32 s23, exec_lo, s23
	s_cbranch_execz .LBB166_465
; %bb.443:
	s_mov_b32 s0, -1
	s_mov_b32 s25, exec_lo
                                        ; implicit-def: $sgpr22
	v_cmpx_eq_u16_e32 0x80, v3
; %bb.444:
	s_movk_i32 s22, 0x7e00
	s_xor_b32 s0, exec_lo, -1
; %bb.445:
	s_or_b32 exec_lo, exec_lo, s25
	s_delay_alu instid0(SALU_CYCLE_1)
	s_and_b32 s0, s0, exec_lo
	s_or_saveexec_b32 s23, s23
	v_mov_b32_e32 v4, s22
	s_xor_b32 exec_lo, exec_lo, s23
	s_cbranch_execnz .LBB166_466
.LBB166_446:
	s_or_b32 exec_lo, exec_lo, s23
	s_and_saveexec_b32 s22, s0
	s_cbranch_execz .LBB166_448
.LBB166_447:
	v_and_b32_e32 v4, 0xffff, v3
	v_lshlrev_b32_e32 v3, 24, v3
	s_delay_alu instid0(VALU_DEP_2) | instskip(NEXT) | instid1(VALU_DEP_2)
	v_and_b32_e32 v5, 3, v4
	v_and_b32_e32 v3, 0x80000000, v3
	s_delay_alu instid0(VALU_DEP_2) | instskip(NEXT) | instid1(VALU_DEP_1)
	v_clz_i32_u32_e32 v6, v5
	v_min_u32_e32 v6, 32, v6
	s_delay_alu instid0(VALU_DEP_1) | instskip(SKIP_1) | instid1(VALU_DEP_2)
	v_subrev_nc_u32_e32 v8, 29, v6
	v_sub_nc_u32_e32 v6, 30, v6
	v_lshlrev_b32_e32 v8, v8, v4
	v_bfe_u32 v4, v4, 2, 5
	s_delay_alu instid0(VALU_DEP_2) | instskip(NEXT) | instid1(VALU_DEP_2)
	v_and_b32_e32 v8, 3, v8
	v_cmp_eq_u32_e32 vcc_lo, 0, v4
	s_delay_alu instid0(VALU_DEP_2) | instskip(NEXT) | instid1(VALU_DEP_1)
	v_dual_cndmask_b32 v4, v4, v6 :: v_dual_cndmask_b32 v5, v5, v8
	v_lshl_add_u32 v4, v4, 23, 0x37800000
	s_delay_alu instid0(VALU_DEP_2) | instskip(NEXT) | instid1(VALU_DEP_1)
	v_lshlrev_b32_e32 v5, 21, v5
	v_or3_b32 v3, v3, v4, v5
	s_delay_alu instid0(VALU_DEP_1)
	v_cvt_f16_f32_e32 v4, v3
.LBB166_448:
	s_or_b32 exec_lo, exec_lo, s22
	s_mov_b32 s0, 0
	s_branch .LBB166_454
.LBB166_449:
	s_mov_b32 s22, -1
                                        ; implicit-def: $vgpr4
	s_branch .LBB166_460
.LBB166_450:
	s_or_saveexec_b32 s23, s23
	v_mov_b32_e32 v4, s22
	s_xor_b32 exec_lo, exec_lo, s23
	s_cbranch_execz .LBB166_433
.LBB166_451:
	v_cmp_ne_u16_e32 vcc_lo, 0, v3
	v_mov_b32_e32 v4, v3
	s_and_not1_b32 s0, s0, exec_lo
	s_and_b32 s22, vcc_lo, exec_lo
	s_delay_alu instid0(SALU_CYCLE_1)
	s_or_b32 s0, s0, s22
	s_or_b32 exec_lo, exec_lo, s23
	s_and_saveexec_b32 s22, s0
	s_cbranch_execnz .LBB166_434
	s_branch .LBB166_435
.LBB166_452:
	s_mov_b32 s0, -1
                                        ; implicit-def: $vgpr4
	s_branch .LBB166_457
.LBB166_453:
	s_mov_b32 s0, -1
                                        ; implicit-def: $vgpr4
.LBB166_454:
	s_delay_alu instid0(SALU_CYCLE_1)
	s_and_b32 vcc_lo, exec_lo, s0
	s_cbranch_vccz .LBB166_456
; %bb.455:
	global_load_u8 v3, v[0:1], off
	s_waitcnt vmcnt(0)
	v_lshlrev_b32_e32 v3, 24, v3
	s_delay_alu instid0(VALU_DEP_1) | instskip(NEXT) | instid1(VALU_DEP_1)
	v_and_b32_e32 v4, 0x7f000000, v3
	v_clz_i32_u32_e32 v5, v4
	v_add_nc_u32_e32 v8, 0x1000000, v4
	v_cmp_ne_u32_e32 vcc_lo, 0, v4
	s_delay_alu instid0(VALU_DEP_3) | instskip(NEXT) | instid1(VALU_DEP_1)
	v_min_u32_e32 v5, 32, v5
	v_sub_nc_u32_e64 v5, v5, 4 clamp
	s_delay_alu instid0(VALU_DEP_1) | instskip(SKIP_1) | instid1(VALU_DEP_2)
	v_lshlrev_b32_e32 v6, v5, v4
	v_lshlrev_b32_e32 v5, 23, v5
	v_lshrrev_b32_e32 v6, 4, v6
	s_delay_alu instid0(VALU_DEP_1) | instskip(SKIP_1) | instid1(VALU_DEP_2)
	v_sub_nc_u32_e32 v5, v6, v5
	v_ashrrev_i32_e32 v6, 8, v8
	v_add_nc_u32_e32 v5, 0x3c000000, v5
	s_delay_alu instid0(VALU_DEP_1) | instskip(NEXT) | instid1(VALU_DEP_1)
	v_and_or_b32 v5, 0x7f800000, v6, v5
	v_cndmask_b32_e32 v4, 0, v5, vcc_lo
	s_delay_alu instid0(VALU_DEP_1) | instskip(NEXT) | instid1(VALU_DEP_1)
	v_and_or_b32 v3, 0x80000000, v3, v4
	v_cvt_f16_f32_e32 v4, v3
.LBB166_456:
	s_mov_b32 s0, 0
.LBB166_457:
	s_delay_alu instid0(SALU_CYCLE_1)
	s_and_not1_b32 vcc_lo, exec_lo, s0
	s_cbranch_vccnz .LBB166_459
; %bb.458:
	global_load_u8 v3, v[0:1], off
	s_waitcnt vmcnt(0)
	v_lshlrev_b32_e32 v4, 25, v3
	v_lshlrev_b16 v3, 8, v3
	s_delay_alu instid0(VALU_DEP_2) | instskip(NEXT) | instid1(VALU_DEP_2)
	v_lshrrev_b32_e32 v5, 4, v4
	v_and_or_b32 v6, 0x7f00, v3, 0.5
	v_bfe_i32 v3, v3, 0, 16
	s_delay_alu instid0(VALU_DEP_3) | instskip(NEXT) | instid1(VALU_DEP_1)
	v_or_b32_e32 v5, 0x70000000, v5
	v_dual_add_f32 v6, -0.5, v6 :: v_dual_mul_f32 v5, 0x7800000, v5
	v_cmp_gt_u32_e32 vcc_lo, 0x8000000, v4
	s_delay_alu instid0(VALU_DEP_2) | instskip(NEXT) | instid1(VALU_DEP_1)
	v_cndmask_b32_e32 v4, v5, v6, vcc_lo
	v_and_or_b32 v3, 0x80000000, v3, v4
	s_delay_alu instid0(VALU_DEP_1)
	v_cvt_f16_f32_e32 v4, v3
.LBB166_459:
	s_mov_b32 s22, 0
	s_mov_b32 s0, -1
.LBB166_460:
	s_and_not1_b32 vcc_lo, exec_lo, s22
	s_cbranch_vccnz .LBB166_473
; %bb.461:
	v_cmp_lt_i16_e32 vcc_lo, 14, v2
	s_cbranch_vccz .LBB166_464
; %bb.462:
	v_cmp_eq_u16_e32 vcc_lo, 15, v2
	s_cbranch_vccz .LBB166_467
; %bb.463:
	global_load_u16 v3, v[0:1], off
	s_mov_b32 s0, -1
	s_mov_b32 s21, 0
	s_waitcnt vmcnt(0)
	v_lshlrev_b32_e32 v3, 16, v3
	s_delay_alu instid0(VALU_DEP_1)
	v_cvt_f16_f32_e32 v4, v3
	s_branch .LBB166_468
.LBB166_464:
	s_mov_b32 s22, -1
                                        ; implicit-def: $vgpr4
	s_branch .LBB166_469
.LBB166_465:
	s_or_saveexec_b32 s23, s23
	v_mov_b32_e32 v4, s22
	s_xor_b32 exec_lo, exec_lo, s23
	s_cbranch_execz .LBB166_446
.LBB166_466:
	v_cmp_ne_u16_e32 vcc_lo, 0, v3
	v_mov_b32_e32 v4, v3
	s_and_not1_b32 s0, s0, exec_lo
	s_and_b32 s22, vcc_lo, exec_lo
	s_delay_alu instid0(SALU_CYCLE_1)
	s_or_b32 s0, s0, s22
	s_or_b32 exec_lo, exec_lo, s23
	s_and_saveexec_b32 s22, s0
	s_cbranch_execnz .LBB166_447
	s_branch .LBB166_448
.LBB166_467:
	s_mov_b32 s21, -1
                                        ; implicit-def: $vgpr4
.LBB166_468:
	s_mov_b32 s22, 0
.LBB166_469:
	s_delay_alu instid0(SALU_CYCLE_1)
	s_and_b32 vcc_lo, exec_lo, s22
	s_cbranch_vccz .LBB166_473
; %bb.470:
	v_cmp_eq_u16_e32 vcc_lo, 11, v2
	s_cbranch_vccz .LBB166_472
; %bb.471:
	global_load_u8 v3, v[0:1], off
	s_mov_b32 s21, 0
	s_mov_b32 s0, -1
	s_waitcnt vmcnt(0)
	v_cmp_ne_u16_e32 vcc_lo, 0, v3
	v_cndmask_b32_e64 v4, 0, 0x3c00, vcc_lo
	s_branch .LBB166_473
.LBB166_472:
	s_mov_b32 s21, -1
                                        ; implicit-def: $vgpr4
.LBB166_473:
	s_branch .LBB166_388
.LBB166_474:
	v_cmp_gt_i16_e32 vcc_lo, 5, v2
	s_cbranch_vccnz .LBB166_479
; %bb.475:
	v_cmp_gt_i16_e32 vcc_lo, 8, v2
	s_cbranch_vccnz .LBB166_480
; %bb.476:
	;; [unrolled: 3-line block ×3, first 2 shown]
	v_cmp_lt_i16_e32 vcc_lo, 9, v2
	s_cbranch_vccz .LBB166_482
; %bb.478:
	global_load_b64 v[3:4], v[0:1], off
	s_mov_b32 s0, 0
	s_waitcnt vmcnt(0)
	v_cvt_f32_f64_e32 v3, v[3:4]
	s_delay_alu instid0(VALU_DEP_1)
	v_cvt_f16_f32_e32 v4, v3
	s_branch .LBB166_483
.LBB166_479:
	s_mov_b32 s0, -1
                                        ; implicit-def: $vgpr4
	s_branch .LBB166_501
.LBB166_480:
	s_mov_b32 s0, -1
                                        ; implicit-def: $vgpr4
	s_branch .LBB166_489
.LBB166_481:
	s_mov_b32 s0, -1
                                        ; implicit-def: $vgpr4
	s_branch .LBB166_486
.LBB166_482:
	s_mov_b32 s0, -1
                                        ; implicit-def: $vgpr4
.LBB166_483:
	s_delay_alu instid0(SALU_CYCLE_1)
	s_and_not1_b32 vcc_lo, exec_lo, s0
	s_cbranch_vccnz .LBB166_485
; %bb.484:
	global_load_b32 v3, v[0:1], off
	s_waitcnt vmcnt(0)
	v_cvt_f16_f32_e32 v4, v3
.LBB166_485:
	s_mov_b32 s0, 0
.LBB166_486:
	s_delay_alu instid0(SALU_CYCLE_1)
	s_and_not1_b32 vcc_lo, exec_lo, s0
	s_cbranch_vccnz .LBB166_488
; %bb.487:
	global_load_b32 v4, v[0:1], off
.LBB166_488:
	s_mov_b32 s0, 0
.LBB166_489:
	s_delay_alu instid0(SALU_CYCLE_1)
	s_and_not1_b32 vcc_lo, exec_lo, s0
	s_cbranch_vccnz .LBB166_500
; %bb.490:
	v_cmp_gt_i16_e32 vcc_lo, 6, v2
	s_cbranch_vccnz .LBB166_493
; %bb.491:
	v_cmp_lt_i16_e32 vcc_lo, 6, v2
	s_cbranch_vccz .LBB166_494
; %bb.492:
	global_load_b64 v[3:4], v[0:1], off
	s_mov_b32 s0, 0
	s_waitcnt vmcnt(0)
	v_cvt_f32_f64_e32 v3, v[3:4]
	s_delay_alu instid0(VALU_DEP_1)
	v_cvt_f16_f32_e32 v4, v3
	s_branch .LBB166_495
.LBB166_493:
	s_mov_b32 s0, -1
                                        ; implicit-def: $vgpr4
	s_branch .LBB166_498
.LBB166_494:
	s_mov_b32 s0, -1
                                        ; implicit-def: $vgpr4
.LBB166_495:
	s_delay_alu instid0(SALU_CYCLE_1)
	s_and_not1_b32 vcc_lo, exec_lo, s0
	s_cbranch_vccnz .LBB166_497
; %bb.496:
	global_load_b32 v3, v[0:1], off
	s_waitcnt vmcnt(0)
	v_cvt_f16_f32_e32 v4, v3
.LBB166_497:
	s_mov_b32 s0, 0
.LBB166_498:
	s_delay_alu instid0(SALU_CYCLE_1)
	s_and_not1_b32 vcc_lo, exec_lo, s0
	s_cbranch_vccnz .LBB166_500
; %bb.499:
	global_load_u16 v4, v[0:1], off
.LBB166_500:
	s_mov_b32 s0, 0
.LBB166_501:
	s_delay_alu instid0(SALU_CYCLE_1)
	s_and_not1_b32 vcc_lo, exec_lo, s0
	s_cbranch_vccnz .LBB166_521
; %bb.502:
	v_cmp_gt_i16_e32 vcc_lo, 2, v2
	s_cbranch_vccnz .LBB166_506
; %bb.503:
	v_cmp_gt_i16_e32 vcc_lo, 3, v2
	s_cbranch_vccnz .LBB166_507
; %bb.504:
	v_cmp_lt_i16_e32 vcc_lo, 3, v2
	s_cbranch_vccz .LBB166_508
; %bb.505:
	global_load_b64 v[3:4], v[0:1], off
	s_mov_b32 s0, 0
	s_waitcnt vmcnt(0)
	v_xor_b32_e32 v5, v3, v4
	v_cls_i32_e32 v6, v4
	s_delay_alu instid0(VALU_DEP_2) | instskip(NEXT) | instid1(VALU_DEP_2)
	v_ashrrev_i32_e32 v5, 31, v5
	v_add_nc_u32_e32 v6, -1, v6
	s_delay_alu instid0(VALU_DEP_2) | instskip(NEXT) | instid1(VALU_DEP_1)
	v_add_nc_u32_e32 v5, 32, v5
	v_min_u32_e32 v5, v6, v5
	s_delay_alu instid0(VALU_DEP_1) | instskip(NEXT) | instid1(VALU_DEP_1)
	v_lshlrev_b64 v[3:4], v5, v[3:4]
	v_min_u32_e32 v3, 1, v3
	s_delay_alu instid0(VALU_DEP_1) | instskip(SKIP_1) | instid1(VALU_DEP_2)
	v_or_b32_e32 v3, v4, v3
	v_sub_nc_u32_e32 v4, 32, v5
	v_cvt_f32_i32_e32 v3, v3
	s_delay_alu instid0(VALU_DEP_1) | instskip(NEXT) | instid1(VALU_DEP_1)
	v_ldexp_f32 v3, v3, v4
	v_cvt_f16_f32_e32 v4, v3
	s_branch .LBB166_509
.LBB166_506:
	s_mov_b32 s0, -1
                                        ; implicit-def: $vgpr4
	s_branch .LBB166_515
.LBB166_507:
	s_mov_b32 s0, -1
                                        ; implicit-def: $vgpr4
	s_branch .LBB166_512
.LBB166_508:
	s_mov_b32 s0, -1
                                        ; implicit-def: $vgpr4
.LBB166_509:
	s_delay_alu instid0(SALU_CYCLE_1)
	s_and_not1_b32 vcc_lo, exec_lo, s0
	s_cbranch_vccnz .LBB166_511
; %bb.510:
	global_load_b32 v3, v[0:1], off
	s_waitcnt vmcnt(0)
	v_cvt_f32_i32_e32 v3, v3
	s_delay_alu instid0(VALU_DEP_1)
	v_cvt_f16_f32_e32 v4, v3
.LBB166_511:
	s_mov_b32 s0, 0
.LBB166_512:
	s_delay_alu instid0(SALU_CYCLE_1)
	s_and_not1_b32 vcc_lo, exec_lo, s0
	s_cbranch_vccnz .LBB166_514
; %bb.513:
	global_load_u16 v3, v[0:1], off
	s_waitcnt vmcnt(0)
	v_cvt_f16_i16_e32 v4, v3
.LBB166_514:
	s_mov_b32 s0, 0
.LBB166_515:
	s_delay_alu instid0(SALU_CYCLE_1)
	s_and_not1_b32 vcc_lo, exec_lo, s0
	s_cbranch_vccnz .LBB166_521
; %bb.516:
	v_cmp_lt_i16_e32 vcc_lo, 0, v2
	s_mov_b32 s0, 0
	s_cbranch_vccz .LBB166_518
; %bb.517:
	global_load_i8 v2, v[0:1], off
	s_waitcnt vmcnt(0)
	v_cvt_f16_i16_e32 v4, v2
	s_branch .LBB166_519
.LBB166_518:
	s_mov_b32 s0, -1
                                        ; implicit-def: $vgpr4
.LBB166_519:
	s_delay_alu instid0(SALU_CYCLE_1)
	s_and_not1_b32 vcc_lo, exec_lo, s0
	s_cbranch_vccnz .LBB166_521
; %bb.520:
	global_load_u8 v0, v[0:1], off
	s_waitcnt vmcnt(0)
	v_cvt_f16_u16_e32 v4, v0
.LBB166_521:
	s_branch .LBB166_389
.LBB166_522:
	s_mov_b32 s25, 0
	s_mov_b32 s0, s16
	;; [unrolled: 1-line block ×3, first 2 shown]
	s_branch .LBB166_762
.LBB166_523:
	s_or_saveexec_b32 s23, s23
                                        ; implicit-def: $sgpr24
	s_delay_alu instid0(SALU_CYCLE_1)
	s_xor_b32 exec_lo, exec_lo, s23
	s_cbranch_execz .LBB166_193
.LBB166_524:
	v_add_f32_e64 v5, 0x42800000, |v4|
	s_and_not1_b32 s22, s22, exec_lo
	s_mov_b32 s24, 0
	s_delay_alu instid0(VALU_DEP_1) | instskip(NEXT) | instid1(VALU_DEP_1)
	v_and_b32_e32 v5, 0xff, v5
	v_cmp_ne_u32_e32 vcc_lo, 0, v5
	s_and_b32 s25, vcc_lo, exec_lo
	s_delay_alu instid0(SALU_CYCLE_1)
	s_or_b32 s22, s22, s25
	s_or_b32 exec_lo, exec_lo, s23
	v_mov_b32_e32 v6, s24
	s_and_saveexec_b32 s23, s22
	s_cbranch_execnz .LBB166_194
	s_branch .LBB166_195
.LBB166_525:
	s_mov_b32 s23, -1
	s_mov_b32 s0, 0
.LBB166_526:
                                        ; implicit-def: $vgpr2
.LBB166_527:
	s_and_b32 vcc_lo, exec_lo, s22
	s_cbranch_vccz .LBB166_531
; %bb.528:
	v_cmp_eq_u16_e32 vcc_lo, 44, v5
	s_cbranch_vccz .LBB166_530
; %bb.529:
	global_load_u8 v2, v[0:1], off
	s_mov_b32 s23, 0
	s_mov_b32 s0, -1
	s_waitcnt vmcnt(0)
	v_lshlrev_b32_e32 v3, 23, v2
	v_cmp_ne_u32_e32 vcc_lo, 0, v2
	s_delay_alu instid0(VALU_DEP_2) | instskip(NEXT) | instid1(VALU_DEP_1)
	v_trunc_f32_e32 v3, v3
	v_mul_f32_e64 v6, 0x2f800000, |v3|
	s_delay_alu instid0(VALU_DEP_1) | instskip(NEXT) | instid1(VALU_DEP_1)
	v_floor_f32_e32 v6, v6
	v_fma_f32 v6, 0xcf800000, v6, |v3|
	v_ashrrev_i32_e32 v3, 31, v3
	s_delay_alu instid0(VALU_DEP_2) | instskip(NEXT) | instid1(VALU_DEP_1)
	v_cvt_u32_f32_e32 v6, v6
	v_xor_b32_e32 v6, v6, v3
	s_delay_alu instid0(VALU_DEP_1) | instskip(NEXT) | instid1(VALU_DEP_1)
	v_sub_nc_u32_e32 v3, v6, v3
	v_cndmask_b32_e32 v2, 0, v3, vcc_lo
	s_branch .LBB166_531
.LBB166_530:
	s_mov_b32 s23, -1
                                        ; implicit-def: $vgpr2
.LBB166_531:
	s_mov_b32 s22, 0
.LBB166_532:
	s_delay_alu instid0(SALU_CYCLE_1)
	s_and_b32 vcc_lo, exec_lo, s22
	s_cbranch_vccz .LBB166_536
; %bb.533:
	v_cmp_eq_u16_e32 vcc_lo, 29, v5
	s_cbranch_vccz .LBB166_535
; %bb.534:
	global_load_b64 v[2:3], v[0:1], off
	s_mov_b32 s0, -1
	s_mov_b32 s23, 0
	s_branch .LBB166_536
.LBB166_535:
	s_mov_b32 s23, -1
                                        ; implicit-def: $vgpr2
.LBB166_536:
	s_mov_b32 s22, 0
.LBB166_537:
	s_delay_alu instid0(SALU_CYCLE_1)
	s_and_b32 vcc_lo, exec_lo, s22
	s_cbranch_vccz .LBB166_553
; %bb.538:
	v_cmp_gt_i16_e32 vcc_lo, 27, v5
	s_cbranch_vccnz .LBB166_541
; %bb.539:
	v_cmp_lt_i16_e32 vcc_lo, 27, v5
	s_cbranch_vccz .LBB166_542
; %bb.540:
	global_load_b32 v2, v[0:1], off
	s_mov_b32 s0, 0
	s_branch .LBB166_543
.LBB166_541:
	s_mov_b32 s0, -1
                                        ; implicit-def: $vgpr2
	s_branch .LBB166_546
.LBB166_542:
	s_mov_b32 s0, -1
                                        ; implicit-def: $vgpr2
.LBB166_543:
	s_delay_alu instid0(SALU_CYCLE_1)
	s_and_not1_b32 vcc_lo, exec_lo, s0
	s_cbranch_vccnz .LBB166_545
; %bb.544:
	global_load_u16 v2, v[0:1], off
.LBB166_545:
	s_mov_b32 s0, 0
.LBB166_546:
	s_delay_alu instid0(SALU_CYCLE_1)
	s_and_not1_b32 vcc_lo, exec_lo, s0
	s_cbranch_vccnz .LBB166_552
; %bb.547:
	global_load_u8 v3, v[0:1], off
	s_mov_b32 s22, 0
	s_mov_b32 s0, exec_lo
                                        ; implicit-def: $sgpr25
	s_waitcnt vmcnt(0)
	v_cmpx_lt_i16_e32 0x7f, v3
	s_xor_b32 s0, exec_lo, s0
	s_cbranch_execz .LBB166_564
; %bb.548:
	v_cmp_ne_u16_e32 vcc_lo, 0x80, v3
	s_mov_b32 s25, 0
	s_and_b32 s22, vcc_lo, exec_lo
	s_or_saveexec_b32 s0, s0
	v_mov_b32_e32 v2, s25
	s_xor_b32 exec_lo, exec_lo, s0
	s_cbranch_execnz .LBB166_565
.LBB166_549:
	s_or_b32 exec_lo, exec_lo, s0
	s_and_saveexec_b32 s0, s22
	s_cbranch_execz .LBB166_551
.LBB166_550:
	v_and_b32_e32 v2, 0xffff, v3
	s_delay_alu instid0(VALU_DEP_1) | instskip(NEXT) | instid1(VALU_DEP_1)
	v_and_b32_e32 v6, 7, v2
	v_clz_i32_u32_e32 v8, v6
	s_delay_alu instid0(VALU_DEP_1) | instskip(NEXT) | instid1(VALU_DEP_1)
	v_min_u32_e32 v8, 32, v8
	v_subrev_nc_u32_e32 v9, 28, v8
	v_sub_nc_u32_e32 v8, 29, v8
	s_delay_alu instid0(VALU_DEP_2) | instskip(SKIP_1) | instid1(VALU_DEP_1)
	v_lshlrev_b32_e32 v9, v9, v2
	v_bfe_u32 v2, v2, 3, 4
	v_cmp_eq_u32_e32 vcc_lo, 0, v2
	s_delay_alu instid0(VALU_DEP_3) | instskip(SKIP_1) | instid1(VALU_DEP_2)
	v_dual_cndmask_b32 v2, v2, v8 :: v_dual_and_b32 v9, 7, v9
	v_lshlrev_b32_e32 v3, 24, v3
	v_lshl_add_u32 v2, v2, 23, 0x3b800000
	s_delay_alu instid0(VALU_DEP_2) | instskip(NEXT) | instid1(VALU_DEP_1)
	v_dual_cndmask_b32 v6, v6, v9 :: v_dual_and_b32 v3, 0x80000000, v3
	v_lshlrev_b32_e32 v6, 20, v6
	s_delay_alu instid0(VALU_DEP_1) | instskip(NEXT) | instid1(VALU_DEP_1)
	v_or3_b32 v2, v3, v2, v6
	v_trunc_f32_e32 v2, v2
	s_delay_alu instid0(VALU_DEP_1) | instskip(NEXT) | instid1(VALU_DEP_1)
	v_mul_f32_e64 v3, 0x2f800000, |v2|
	v_floor_f32_e32 v3, v3
	s_delay_alu instid0(VALU_DEP_1) | instskip(SKIP_1) | instid1(VALU_DEP_2)
	v_fma_f32 v3, 0xcf800000, v3, |v2|
	v_ashrrev_i32_e32 v2, 31, v2
	v_cvt_u32_f32_e32 v3, v3
	s_delay_alu instid0(VALU_DEP_1) | instskip(NEXT) | instid1(VALU_DEP_1)
	v_xor_b32_e32 v3, v3, v2
	v_sub_nc_u32_e32 v2, v3, v2
.LBB166_551:
	s_or_b32 exec_lo, exec_lo, s0
.LBB166_552:
	s_mov_b32 s0, -1
.LBB166_553:
	s_mov_b32 s22, 0
.LBB166_554:
	s_delay_alu instid0(SALU_CYCLE_1)
	s_and_b32 vcc_lo, exec_lo, s22
	s_cbranch_vccz .LBB166_587
; %bb.555:
	v_cmp_lt_i16_e32 vcc_lo, 22, v5
	s_cbranch_vccz .LBB166_563
; %bb.556:
	v_cmp_gt_i16_e32 vcc_lo, 24, v5
	s_cbranch_vccnz .LBB166_566
; %bb.557:
	v_cmp_lt_i16_e32 vcc_lo, 24, v5
	s_cbranch_vccz .LBB166_567
; %bb.558:
	global_load_u8 v3, v[0:1], off
	s_mov_b32 s22, 0
	s_mov_b32 s0, exec_lo
                                        ; implicit-def: $sgpr25
	s_waitcnt vmcnt(0)
	v_cmpx_lt_i16_e32 0x7f, v3
	s_xor_b32 s0, exec_lo, s0
	s_cbranch_execz .LBB166_579
; %bb.559:
	v_cmp_ne_u16_e32 vcc_lo, 0x80, v3
	s_mov_b32 s25, 0
	s_and_b32 s22, vcc_lo, exec_lo
	s_or_saveexec_b32 s0, s0
	v_mov_b32_e32 v2, s25
	s_xor_b32 exec_lo, exec_lo, s0
	s_cbranch_execnz .LBB166_580
.LBB166_560:
	s_or_b32 exec_lo, exec_lo, s0
	s_and_saveexec_b32 s0, s22
	s_cbranch_execz .LBB166_562
.LBB166_561:
	v_and_b32_e32 v2, 0xffff, v3
	s_delay_alu instid0(VALU_DEP_1) | instskip(NEXT) | instid1(VALU_DEP_1)
	v_and_b32_e32 v6, 3, v2
	v_clz_i32_u32_e32 v8, v6
	s_delay_alu instid0(VALU_DEP_1) | instskip(NEXT) | instid1(VALU_DEP_1)
	v_min_u32_e32 v8, 32, v8
	v_subrev_nc_u32_e32 v9, 29, v8
	v_sub_nc_u32_e32 v8, 30, v8
	s_delay_alu instid0(VALU_DEP_2) | instskip(SKIP_1) | instid1(VALU_DEP_1)
	v_lshlrev_b32_e32 v9, v9, v2
	v_bfe_u32 v2, v2, 2, 5
	v_cmp_eq_u32_e32 vcc_lo, 0, v2
	s_delay_alu instid0(VALU_DEP_3) | instskip(SKIP_1) | instid1(VALU_DEP_2)
	v_dual_cndmask_b32 v2, v2, v8 :: v_dual_and_b32 v9, 3, v9
	v_lshlrev_b32_e32 v3, 24, v3
	v_lshl_add_u32 v2, v2, 23, 0x37800000
	s_delay_alu instid0(VALU_DEP_2) | instskip(NEXT) | instid1(VALU_DEP_1)
	v_dual_cndmask_b32 v6, v6, v9 :: v_dual_and_b32 v3, 0x80000000, v3
	v_lshlrev_b32_e32 v6, 21, v6
	s_delay_alu instid0(VALU_DEP_1) | instskip(NEXT) | instid1(VALU_DEP_1)
	v_or3_b32 v2, v3, v2, v6
	v_trunc_f32_e32 v2, v2
	s_delay_alu instid0(VALU_DEP_1) | instskip(NEXT) | instid1(VALU_DEP_1)
	v_mul_f32_e64 v3, 0x2f800000, |v2|
	v_floor_f32_e32 v3, v3
	s_delay_alu instid0(VALU_DEP_1) | instskip(SKIP_1) | instid1(VALU_DEP_2)
	v_fma_f32 v3, 0xcf800000, v3, |v2|
	v_ashrrev_i32_e32 v2, 31, v2
	v_cvt_u32_f32_e32 v3, v3
	s_delay_alu instid0(VALU_DEP_1) | instskip(NEXT) | instid1(VALU_DEP_1)
	v_xor_b32_e32 v3, v3, v2
	v_sub_nc_u32_e32 v2, v3, v2
.LBB166_562:
	s_or_b32 exec_lo, exec_lo, s0
	s_mov_b32 s0, 0
	s_branch .LBB166_568
.LBB166_563:
	s_mov_b32 s22, -1
                                        ; implicit-def: $vgpr2
	s_branch .LBB166_574
.LBB166_564:
	s_or_saveexec_b32 s0, s0
	v_mov_b32_e32 v2, s25
	s_xor_b32 exec_lo, exec_lo, s0
	s_cbranch_execz .LBB166_549
.LBB166_565:
	v_cmp_ne_u16_e32 vcc_lo, 0, v3
	v_mov_b32_e32 v2, 0
	s_and_not1_b32 s22, s22, exec_lo
	s_and_b32 s25, vcc_lo, exec_lo
	s_delay_alu instid0(SALU_CYCLE_1)
	s_or_b32 s22, s22, s25
	s_or_b32 exec_lo, exec_lo, s0
	s_and_saveexec_b32 s0, s22
	s_cbranch_execnz .LBB166_550
	s_branch .LBB166_551
.LBB166_566:
	s_mov_b32 s0, -1
                                        ; implicit-def: $vgpr2
	s_branch .LBB166_571
.LBB166_567:
	s_mov_b32 s0, -1
                                        ; implicit-def: $vgpr2
.LBB166_568:
	s_delay_alu instid0(SALU_CYCLE_1)
	s_and_b32 vcc_lo, exec_lo, s0
	s_cbranch_vccz .LBB166_570
; %bb.569:
	global_load_u8 v2, v[0:1], off
	s_waitcnt vmcnt(0)
	v_lshlrev_b32_e32 v2, 24, v2
	s_delay_alu instid0(VALU_DEP_1) | instskip(NEXT) | instid1(VALU_DEP_1)
	v_and_b32_e32 v3, 0x7f000000, v2
	v_clz_i32_u32_e32 v6, v3
	v_cmp_ne_u32_e32 vcc_lo, 0, v3
	v_add_nc_u32_e32 v9, 0x1000000, v3
	s_delay_alu instid0(VALU_DEP_3) | instskip(NEXT) | instid1(VALU_DEP_1)
	v_min_u32_e32 v6, 32, v6
	v_sub_nc_u32_e64 v6, v6, 4 clamp
	s_delay_alu instid0(VALU_DEP_1) | instskip(SKIP_1) | instid1(VALU_DEP_2)
	v_lshlrev_b32_e32 v8, v6, v3
	v_lshlrev_b32_e32 v6, 23, v6
	v_lshrrev_b32_e32 v8, 4, v8
	s_delay_alu instid0(VALU_DEP_1) | instskip(SKIP_1) | instid1(VALU_DEP_2)
	v_sub_nc_u32_e32 v6, v8, v6
	v_ashrrev_i32_e32 v8, 8, v9
	v_add_nc_u32_e32 v6, 0x3c000000, v6
	s_delay_alu instid0(VALU_DEP_1) | instskip(NEXT) | instid1(VALU_DEP_1)
	v_and_or_b32 v6, 0x7f800000, v8, v6
	v_cndmask_b32_e32 v3, 0, v6, vcc_lo
	s_delay_alu instid0(VALU_DEP_1) | instskip(NEXT) | instid1(VALU_DEP_1)
	v_and_or_b32 v2, 0x80000000, v2, v3
	v_trunc_f32_e32 v2, v2
	s_delay_alu instid0(VALU_DEP_1) | instskip(NEXT) | instid1(VALU_DEP_1)
	v_mul_f32_e64 v3, 0x2f800000, |v2|
	v_floor_f32_e32 v3, v3
	s_delay_alu instid0(VALU_DEP_1) | instskip(SKIP_1) | instid1(VALU_DEP_2)
	v_fma_f32 v3, 0xcf800000, v3, |v2|
	v_ashrrev_i32_e32 v2, 31, v2
	v_cvt_u32_f32_e32 v3, v3
	s_delay_alu instid0(VALU_DEP_1) | instskip(NEXT) | instid1(VALU_DEP_1)
	v_xor_b32_e32 v3, v3, v2
	v_sub_nc_u32_e32 v2, v3, v2
.LBB166_570:
	s_mov_b32 s0, 0
.LBB166_571:
	s_delay_alu instid0(SALU_CYCLE_1)
	s_and_not1_b32 vcc_lo, exec_lo, s0
	s_cbranch_vccnz .LBB166_573
; %bb.572:
	global_load_u8 v2, v[0:1], off
	s_waitcnt vmcnt(0)
	v_lshlrev_b32_e32 v3, 25, v2
	v_lshlrev_b16 v2, 8, v2
	s_delay_alu instid0(VALU_DEP_1) | instskip(SKIP_1) | instid1(VALU_DEP_2)
	v_and_or_b32 v8, 0x7f00, v2, 0.5
	v_bfe_i32 v2, v2, 0, 16
	v_add_f32_e32 v8, -0.5, v8
	v_lshrrev_b32_e32 v6, 4, v3
	v_cmp_gt_u32_e32 vcc_lo, 0x8000000, v3
	s_delay_alu instid0(VALU_DEP_2) | instskip(NEXT) | instid1(VALU_DEP_1)
	v_or_b32_e32 v6, 0x70000000, v6
	v_mul_f32_e32 v6, 0x7800000, v6
	s_delay_alu instid0(VALU_DEP_1) | instskip(NEXT) | instid1(VALU_DEP_1)
	v_cndmask_b32_e32 v3, v6, v8, vcc_lo
	v_and_or_b32 v2, 0x80000000, v2, v3
	s_delay_alu instid0(VALU_DEP_1) | instskip(NEXT) | instid1(VALU_DEP_1)
	v_trunc_f32_e32 v2, v2
	v_mul_f32_e64 v3, 0x2f800000, |v2|
	s_delay_alu instid0(VALU_DEP_1) | instskip(NEXT) | instid1(VALU_DEP_1)
	v_floor_f32_e32 v3, v3
	v_fma_f32 v3, 0xcf800000, v3, |v2|
	v_ashrrev_i32_e32 v2, 31, v2
	s_delay_alu instid0(VALU_DEP_2) | instskip(NEXT) | instid1(VALU_DEP_1)
	v_cvt_u32_f32_e32 v3, v3
	v_xor_b32_e32 v3, v3, v2
	s_delay_alu instid0(VALU_DEP_1)
	v_sub_nc_u32_e32 v2, v3, v2
.LBB166_573:
	s_mov_b32 s22, 0
	s_mov_b32 s0, -1
.LBB166_574:
	s_and_not1_b32 vcc_lo, exec_lo, s22
	s_cbranch_vccnz .LBB166_587
; %bb.575:
	v_cmp_lt_i16_e32 vcc_lo, 14, v5
	s_cbranch_vccz .LBB166_578
; %bb.576:
	v_cmp_eq_u16_e32 vcc_lo, 15, v5
	s_cbranch_vccz .LBB166_581
; %bb.577:
	global_load_u16 v2, v[0:1], off
	s_mov_b32 s0, -1
	s_mov_b32 s23, 0
	s_waitcnt vmcnt(0)
	v_lshlrev_b32_e32 v2, 16, v2
	s_delay_alu instid0(VALU_DEP_1) | instskip(NEXT) | instid1(VALU_DEP_1)
	v_trunc_f32_e32 v2, v2
	v_mul_f32_e64 v3, 0x2f800000, |v2|
	s_delay_alu instid0(VALU_DEP_1) | instskip(NEXT) | instid1(VALU_DEP_1)
	v_floor_f32_e32 v3, v3
	v_fma_f32 v3, 0xcf800000, v3, |v2|
	v_ashrrev_i32_e32 v2, 31, v2
	s_delay_alu instid0(VALU_DEP_2) | instskip(NEXT) | instid1(VALU_DEP_1)
	v_cvt_u32_f32_e32 v3, v3
	v_xor_b32_e32 v3, v3, v2
	s_delay_alu instid0(VALU_DEP_1)
	v_sub_nc_u32_e32 v2, v3, v2
	s_branch .LBB166_582
.LBB166_578:
	s_mov_b32 s22, -1
                                        ; implicit-def: $vgpr2
	s_branch .LBB166_583
.LBB166_579:
	s_or_saveexec_b32 s0, s0
	v_mov_b32_e32 v2, s25
	s_xor_b32 exec_lo, exec_lo, s0
	s_cbranch_execz .LBB166_560
.LBB166_580:
	v_cmp_ne_u16_e32 vcc_lo, 0, v3
	v_mov_b32_e32 v2, 0
	s_and_not1_b32 s22, s22, exec_lo
	s_and_b32 s25, vcc_lo, exec_lo
	s_delay_alu instid0(SALU_CYCLE_1)
	s_or_b32 s22, s22, s25
	s_or_b32 exec_lo, exec_lo, s0
	s_and_saveexec_b32 s0, s22
	s_cbranch_execnz .LBB166_561
	s_branch .LBB166_562
.LBB166_581:
	s_mov_b32 s23, -1
                                        ; implicit-def: $vgpr2
.LBB166_582:
	s_mov_b32 s22, 0
.LBB166_583:
	s_delay_alu instid0(SALU_CYCLE_1)
	s_and_b32 vcc_lo, exec_lo, s22
	s_cbranch_vccz .LBB166_587
; %bb.584:
	v_cmp_eq_u16_e32 vcc_lo, 11, v5
	s_cbranch_vccz .LBB166_586
; %bb.585:
	global_load_u8 v2, v[0:1], off
	s_mov_b32 s23, 0
	s_mov_b32 s0, -1
	s_waitcnt vmcnt(0)
	v_cmp_ne_u16_e32 vcc_lo, 0, v2
	v_cndmask_b32_e64 v2, 0, 1, vcc_lo
	s_branch .LBB166_587
.LBB166_586:
	s_mov_b32 s23, -1
                                        ; implicit-def: $vgpr2
.LBB166_587:
	s_mov_b32 s22, 0
.LBB166_588:
	s_delay_alu instid0(SALU_CYCLE_1)
	s_and_b32 vcc_lo, exec_lo, s22
	s_cbranch_vccz .LBB166_637
; %bb.589:
	v_cmp_gt_i16_e32 vcc_lo, 5, v5
	s_cbranch_vccnz .LBB166_594
; %bb.590:
	v_cmp_gt_i16_e32 vcc_lo, 8, v5
	s_cbranch_vccnz .LBB166_595
	;; [unrolled: 3-line block ×3, first 2 shown]
; %bb.592:
	v_cmp_lt_i16_e32 vcc_lo, 9, v5
	s_cbranch_vccz .LBB166_597
; %bb.593:
	global_load_b64 v[2:3], v[0:1], off
	s_mov_b32 s0, 0
	s_waitcnt vmcnt(0)
	v_trunc_f64_e32 v[2:3], v[2:3]
	s_delay_alu instid0(VALU_DEP_1) | instskip(NEXT) | instid1(VALU_DEP_1)
	v_ldexp_f64 v[8:9], v[2:3], 0xffffffe0
	v_floor_f64_e32 v[8:9], v[8:9]
	s_delay_alu instid0(VALU_DEP_1) | instskip(NEXT) | instid1(VALU_DEP_1)
	v_fma_f64 v[2:3], 0xc1f00000, v[8:9], v[2:3]
	v_cvt_u32_f64_e32 v2, v[2:3]
	s_branch .LBB166_598
.LBB166_594:
	s_mov_b32 s0, -1
                                        ; implicit-def: $vgpr2
	s_branch .LBB166_616
.LBB166_595:
	s_mov_b32 s0, -1
                                        ; implicit-def: $vgpr2
	s_branch .LBB166_604
.LBB166_596:
	s_mov_b32 s0, -1
                                        ; implicit-def: $vgpr2
	s_branch .LBB166_601
.LBB166_597:
	s_mov_b32 s0, -1
                                        ; implicit-def: $vgpr2
.LBB166_598:
	s_delay_alu instid0(SALU_CYCLE_1)
	s_and_not1_b32 vcc_lo, exec_lo, s0
	s_cbranch_vccnz .LBB166_600
; %bb.599:
	global_load_b32 v2, v[0:1], off
	s_waitcnt vmcnt(0)
	v_trunc_f32_e32 v2, v2
	s_delay_alu instid0(VALU_DEP_1) | instskip(NEXT) | instid1(VALU_DEP_1)
	v_mul_f32_e64 v3, 0x2f800000, |v2|
	v_floor_f32_e32 v3, v3
	s_delay_alu instid0(VALU_DEP_1) | instskip(SKIP_1) | instid1(VALU_DEP_2)
	v_fma_f32 v3, 0xcf800000, v3, |v2|
	v_ashrrev_i32_e32 v2, 31, v2
	v_cvt_u32_f32_e32 v3, v3
	s_delay_alu instid0(VALU_DEP_1) | instskip(NEXT) | instid1(VALU_DEP_1)
	v_xor_b32_e32 v3, v3, v2
	v_sub_nc_u32_e32 v2, v3, v2
.LBB166_600:
	s_mov_b32 s0, 0
.LBB166_601:
	s_delay_alu instid0(SALU_CYCLE_1)
	s_and_not1_b32 vcc_lo, exec_lo, s0
	s_cbranch_vccnz .LBB166_603
; %bb.602:
	global_load_b32 v2, v[0:1], off
	s_waitcnt vmcnt(0)
	v_cvt_f32_f16_e32 v2, v2
	s_delay_alu instid0(VALU_DEP_1)
	v_cvt_i32_f32_e32 v2, v2
.LBB166_603:
	s_mov_b32 s0, 0
.LBB166_604:
	s_delay_alu instid0(SALU_CYCLE_1)
	s_and_not1_b32 vcc_lo, exec_lo, s0
	s_cbranch_vccnz .LBB166_615
; %bb.605:
	v_cmp_gt_i16_e32 vcc_lo, 6, v5
	s_cbranch_vccnz .LBB166_608
; %bb.606:
	v_cmp_lt_i16_e32 vcc_lo, 6, v5
	s_cbranch_vccz .LBB166_609
; %bb.607:
	global_load_b64 v[2:3], v[0:1], off
	s_mov_b32 s0, 0
	s_waitcnt vmcnt(0)
	v_trunc_f64_e32 v[2:3], v[2:3]
	s_delay_alu instid0(VALU_DEP_1) | instskip(NEXT) | instid1(VALU_DEP_1)
	v_ldexp_f64 v[8:9], v[2:3], 0xffffffe0
	v_floor_f64_e32 v[8:9], v[8:9]
	s_delay_alu instid0(VALU_DEP_1) | instskip(NEXT) | instid1(VALU_DEP_1)
	v_fma_f64 v[2:3], 0xc1f00000, v[8:9], v[2:3]
	v_cvt_u32_f64_e32 v2, v[2:3]
	s_branch .LBB166_610
.LBB166_608:
	s_mov_b32 s0, -1
                                        ; implicit-def: $vgpr2
	s_branch .LBB166_613
.LBB166_609:
	s_mov_b32 s0, -1
                                        ; implicit-def: $vgpr2
.LBB166_610:
	s_delay_alu instid0(SALU_CYCLE_1)
	s_and_not1_b32 vcc_lo, exec_lo, s0
	s_cbranch_vccnz .LBB166_612
; %bb.611:
	global_load_b32 v2, v[0:1], off
	s_waitcnt vmcnt(0)
	v_trunc_f32_e32 v2, v2
	s_delay_alu instid0(VALU_DEP_1) | instskip(NEXT) | instid1(VALU_DEP_1)
	v_mul_f32_e64 v3, 0x2f800000, |v2|
	v_floor_f32_e32 v3, v3
	s_delay_alu instid0(VALU_DEP_1) | instskip(SKIP_1) | instid1(VALU_DEP_2)
	v_fma_f32 v3, 0xcf800000, v3, |v2|
	v_ashrrev_i32_e32 v2, 31, v2
	v_cvt_u32_f32_e32 v3, v3
	s_delay_alu instid0(VALU_DEP_1) | instskip(NEXT) | instid1(VALU_DEP_1)
	v_xor_b32_e32 v3, v3, v2
	v_sub_nc_u32_e32 v2, v3, v2
.LBB166_612:
	s_mov_b32 s0, 0
.LBB166_613:
	s_delay_alu instid0(SALU_CYCLE_1)
	s_and_not1_b32 vcc_lo, exec_lo, s0
	s_cbranch_vccnz .LBB166_615
; %bb.614:
	global_load_u16 v2, v[0:1], off
	s_waitcnt vmcnt(0)
	v_cvt_f32_f16_e32 v2, v2
	s_delay_alu instid0(VALU_DEP_1)
	v_cvt_i32_f32_e32 v2, v2
.LBB166_615:
	s_mov_b32 s0, 0
.LBB166_616:
	s_delay_alu instid0(SALU_CYCLE_1)
	s_and_not1_b32 vcc_lo, exec_lo, s0
	s_cbranch_vccnz .LBB166_636
; %bb.617:
	v_cmp_gt_i16_e32 vcc_lo, 2, v5
	s_cbranch_vccnz .LBB166_621
; %bb.618:
	v_cmp_gt_i16_e32 vcc_lo, 3, v5
	s_cbranch_vccnz .LBB166_622
; %bb.619:
	v_cmp_lt_i16_e32 vcc_lo, 3, v5
	s_cbranch_vccz .LBB166_623
; %bb.620:
	global_load_b64 v[2:3], v[0:1], off
	s_mov_b32 s0, 0
	s_branch .LBB166_624
.LBB166_621:
	s_mov_b32 s0, -1
                                        ; implicit-def: $vgpr2
	s_branch .LBB166_630
.LBB166_622:
	s_mov_b32 s0, -1
                                        ; implicit-def: $vgpr2
	s_branch .LBB166_627
.LBB166_623:
	s_mov_b32 s0, -1
                                        ; implicit-def: $vgpr2
.LBB166_624:
	s_delay_alu instid0(SALU_CYCLE_1)
	s_and_not1_b32 vcc_lo, exec_lo, s0
	s_cbranch_vccnz .LBB166_626
; %bb.625:
	global_load_b32 v2, v[0:1], off
.LBB166_626:
	s_mov_b32 s0, 0
.LBB166_627:
	s_delay_alu instid0(SALU_CYCLE_1)
	s_and_not1_b32 vcc_lo, exec_lo, s0
	s_cbranch_vccnz .LBB166_629
; %bb.628:
	global_load_u16 v2, v[0:1], off
.LBB166_629:
	s_mov_b32 s0, 0
.LBB166_630:
	s_delay_alu instid0(SALU_CYCLE_1)
	s_and_not1_b32 vcc_lo, exec_lo, s0
	s_cbranch_vccnz .LBB166_636
; %bb.631:
	v_cmp_lt_i16_e32 vcc_lo, 0, v5
	s_mov_b32 s0, 0
	s_cbranch_vccz .LBB166_633
; %bb.632:
	global_load_u8 v2, v[0:1], off
	s_branch .LBB166_634
.LBB166_633:
	s_mov_b32 s0, -1
                                        ; implicit-def: $vgpr2
.LBB166_634:
	s_delay_alu instid0(SALU_CYCLE_1)
	s_and_not1_b32 vcc_lo, exec_lo, s0
	s_cbranch_vccnz .LBB166_636
; %bb.635:
	global_load_u8 v2, v[0:1], off
.LBB166_636:
	s_mov_b32 s0, -1
.LBB166_637:
	s_delay_alu instid0(SALU_CYCLE_1)
	s_and_not1_b32 vcc_lo, exec_lo, s0
	s_cbranch_vccnz .LBB166_645
; %bb.638:
	s_waitcnt vmcnt(0)
	v_cvt_f32_f16_e32 v1, v4
	v_mul_lo_u32 v4, v7, s8
	s_delay_alu instid0(VALU_DEP_3) | instskip(SKIP_1) | instid1(VALU_DEP_2)
	v_cvt_f32_ubyte0_e32 v0, v2
	v_and_b32_e64 v3, 0xff, s12
	v_mul_f32_e32 v0, v1, v0
	s_delay_alu instid0(VALU_DEP_2) | instskip(SKIP_1) | instid1(VALU_DEP_3)
	v_cmp_gt_i16_e32 vcc_lo, 11, v3
	v_ashrrev_i32_e32 v1, 31, v4
	v_fma_mixlo_f16 v2, s11, v0, 0
	v_add_co_u32 v0, s0, s4, v4
	s_delay_alu instid0(VALU_DEP_1)
	v_add_co_ci_u32_e64 v1, s0, s5, v1, s0
	s_cbranch_vccnz .LBB166_646
; %bb.639:
	v_cmp_lt_i16_e32 vcc_lo, 25, v3
	s_cbranch_vccz .LBB166_647
; %bb.640:
	v_cmp_lt_i16_e32 vcc_lo, 28, v3
	s_cbranch_vccz .LBB166_648
; %bb.641:
	v_cmp_lt_i16_e32 vcc_lo, 43, v3
	s_cbranch_vccz .LBB166_649
; %bb.642:
	v_cmp_lt_i16_e32 vcc_lo, 45, v3
	s_cbranch_vccz .LBB166_650
; %bb.643:
	v_cmp_eq_u16_e32 vcc_lo, 46, v3
	s_mov_b32 s25, 0
	s_mov_b32 s0, -1
	s_mov_b32 s22, 0
	s_cbranch_vccz .LBB166_651
; %bb.644:
	v_cvt_f32_f16_e32 v4, v2
	v_cmp_o_f16_e32 vcc_lo, v2, v2
	s_mov_b32 s22, -1
	s_mov_b32 s0, 0
	s_delay_alu instid0(VALU_DEP_2) | instskip(NEXT) | instid1(VALU_DEP_1)
	v_bfe_u32 v5, v4, 16, 1
	v_add3_u32 v4, v4, v5, 0x7fff
	s_delay_alu instid0(VALU_DEP_1) | instskip(NEXT) | instid1(VALU_DEP_1)
	v_lshrrev_b32_e32 v4, 16, v4
	v_cndmask_b32_e32 v4, 0x7fc0, v4, vcc_lo
	global_store_b32 v[0:1], v4, off
	s_branch .LBB166_651
.LBB166_645:
	s_mov_b32 s25, 0
	s_mov_b32 s0, s16
	s_branch .LBB166_762
.LBB166_646:
	s_mov_b32 s25, -1
	s_mov_b32 s22, 0
	s_mov_b32 s0, s16
	s_branch .LBB166_720
.LBB166_647:
	s_mov_b32 s25, -1
	s_mov_b32 s22, 0
	s_mov_b32 s0, s16
	s_branch .LBB166_678
.LBB166_648:
	s_mov_b32 s25, -1
	s_mov_b32 s22, 0
	s_mov_b32 s0, s16
	s_branch .LBB166_661
.LBB166_649:
	s_mov_b32 s25, -1
	s_mov_b32 s22, 0
	s_mov_b32 s0, s16
	s_branch .LBB166_657
.LBB166_650:
	s_mov_b32 s25, -1
	s_mov_b32 s22, 0
	s_mov_b32 s0, s16
.LBB166_651:
	s_and_b32 vcc_lo, exec_lo, s25
	s_cbranch_vccz .LBB166_656
; %bb.652:
	v_cmp_eq_u16_e32 vcc_lo, 44, v3
	s_mov_b32 s0, -1
	s_cbranch_vccz .LBB166_656
; %bb.653:
	v_cvt_f32_f16_e32 v4, v2
	v_mov_b32_e32 v5, 0xff
	s_mov_b32 s22, exec_lo
	s_delay_alu instid0(VALU_DEP_2) | instskip(NEXT) | instid1(VALU_DEP_1)
	v_bfe_u32 v6, v4, 23, 8
	v_cmpx_ne_u32_e32 0xff, v6
; %bb.654:
	v_and_b32_e32 v5, 0x400000, v4
	v_and_or_b32 v6, 0x3fffff, v4, v6
	v_lshrrev_b32_e32 v4, 23, v4
	s_delay_alu instid0(VALU_DEP_3) | instskip(NEXT) | instid1(VALU_DEP_3)
	v_cmp_ne_u32_e32 vcc_lo, 0, v5
	v_cmp_ne_u32_e64 s0, 0, v6
	s_delay_alu instid0(VALU_DEP_1) | instskip(NEXT) | instid1(SALU_CYCLE_1)
	s_and_b32 s0, vcc_lo, s0
	v_cndmask_b32_e64 v5, 0, 1, s0
	s_delay_alu instid0(VALU_DEP_1)
	v_add_nc_u32_e32 v5, v4, v5
; %bb.655:
	s_or_b32 exec_lo, exec_lo, s22
	s_mov_b32 s22, -1
	s_mov_b32 s0, 0
	global_store_b8 v[0:1], v5, off
.LBB166_656:
	s_mov_b32 s25, 0
.LBB166_657:
	s_delay_alu instid0(SALU_CYCLE_1)
	s_and_b32 vcc_lo, exec_lo, s25
	s_cbranch_vccz .LBB166_660
; %bb.658:
	v_cmp_eq_u16_e32 vcc_lo, 29, v3
	s_mov_b32 s0, -1
	s_cbranch_vccz .LBB166_660
; %bb.659:
	v_cvt_f32_f16_e32 v4, v2
	v_mov_b32_e32 v5, 0
	s_mov_b32 s0, 0
	s_mov_b32 s22, -1
	s_mov_b32 s25, 0
	v_cvt_u32_f32_e32 v4, v4
	global_store_b64 v[0:1], v[4:5], off
	s_branch .LBB166_661
.LBB166_660:
	s_mov_b32 s25, 0
.LBB166_661:
	s_delay_alu instid0(SALU_CYCLE_1)
	s_and_b32 vcc_lo, exec_lo, s25
	s_cbranch_vccz .LBB166_677
; %bb.662:
	v_cmp_gt_i16_e32 vcc_lo, 27, v3
	s_mov_b32 s22, -1
	s_cbranch_vccnz .LBB166_668
; %bb.663:
	v_cmp_lt_i16_e32 vcc_lo, 27, v3
	s_cbranch_vccz .LBB166_665
; %bb.664:
	v_cvt_f32_f16_e32 v4, v2
	s_mov_b32 s22, 0
	s_delay_alu instid0(VALU_DEP_1)
	v_cvt_u32_f32_e32 v4, v4
	global_store_b32 v[0:1], v4, off
.LBB166_665:
	s_and_not1_b32 vcc_lo, exec_lo, s22
	s_cbranch_vccnz .LBB166_667
; %bb.666:
	v_cvt_u16_f16_e32 v4, v2
	global_store_b16 v[0:1], v4, off
.LBB166_667:
	s_mov_b32 s22, 0
.LBB166_668:
	s_delay_alu instid0(SALU_CYCLE_1)
	s_and_not1_b32 vcc_lo, exec_lo, s22
	s_cbranch_vccnz .LBB166_676
; %bb.669:
	v_cvt_f32_f16_e32 v4, v2
	v_mov_b32_e32 v6, 0x80
	s_mov_b32 s22, exec_lo
	s_delay_alu instid0(VALU_DEP_2) | instskip(NEXT) | instid1(VALU_DEP_1)
	v_and_b32_e32 v5, 0x7fffffff, v4
	v_cmpx_gt_u32_e32 0x43800000, v5
	s_cbranch_execz .LBB166_675
; %bb.670:
	v_cmp_lt_u32_e32 vcc_lo, 0x3bffffff, v5
	s_mov_b32 s25, 0
                                        ; implicit-def: $vgpr5
	s_and_saveexec_b32 s26, vcc_lo
	s_delay_alu instid0(SALU_CYCLE_1)
	s_xor_b32 s26, exec_lo, s26
	s_cbranch_execz .LBB166_778
; %bb.671:
	v_bfe_u32 v5, v4, 20, 1
	s_mov_b32 s25, exec_lo
	s_delay_alu instid0(VALU_DEP_1) | instskip(NEXT) | instid1(VALU_DEP_1)
	v_add3_u32 v5, v4, v5, 0x487ffff
	v_lshrrev_b32_e32 v5, 20, v5
	s_or_saveexec_b32 s26, s26
                                        ; implicit-def: $sgpr27
	s_delay_alu instid0(SALU_CYCLE_1)
	s_xor_b32 exec_lo, exec_lo, s26
	s_cbranch_execnz .LBB166_779
.LBB166_672:
	s_or_b32 exec_lo, exec_lo, s26
	v_mov_b32_e32 v6, s27
	s_and_saveexec_b32 s26, s25
.LBB166_673:
	v_lshrrev_b32_e32 v4, 24, v4
	s_delay_alu instid0(VALU_DEP_1)
	v_and_or_b32 v6, 0x80, v4, v5
.LBB166_674:
	s_or_b32 exec_lo, exec_lo, s26
.LBB166_675:
	s_delay_alu instid0(SALU_CYCLE_1)
	s_or_b32 exec_lo, exec_lo, s22
	global_store_b8 v[0:1], v6, off
.LBB166_676:
	s_mov_b32 s22, -1
.LBB166_677:
	s_mov_b32 s25, 0
.LBB166_678:
	s_delay_alu instid0(SALU_CYCLE_1)
	s_and_b32 vcc_lo, exec_lo, s25
	s_cbranch_vccz .LBB166_719
; %bb.679:
	v_cmp_lt_i16_e32 vcc_lo, 22, v3
	s_mov_b32 s25, -1
	s_cbranch_vccz .LBB166_711
; %bb.680:
	v_cmp_gt_i16_e32 vcc_lo, 24, v3
	s_mov_b32 s22, -1
	s_cbranch_vccnz .LBB166_700
; %bb.681:
	v_cmp_lt_i16_e32 vcc_lo, 24, v3
	s_cbranch_vccz .LBB166_689
; %bb.682:
	v_cvt_f32_f16_e32 v4, v2
	v_mov_b32_e32 v6, 0x80
	s_mov_b32 s22, exec_lo
	s_delay_alu instid0(VALU_DEP_2) | instskip(NEXT) | instid1(VALU_DEP_1)
	v_and_b32_e32 v5, 0x7fffffff, v4
	v_cmpx_gt_u32_e32 0x47800000, v5
	s_cbranch_execz .LBB166_688
; %bb.683:
	v_cmp_lt_u32_e32 vcc_lo, 0x37ffffff, v5
	s_mov_b32 s25, 0
                                        ; implicit-def: $vgpr5
	s_and_saveexec_b32 s26, vcc_lo
	s_delay_alu instid0(SALU_CYCLE_1)
	s_xor_b32 s26, exec_lo, s26
	s_cbranch_execz .LBB166_910
; %bb.684:
	v_bfe_u32 v5, v4, 21, 1
	s_mov_b32 s25, exec_lo
	s_delay_alu instid0(VALU_DEP_1) | instskip(NEXT) | instid1(VALU_DEP_1)
	v_add3_u32 v5, v4, v5, 0x88fffff
	v_lshrrev_b32_e32 v5, 21, v5
	s_or_saveexec_b32 s26, s26
                                        ; implicit-def: $sgpr27
	s_delay_alu instid0(SALU_CYCLE_1)
	s_xor_b32 exec_lo, exec_lo, s26
	s_cbranch_execnz .LBB166_911
.LBB166_685:
	s_or_b32 exec_lo, exec_lo, s26
	v_mov_b32_e32 v6, s27
	s_and_saveexec_b32 s26, s25
.LBB166_686:
	v_lshrrev_b32_e32 v4, 24, v4
	s_delay_alu instid0(VALU_DEP_1)
	v_and_or_b32 v6, 0x80, v4, v5
.LBB166_687:
	s_or_b32 exec_lo, exec_lo, s26
.LBB166_688:
	s_delay_alu instid0(SALU_CYCLE_1)
	s_or_b32 exec_lo, exec_lo, s22
	s_mov_b32 s22, 0
	global_store_b8 v[0:1], v6, off
.LBB166_689:
	s_and_b32 vcc_lo, exec_lo, s22
	s_cbranch_vccz .LBB166_699
; %bb.690:
	v_cvt_f32_f16_e32 v4, v2
	s_mov_b32 s22, exec_lo
                                        ; implicit-def: $vgpr5
	s_delay_alu instid0(VALU_DEP_1) | instskip(NEXT) | instid1(VALU_DEP_1)
	v_and_b32_e32 v6, 0x7fffffff, v4
	v_cmpx_gt_u32_e32 0x43f00000, v6
	s_xor_b32 s22, exec_lo, s22
	s_cbranch_execz .LBB166_696
; %bb.691:
	s_mov_b32 s25, exec_lo
                                        ; implicit-def: $vgpr5
	v_cmpx_lt_u32_e32 0x3c7fffff, v6
	s_xor_b32 s25, exec_lo, s25
; %bb.692:
	v_bfe_u32 v5, v4, 20, 1
	s_delay_alu instid0(VALU_DEP_1) | instskip(NEXT) | instid1(VALU_DEP_1)
	v_add3_u32 v5, v4, v5, 0x407ffff
	v_and_b32_e32 v6, 0xff00000, v5
	v_lshrrev_b32_e32 v5, 20, v5
	s_delay_alu instid0(VALU_DEP_2) | instskip(NEXT) | instid1(VALU_DEP_2)
	v_cmp_ne_u32_e32 vcc_lo, 0x7f00000, v6
	v_cndmask_b32_e32 v5, 0x7e, v5, vcc_lo
; %bb.693:
	s_and_not1_saveexec_b32 s25, s25
; %bb.694:
	v_add_f32_e64 v5, 0x46800000, |v4|
; %bb.695:
	s_or_b32 exec_lo, exec_lo, s25
                                        ; implicit-def: $vgpr6
.LBB166_696:
	s_and_not1_saveexec_b32 s22, s22
; %bb.697:
	v_mov_b32_e32 v5, 0x7f
	v_cmp_lt_u32_e32 vcc_lo, 0x7f800000, v6
	s_delay_alu instid0(VALU_DEP_2)
	v_cndmask_b32_e32 v5, 0x7e, v5, vcc_lo
; %bb.698:
	s_or_b32 exec_lo, exec_lo, s22
	v_lshrrev_b32_e32 v4, 24, v4
	s_delay_alu instid0(VALU_DEP_1)
	v_and_or_b32 v4, 0x80, v4, v5
	global_store_b8 v[0:1], v4, off
.LBB166_699:
	s_mov_b32 s22, 0
.LBB166_700:
	s_delay_alu instid0(SALU_CYCLE_1)
	s_and_not1_b32 vcc_lo, exec_lo, s22
	s_cbranch_vccnz .LBB166_710
; %bb.701:
	v_cvt_f32_f16_e32 v4, v2
	s_mov_b32 s22, exec_lo
                                        ; implicit-def: $vgpr5
	s_delay_alu instid0(VALU_DEP_1) | instskip(NEXT) | instid1(VALU_DEP_1)
	v_and_b32_e32 v6, 0x7fffffff, v4
	v_cmpx_gt_u32_e32 0x47800000, v6
	s_xor_b32 s22, exec_lo, s22
	s_cbranch_execz .LBB166_707
; %bb.702:
	s_mov_b32 s25, exec_lo
                                        ; implicit-def: $vgpr5
	v_cmpx_lt_u32_e32 0x387fffff, v6
	s_xor_b32 s25, exec_lo, s25
; %bb.703:
	v_bfe_u32 v5, v4, 21, 1
	s_delay_alu instid0(VALU_DEP_1) | instskip(NEXT) | instid1(VALU_DEP_1)
	v_add3_u32 v5, v4, v5, 0x80fffff
	v_lshrrev_b32_e32 v5, 21, v5
; %bb.704:
	s_and_not1_saveexec_b32 s25, s25
; %bb.705:
	v_add_f32_e64 v5, 0x43000000, |v4|
; %bb.706:
	s_or_b32 exec_lo, exec_lo, s25
                                        ; implicit-def: $vgpr6
.LBB166_707:
	s_and_not1_saveexec_b32 s22, s22
; %bb.708:
	v_mov_b32_e32 v5, 0x7f
	v_cmp_lt_u32_e32 vcc_lo, 0x7f800000, v6
	s_delay_alu instid0(VALU_DEP_2)
	v_cndmask_b32_e32 v5, 0x7c, v5, vcc_lo
; %bb.709:
	s_or_b32 exec_lo, exec_lo, s22
	v_lshrrev_b32_e32 v4, 24, v4
	s_delay_alu instid0(VALU_DEP_1)
	v_and_or_b32 v4, 0x80, v4, v5
	global_store_b8 v[0:1], v4, off
.LBB166_710:
	s_mov_b32 s25, 0
	s_mov_b32 s22, -1
.LBB166_711:
	s_and_not1_b32 vcc_lo, exec_lo, s25
	s_cbranch_vccnz .LBB166_719
; %bb.712:
	v_cmp_lt_i16_e32 vcc_lo, 14, v3
	s_mov_b32 s25, -1
	s_cbranch_vccz .LBB166_716
; %bb.713:
	v_cmp_eq_u16_e32 vcc_lo, 15, v3
	s_mov_b32 s0, -1
	s_cbranch_vccz .LBB166_715
; %bb.714:
	v_cvt_f32_f16_e32 v4, v2
	v_cmp_o_f16_e32 vcc_lo, v2, v2
	s_mov_b32 s22, -1
	s_mov_b32 s0, 0
	s_delay_alu instid0(VALU_DEP_2) | instskip(NEXT) | instid1(VALU_DEP_1)
	v_bfe_u32 v5, v4, 16, 1
	v_add3_u32 v4, v4, v5, 0x7fff
	s_delay_alu instid0(VALU_DEP_1) | instskip(NEXT) | instid1(VALU_DEP_1)
	v_lshrrev_b32_e32 v4, 16, v4
	v_cndmask_b32_e32 v4, 0x7fc0, v4, vcc_lo
	global_store_b16 v[0:1], v4, off
.LBB166_715:
	s_mov_b32 s25, 0
.LBB166_716:
	s_delay_alu instid0(SALU_CYCLE_1)
	s_and_b32 vcc_lo, exec_lo, s25
	s_cbranch_vccz .LBB166_719
; %bb.717:
	v_cmp_eq_u16_e32 vcc_lo, 11, v3
	s_mov_b32 s0, -1
	s_cbranch_vccz .LBB166_719
; %bb.718:
	v_cmp_neq_f16_e32 vcc_lo, 0, v2
	s_mov_b32 s0, 0
	s_mov_b32 s22, -1
	v_cndmask_b32_e64 v4, 0, 1, vcc_lo
	global_store_b8 v[0:1], v4, off
.LBB166_719:
	s_mov_b32 s25, 0
.LBB166_720:
	s_delay_alu instid0(SALU_CYCLE_1)
	s_and_b32 vcc_lo, exec_lo, s25
	s_cbranch_vccz .LBB166_759
; %bb.721:
	v_cmp_gt_i16_e32 vcc_lo, 5, v3
	s_mov_b32 s22, -1
	s_cbranch_vccnz .LBB166_742
; %bb.722:
	v_cmp_gt_i16_e32 vcc_lo, 8, v3
	s_cbranch_vccnz .LBB166_732
; %bb.723:
	v_cmp_gt_i16_e32 vcc_lo, 9, v3
	s_cbranch_vccnz .LBB166_729
; %bb.724:
	v_cmp_lt_i16_e32 vcc_lo, 9, v3
	s_cbranch_vccz .LBB166_726
; %bb.725:
	v_cvt_f32_f16_e32 v4, v2
	v_mov_b32_e32 v10, 0
	s_mov_b32 s22, 0
	s_delay_alu instid0(VALU_DEP_2) | instskip(NEXT) | instid1(VALU_DEP_2)
	v_cvt_f64_f32_e32 v[8:9], v4
	v_mov_b32_e32 v11, v10
	global_store_b128 v[0:1], v[8:11], off
.LBB166_726:
	s_and_not1_b32 vcc_lo, exec_lo, s22
	s_cbranch_vccnz .LBB166_728
; %bb.727:
	v_cvt_f32_f16_e32 v4, v2
	v_mov_b32_e32 v5, 0
	global_store_b64 v[0:1], v[4:5], off
.LBB166_728:
	s_mov_b32 s22, 0
.LBB166_729:
	s_delay_alu instid0(SALU_CYCLE_1)
	s_and_not1_b32 vcc_lo, exec_lo, s22
	s_cbranch_vccnz .LBB166_731
; %bb.730:
	v_and_b32_e32 v4, 0xffff, v2
	global_store_b32 v[0:1], v4, off
.LBB166_731:
	s_mov_b32 s22, 0
.LBB166_732:
	s_delay_alu instid0(SALU_CYCLE_1)
	s_and_not1_b32 vcc_lo, exec_lo, s22
	s_cbranch_vccnz .LBB166_741
; %bb.733:
	v_cmp_gt_i16_e32 vcc_lo, 6, v3
	s_mov_b32 s22, -1
	s_cbranch_vccnz .LBB166_739
; %bb.734:
	v_cmp_lt_i16_e32 vcc_lo, 6, v3
	s_cbranch_vccz .LBB166_736
; %bb.735:
	v_cvt_f32_f16_e32 v4, v2
	s_mov_b32 s22, 0
	s_delay_alu instid0(VALU_DEP_1)
	v_cvt_f64_f32_e32 v[4:5], v4
	global_store_b64 v[0:1], v[4:5], off
.LBB166_736:
	s_and_not1_b32 vcc_lo, exec_lo, s22
	s_cbranch_vccnz .LBB166_738
; %bb.737:
	v_cvt_f32_f16_e32 v4, v2
	global_store_b32 v[0:1], v4, off
.LBB166_738:
	s_mov_b32 s22, 0
.LBB166_739:
	s_delay_alu instid0(SALU_CYCLE_1)
	s_and_not1_b32 vcc_lo, exec_lo, s22
	s_cbranch_vccnz .LBB166_741
; %bb.740:
	global_store_b16 v[0:1], v2, off
.LBB166_741:
	s_mov_b32 s22, 0
.LBB166_742:
	s_delay_alu instid0(SALU_CYCLE_1)
	s_and_not1_b32 vcc_lo, exec_lo, s22
	s_cbranch_vccnz .LBB166_758
; %bb.743:
	v_cmp_gt_i16_e32 vcc_lo, 2, v3
	s_mov_b32 s22, -1
	s_cbranch_vccnz .LBB166_753
; %bb.744:
	v_cmp_gt_i16_e32 vcc_lo, 3, v3
	s_cbranch_vccnz .LBB166_750
; %bb.745:
	v_cmp_lt_i16_e32 vcc_lo, 3, v3
	s_cbranch_vccz .LBB166_747
; %bb.746:
	v_cvt_f32_f16_e32 v4, v2
	s_mov_b32 s22, 0
	s_delay_alu instid0(VALU_DEP_1) | instskip(NEXT) | instid1(VALU_DEP_1)
	v_cvt_i32_f32_e32 v4, v4
	v_ashrrev_i32_e32 v5, 31, v4
	global_store_b64 v[0:1], v[4:5], off
.LBB166_747:
	s_and_not1_b32 vcc_lo, exec_lo, s22
	s_cbranch_vccnz .LBB166_749
; %bb.748:
	v_cvt_f32_f16_e32 v4, v2
	s_delay_alu instid0(VALU_DEP_1)
	v_cvt_i32_f32_e32 v4, v4
	global_store_b32 v[0:1], v4, off
.LBB166_749:
	s_mov_b32 s22, 0
.LBB166_750:
	s_delay_alu instid0(SALU_CYCLE_1)
	s_and_not1_b32 vcc_lo, exec_lo, s22
	s_cbranch_vccnz .LBB166_752
; %bb.751:
	v_cvt_i16_f16_e32 v4, v2
	global_store_b16 v[0:1], v4, off
.LBB166_752:
	s_mov_b32 s22, 0
.LBB166_753:
	s_delay_alu instid0(SALU_CYCLE_1)
	s_and_not1_b32 vcc_lo, exec_lo, s22
	s_cbranch_vccnz .LBB166_758
; %bb.754:
	v_cmp_lt_i16_e32 vcc_lo, 0, v3
	s_mov_b32 s22, -1
	s_cbranch_vccz .LBB166_756
; %bb.755:
	v_cvt_i16_f16_e32 v3, v2
	s_mov_b32 s22, 0
	global_store_b8 v[0:1], v3, off
.LBB166_756:
	s_and_not1_b32 vcc_lo, exec_lo, s22
	s_cbranch_vccnz .LBB166_758
; %bb.757:
	v_cvt_f32_f16_e32 v2, v2
	s_delay_alu instid0(VALU_DEP_1)
	v_cvt_i32_f32_e32 v2, v2
	global_store_b8 v[0:1], v2, off
.LBB166_758:
	s_mov_b32 s22, -1
.LBB166_759:
	s_delay_alu instid0(SALU_CYCLE_1)
	s_and_not1_b32 vcc_lo, exec_lo, s22
	s_cbranch_vccnz .LBB166_761
; %bb.760:
	v_add_nc_u32_e32 v7, 0x80, v7
	s_mov_b32 s25, -1
	s_branch .LBB166_763
.LBB166_761:
	s_mov_b32 s25, 0
.LBB166_762:
                                        ; implicit-def: $vgpr7
.LBB166_763:
	s_and_not1_b32 s22, s16, exec_lo
	s_and_b32 s0, s0, exec_lo
	s_and_b32 s23, s23, exec_lo
	s_or_b32 s22, s22, s0
	s_and_not1_b32 s0, s18, exec_lo
	s_and_not1_b32 s26, s19, exec_lo
	s_and_b32 s21, s21, exec_lo
	s_or_b32 s23, s0, s23
	s_or_b32 s21, s26, s21
	s_or_not1_b32 s26, s25, exec_lo
.LBB166_764:
	s_or_b32 exec_lo, exec_lo, s24
	s_mov_b32 s25, 0
	s_mov_b32 s27, 0
	;; [unrolled: 1-line block ×3, first 2 shown]
                                        ; implicit-def: $vgpr2
                                        ; implicit-def: $vgpr0_vgpr1
                                        ; implicit-def: $vgpr4
	s_and_saveexec_b32 s24, s26
	s_cbranch_execz .LBB166_1235
; %bb.765:
	s_mov_b32 s31, -1
	s_mov_b32 s26, s21
	s_mov_b32 s27, s23
	;; [unrolled: 1-line block ×3, first 2 shown]
	s_mov_b32 s25, exec_lo
	v_cmpx_gt_i32_e64 s17, v7
	s_cbranch_execz .LBB166_1151
; %bb.766:
	v_mul_lo_u32 v0, v7, s9
	s_waitcnt vmcnt(0)
	v_and_b32_e64 v2, 0xff, s14
	s_delay_alu instid0(VALU_DEP_1) | instskip(NEXT) | instid1(VALU_DEP_3)
	v_cmp_gt_i16_e32 vcc_lo, 11, v2
	v_ashrrev_i32_e32 v1, 31, v0
	v_add_co_u32 v0, s0, s6, v0
	s_delay_alu instid0(VALU_DEP_1)
	v_add_co_ci_u32_e64 v1, s0, s7, v1, s0
	s_cbranch_vccnz .LBB166_773
; %bb.767:
	v_cmp_lt_i16_e32 vcc_lo, 25, v2
	s_cbranch_vccz .LBB166_774
; %bb.768:
	v_cmp_lt_i16_e32 vcc_lo, 28, v2
	s_cbranch_vccz .LBB166_775
	;; [unrolled: 3-line block ×4, first 2 shown]
; %bb.771:
	v_cmp_eq_u16_e32 vcc_lo, 46, v2
	s_mov_b32 s27, 0
	s_cbranch_vccz .LBB166_780
; %bb.772:
	global_load_b32 v3, v[0:1], off
	s_mov_b32 s0, -1
	s_mov_b32 s26, 0
	s_waitcnt vmcnt(0)
	v_lshlrev_b32_e32 v3, 16, v3
	s_delay_alu instid0(VALU_DEP_1)
	v_cvt_f16_f32_e32 v4, v3
	s_branch .LBB166_782
.LBB166_773:
	s_mov_b32 s27, -1
	s_mov_b32 s0, 0
	s_mov_b32 s26, s21
                                        ; implicit-def: $vgpr4
	s_branch .LBB166_847
.LBB166_774:
	s_mov_b32 s27, -1
	s_mov_b32 s0, 0
	s_mov_b32 s26, s21
                                        ; implicit-def: $vgpr4
	s_branch .LBB166_811
.LBB166_775:
	s_mov_b32 s27, -1
	s_mov_b32 s0, 0
	s_mov_b32 s26, s21
                                        ; implicit-def: $vgpr4
	s_branch .LBB166_792
.LBB166_776:
	s_mov_b32 s27, -1
	s_mov_b32 s0, 0
	s_mov_b32 s26, s21
                                        ; implicit-def: $vgpr4
	s_branch .LBB166_787
.LBB166_777:
	s_mov_b32 s27, -1
	s_mov_b32 s0, 0
	s_mov_b32 s26, s21
	s_branch .LBB166_781
.LBB166_778:
	s_or_saveexec_b32 s26, s26
                                        ; implicit-def: $sgpr27
	s_delay_alu instid0(SALU_CYCLE_1)
	s_xor_b32 exec_lo, exec_lo, s26
	s_cbranch_execz .LBB166_672
.LBB166_779:
	v_add_f32_e64 v5, 0x46000000, |v4|
	s_and_not1_b32 s25, s25, exec_lo
	s_mov_b32 s27, 0
	s_delay_alu instid0(VALU_DEP_1) | instskip(NEXT) | instid1(VALU_DEP_1)
	v_and_b32_e32 v5, 0xff, v5
	v_cmp_ne_u32_e32 vcc_lo, 0, v5
	s_and_b32 s28, vcc_lo, exec_lo
	s_delay_alu instid0(SALU_CYCLE_1)
	s_or_b32 s25, s25, s28
	s_or_b32 exec_lo, exec_lo, s26
	v_mov_b32_e32 v6, s27
	s_and_saveexec_b32 s26, s25
	s_cbranch_execnz .LBB166_673
	s_branch .LBB166_674
.LBB166_780:
	s_mov_b32 s26, -1
	s_mov_b32 s0, 0
.LBB166_781:
                                        ; implicit-def: $vgpr4
.LBB166_782:
	s_and_b32 vcc_lo, exec_lo, s27
	s_cbranch_vccz .LBB166_786
; %bb.783:
	v_cmp_eq_u16_e32 vcc_lo, 44, v2
	s_cbranch_vccz .LBB166_785
; %bb.784:
	global_load_u8 v3, v[0:1], off
	s_mov_b32 s26, 0
	s_mov_b32 s0, -1
	s_waitcnt vmcnt(0)
	v_lshlrev_b32_e32 v4, 23, v3
	v_cmp_ne_u32_e32 vcc_lo, 0xff, v3
	s_delay_alu instid0(VALU_DEP_2) | instskip(NEXT) | instid1(VALU_DEP_1)
	v_cvt_f16_f32_e32 v4, v4
	v_cndmask_b32_e32 v4, 0x7e00, v4, vcc_lo
	v_cmp_ne_u32_e32 vcc_lo, 0, v3
	s_delay_alu instid0(VALU_DEP_2)
	v_cndmask_b32_e32 v4, 0, v4, vcc_lo
	s_branch .LBB166_786
.LBB166_785:
	s_mov_b32 s26, -1
                                        ; implicit-def: $vgpr4
.LBB166_786:
	s_mov_b32 s27, 0
.LBB166_787:
	s_delay_alu instid0(SALU_CYCLE_1)
	s_and_b32 vcc_lo, exec_lo, s27
	s_cbranch_vccz .LBB166_791
; %bb.788:
	v_cmp_eq_u16_e32 vcc_lo, 29, v2
	s_cbranch_vccz .LBB166_790
; %bb.789:
	global_load_b64 v[3:4], v[0:1], off
	s_mov_b32 s0, -1
	s_mov_b32 s26, 0
	s_mov_b32 s27, 0
	s_waitcnt vmcnt(0)
	v_clz_i32_u32_e32 v5, v4
	s_delay_alu instid0(VALU_DEP_1) | instskip(NEXT) | instid1(VALU_DEP_1)
	v_min_u32_e32 v5, 32, v5
	v_lshlrev_b64 v[3:4], v5, v[3:4]
	s_delay_alu instid0(VALU_DEP_1) | instskip(NEXT) | instid1(VALU_DEP_1)
	v_min_u32_e32 v3, 1, v3
	v_or_b32_e32 v3, v4, v3
	v_sub_nc_u32_e32 v4, 32, v5
	s_delay_alu instid0(VALU_DEP_2) | instskip(NEXT) | instid1(VALU_DEP_1)
	v_cvt_f32_u32_e32 v3, v3
	v_ldexp_f32 v3, v3, v4
	s_delay_alu instid0(VALU_DEP_1)
	v_cvt_f16_f32_e32 v4, v3
	s_branch .LBB166_792
.LBB166_790:
	s_mov_b32 s26, -1
                                        ; implicit-def: $vgpr4
.LBB166_791:
	s_mov_b32 s27, 0
.LBB166_792:
	s_delay_alu instid0(SALU_CYCLE_1)
	s_and_b32 vcc_lo, exec_lo, s27
	s_cbranch_vccz .LBB166_810
; %bb.793:
	v_cmp_gt_i16_e32 vcc_lo, 27, v2
	s_cbranch_vccnz .LBB166_796
; %bb.794:
	v_cmp_lt_i16_e32 vcc_lo, 27, v2
	s_cbranch_vccz .LBB166_797
; %bb.795:
	global_load_b32 v3, v[0:1], off
	s_mov_b32 s0, 0
	s_waitcnt vmcnt(0)
	v_cvt_f32_u32_e32 v3, v3
	s_delay_alu instid0(VALU_DEP_1)
	v_cvt_f16_f32_e32 v4, v3
	s_branch .LBB166_798
.LBB166_796:
	s_mov_b32 s0, -1
                                        ; implicit-def: $vgpr4
	s_branch .LBB166_801
.LBB166_797:
	s_mov_b32 s0, -1
                                        ; implicit-def: $vgpr4
.LBB166_798:
	s_delay_alu instid0(SALU_CYCLE_1)
	s_and_not1_b32 vcc_lo, exec_lo, s0
	s_cbranch_vccnz .LBB166_800
; %bb.799:
	global_load_u16 v3, v[0:1], off
	s_waitcnt vmcnt(0)
	v_cvt_f16_u16_e32 v4, v3
.LBB166_800:
	s_mov_b32 s0, 0
.LBB166_801:
	s_delay_alu instid0(SALU_CYCLE_1)
	s_and_not1_b32 vcc_lo, exec_lo, s0
	s_cbranch_vccnz .LBB166_809
; %bb.802:
	global_load_u8 v3, v[0:1], off
	s_mov_b32 s0, 0
	s_mov_b32 s28, exec_lo
                                        ; implicit-def: $sgpr27
	s_waitcnt vmcnt(0)
	v_cmpx_lt_i16_e32 0x7f, v3
	s_xor_b32 s28, exec_lo, s28
	s_cbranch_execz .LBB166_823
; %bb.803:
	s_mov_b32 s0, -1
	s_mov_b32 s29, exec_lo
                                        ; implicit-def: $sgpr27
	v_cmpx_eq_u16_e32 0x80, v3
; %bb.804:
	s_movk_i32 s27, 0x7e00
	s_xor_b32 s0, exec_lo, -1
; %bb.805:
	s_or_b32 exec_lo, exec_lo, s29
	s_delay_alu instid0(SALU_CYCLE_1)
	s_and_b32 s0, s0, exec_lo
	s_or_saveexec_b32 s28, s28
	v_mov_b32_e32 v4, s27
	s_xor_b32 exec_lo, exec_lo, s28
	s_cbranch_execnz .LBB166_824
.LBB166_806:
	s_or_b32 exec_lo, exec_lo, s28
	s_and_saveexec_b32 s27, s0
	s_cbranch_execz .LBB166_808
.LBB166_807:
	v_and_b32_e32 v4, 0xffff, v3
	v_lshlrev_b32_e32 v3, 24, v3
	s_delay_alu instid0(VALU_DEP_2) | instskip(NEXT) | instid1(VALU_DEP_2)
	v_and_b32_e32 v5, 7, v4
	v_and_b32_e32 v3, 0x80000000, v3
	s_delay_alu instid0(VALU_DEP_2) | instskip(NEXT) | instid1(VALU_DEP_1)
	v_clz_i32_u32_e32 v6, v5
	v_min_u32_e32 v6, 32, v6
	s_delay_alu instid0(VALU_DEP_1) | instskip(SKIP_1) | instid1(VALU_DEP_2)
	v_subrev_nc_u32_e32 v8, 28, v6
	v_sub_nc_u32_e32 v6, 29, v6
	v_lshlrev_b32_e32 v8, v8, v4
	v_bfe_u32 v4, v4, 3, 4
	s_delay_alu instid0(VALU_DEP_2) | instskip(NEXT) | instid1(VALU_DEP_2)
	v_and_b32_e32 v8, 7, v8
	v_cmp_eq_u32_e32 vcc_lo, 0, v4
	s_delay_alu instid0(VALU_DEP_2) | instskip(NEXT) | instid1(VALU_DEP_1)
	v_dual_cndmask_b32 v4, v4, v6 :: v_dual_cndmask_b32 v5, v5, v8
	v_lshl_add_u32 v4, v4, 23, 0x3b800000
	s_delay_alu instid0(VALU_DEP_2) | instskip(NEXT) | instid1(VALU_DEP_1)
	v_lshlrev_b32_e32 v5, 20, v5
	v_or3_b32 v3, v3, v4, v5
	s_delay_alu instid0(VALU_DEP_1)
	v_cvt_f16_f32_e32 v4, v3
.LBB166_808:
	s_or_b32 exec_lo, exec_lo, s27
.LBB166_809:
	s_mov_b32 s0, -1
.LBB166_810:
	s_mov_b32 s27, 0
.LBB166_811:
	s_delay_alu instid0(SALU_CYCLE_1)
	s_and_b32 vcc_lo, exec_lo, s27
	s_cbranch_vccz .LBB166_846
; %bb.812:
	v_cmp_lt_i16_e32 vcc_lo, 22, v2
	s_cbranch_vccz .LBB166_822
; %bb.813:
	v_cmp_gt_i16_e32 vcc_lo, 24, v2
	s_cbranch_vccnz .LBB166_825
; %bb.814:
	v_cmp_lt_i16_e32 vcc_lo, 24, v2
	s_cbranch_vccz .LBB166_826
; %bb.815:
	global_load_u8 v3, v[0:1], off
	s_mov_b32 s0, 0
	s_mov_b32 s28, exec_lo
                                        ; implicit-def: $sgpr27
	s_waitcnt vmcnt(0)
	v_cmpx_lt_i16_e32 0x7f, v3
	s_xor_b32 s28, exec_lo, s28
	s_cbranch_execz .LBB166_838
; %bb.816:
	s_mov_b32 s0, -1
	s_mov_b32 s29, exec_lo
                                        ; implicit-def: $sgpr27
	v_cmpx_eq_u16_e32 0x80, v3
; %bb.817:
	s_movk_i32 s27, 0x7e00
	s_xor_b32 s0, exec_lo, -1
; %bb.818:
	s_or_b32 exec_lo, exec_lo, s29
	s_delay_alu instid0(SALU_CYCLE_1)
	s_and_b32 s0, s0, exec_lo
	s_or_saveexec_b32 s28, s28
	v_mov_b32_e32 v4, s27
	s_xor_b32 exec_lo, exec_lo, s28
	s_cbranch_execnz .LBB166_839
.LBB166_819:
	s_or_b32 exec_lo, exec_lo, s28
	s_and_saveexec_b32 s27, s0
	s_cbranch_execz .LBB166_821
.LBB166_820:
	v_and_b32_e32 v4, 0xffff, v3
	v_lshlrev_b32_e32 v3, 24, v3
	s_delay_alu instid0(VALU_DEP_2) | instskip(NEXT) | instid1(VALU_DEP_2)
	v_and_b32_e32 v5, 3, v4
	v_and_b32_e32 v3, 0x80000000, v3
	s_delay_alu instid0(VALU_DEP_2) | instskip(NEXT) | instid1(VALU_DEP_1)
	v_clz_i32_u32_e32 v6, v5
	v_min_u32_e32 v6, 32, v6
	s_delay_alu instid0(VALU_DEP_1) | instskip(SKIP_1) | instid1(VALU_DEP_2)
	v_subrev_nc_u32_e32 v8, 29, v6
	v_sub_nc_u32_e32 v6, 30, v6
	v_lshlrev_b32_e32 v8, v8, v4
	v_bfe_u32 v4, v4, 2, 5
	s_delay_alu instid0(VALU_DEP_2) | instskip(NEXT) | instid1(VALU_DEP_2)
	v_and_b32_e32 v8, 3, v8
	v_cmp_eq_u32_e32 vcc_lo, 0, v4
	s_delay_alu instid0(VALU_DEP_2) | instskip(NEXT) | instid1(VALU_DEP_1)
	v_dual_cndmask_b32 v4, v4, v6 :: v_dual_cndmask_b32 v5, v5, v8
	v_lshl_add_u32 v4, v4, 23, 0x37800000
	s_delay_alu instid0(VALU_DEP_2) | instskip(NEXT) | instid1(VALU_DEP_1)
	v_lshlrev_b32_e32 v5, 21, v5
	v_or3_b32 v3, v3, v4, v5
	s_delay_alu instid0(VALU_DEP_1)
	v_cvt_f16_f32_e32 v4, v3
.LBB166_821:
	s_or_b32 exec_lo, exec_lo, s27
	s_mov_b32 s0, 0
	s_branch .LBB166_827
.LBB166_822:
	s_mov_b32 s27, -1
                                        ; implicit-def: $vgpr4
	s_branch .LBB166_833
.LBB166_823:
	s_or_saveexec_b32 s28, s28
	v_mov_b32_e32 v4, s27
	s_xor_b32 exec_lo, exec_lo, s28
	s_cbranch_execz .LBB166_806
.LBB166_824:
	v_cmp_ne_u16_e32 vcc_lo, 0, v3
	v_mov_b32_e32 v4, v3
	s_and_not1_b32 s0, s0, exec_lo
	s_and_b32 s27, vcc_lo, exec_lo
	s_delay_alu instid0(SALU_CYCLE_1)
	s_or_b32 s0, s0, s27
	s_or_b32 exec_lo, exec_lo, s28
	s_and_saveexec_b32 s27, s0
	s_cbranch_execnz .LBB166_807
	s_branch .LBB166_808
.LBB166_825:
	s_mov_b32 s0, -1
                                        ; implicit-def: $vgpr4
	s_branch .LBB166_830
.LBB166_826:
	s_mov_b32 s0, -1
                                        ; implicit-def: $vgpr4
.LBB166_827:
	s_delay_alu instid0(SALU_CYCLE_1)
	s_and_b32 vcc_lo, exec_lo, s0
	s_cbranch_vccz .LBB166_829
; %bb.828:
	global_load_u8 v3, v[0:1], off
	s_waitcnt vmcnt(0)
	v_lshlrev_b32_e32 v3, 24, v3
	s_delay_alu instid0(VALU_DEP_1) | instskip(NEXT) | instid1(VALU_DEP_1)
	v_and_b32_e32 v4, 0x7f000000, v3
	v_clz_i32_u32_e32 v5, v4
	v_add_nc_u32_e32 v8, 0x1000000, v4
	v_cmp_ne_u32_e32 vcc_lo, 0, v4
	s_delay_alu instid0(VALU_DEP_3) | instskip(NEXT) | instid1(VALU_DEP_1)
	v_min_u32_e32 v5, 32, v5
	v_sub_nc_u32_e64 v5, v5, 4 clamp
	s_delay_alu instid0(VALU_DEP_1) | instskip(SKIP_1) | instid1(VALU_DEP_2)
	v_lshlrev_b32_e32 v6, v5, v4
	v_lshlrev_b32_e32 v5, 23, v5
	v_lshrrev_b32_e32 v6, 4, v6
	s_delay_alu instid0(VALU_DEP_1) | instskip(SKIP_1) | instid1(VALU_DEP_2)
	v_sub_nc_u32_e32 v5, v6, v5
	v_ashrrev_i32_e32 v6, 8, v8
	v_add_nc_u32_e32 v5, 0x3c000000, v5
	s_delay_alu instid0(VALU_DEP_1) | instskip(NEXT) | instid1(VALU_DEP_1)
	v_and_or_b32 v5, 0x7f800000, v6, v5
	v_cndmask_b32_e32 v4, 0, v5, vcc_lo
	s_delay_alu instid0(VALU_DEP_1) | instskip(NEXT) | instid1(VALU_DEP_1)
	v_and_or_b32 v3, 0x80000000, v3, v4
	v_cvt_f16_f32_e32 v4, v3
.LBB166_829:
	s_mov_b32 s0, 0
.LBB166_830:
	s_delay_alu instid0(SALU_CYCLE_1)
	s_and_not1_b32 vcc_lo, exec_lo, s0
	s_cbranch_vccnz .LBB166_832
; %bb.831:
	global_load_u8 v3, v[0:1], off
	s_waitcnt vmcnt(0)
	v_lshlrev_b32_e32 v4, 25, v3
	v_lshlrev_b16 v3, 8, v3
	s_delay_alu instid0(VALU_DEP_2) | instskip(NEXT) | instid1(VALU_DEP_2)
	v_lshrrev_b32_e32 v5, 4, v4
	v_and_or_b32 v6, 0x7f00, v3, 0.5
	v_bfe_i32 v3, v3, 0, 16
	s_delay_alu instid0(VALU_DEP_3) | instskip(NEXT) | instid1(VALU_DEP_1)
	v_or_b32_e32 v5, 0x70000000, v5
	v_dual_add_f32 v6, -0.5, v6 :: v_dual_mul_f32 v5, 0x7800000, v5
	v_cmp_gt_u32_e32 vcc_lo, 0x8000000, v4
	s_delay_alu instid0(VALU_DEP_2) | instskip(NEXT) | instid1(VALU_DEP_1)
	v_cndmask_b32_e32 v4, v5, v6, vcc_lo
	v_and_or_b32 v3, 0x80000000, v3, v4
	s_delay_alu instid0(VALU_DEP_1)
	v_cvt_f16_f32_e32 v4, v3
.LBB166_832:
	s_mov_b32 s27, 0
	s_mov_b32 s0, -1
.LBB166_833:
	s_and_not1_b32 vcc_lo, exec_lo, s27
	s_cbranch_vccnz .LBB166_846
; %bb.834:
	v_cmp_lt_i16_e32 vcc_lo, 14, v2
	s_cbranch_vccz .LBB166_837
; %bb.835:
	v_cmp_eq_u16_e32 vcc_lo, 15, v2
	s_cbranch_vccz .LBB166_840
; %bb.836:
	global_load_u16 v3, v[0:1], off
	s_mov_b32 s0, -1
	s_mov_b32 s26, 0
	s_waitcnt vmcnt(0)
	v_lshlrev_b32_e32 v3, 16, v3
	s_delay_alu instid0(VALU_DEP_1)
	v_cvt_f16_f32_e32 v4, v3
	s_branch .LBB166_841
.LBB166_837:
	s_mov_b32 s27, -1
                                        ; implicit-def: $vgpr4
	s_branch .LBB166_842
.LBB166_838:
	s_or_saveexec_b32 s28, s28
	v_mov_b32_e32 v4, s27
	s_xor_b32 exec_lo, exec_lo, s28
	s_cbranch_execz .LBB166_819
.LBB166_839:
	v_cmp_ne_u16_e32 vcc_lo, 0, v3
	v_mov_b32_e32 v4, v3
	s_and_not1_b32 s0, s0, exec_lo
	s_and_b32 s27, vcc_lo, exec_lo
	s_delay_alu instid0(SALU_CYCLE_1)
	s_or_b32 s0, s0, s27
	s_or_b32 exec_lo, exec_lo, s28
	s_and_saveexec_b32 s27, s0
	s_cbranch_execnz .LBB166_820
	s_branch .LBB166_821
.LBB166_840:
	s_mov_b32 s26, -1
                                        ; implicit-def: $vgpr4
.LBB166_841:
	s_mov_b32 s27, 0
.LBB166_842:
	s_delay_alu instid0(SALU_CYCLE_1)
	s_and_b32 vcc_lo, exec_lo, s27
	s_cbranch_vccz .LBB166_846
; %bb.843:
	v_cmp_eq_u16_e32 vcc_lo, 11, v2
	s_cbranch_vccz .LBB166_845
; %bb.844:
	global_load_u8 v3, v[0:1], off
	s_mov_b32 s26, 0
	s_mov_b32 s0, -1
	s_waitcnt vmcnt(0)
	v_cmp_ne_u16_e32 vcc_lo, 0, v3
	v_cndmask_b32_e64 v4, 0, 0x3c00, vcc_lo
	s_branch .LBB166_846
.LBB166_845:
	s_mov_b32 s26, -1
                                        ; implicit-def: $vgpr4
.LBB166_846:
	s_mov_b32 s27, 0
.LBB166_847:
	s_delay_alu instid0(SALU_CYCLE_1)
	s_and_b32 vcc_lo, exec_lo, s27
	s_cbranch_vccz .LBB166_896
; %bb.848:
	v_cmp_gt_i16_e32 vcc_lo, 5, v2
	s_cbranch_vccnz .LBB166_853
; %bb.849:
	v_cmp_gt_i16_e32 vcc_lo, 8, v2
	s_cbranch_vccnz .LBB166_854
	;; [unrolled: 3-line block ×3, first 2 shown]
; %bb.851:
	v_cmp_lt_i16_e32 vcc_lo, 9, v2
	s_cbranch_vccz .LBB166_856
; %bb.852:
	global_load_b64 v[3:4], v[0:1], off
	s_mov_b32 s0, 0
	s_waitcnt vmcnt(0)
	v_cvt_f32_f64_e32 v3, v[3:4]
	s_delay_alu instid0(VALU_DEP_1)
	v_cvt_f16_f32_e32 v4, v3
	s_branch .LBB166_857
.LBB166_853:
	s_mov_b32 s0, -1
                                        ; implicit-def: $vgpr4
	s_branch .LBB166_875
.LBB166_854:
	s_mov_b32 s0, -1
                                        ; implicit-def: $vgpr4
	s_branch .LBB166_863
.LBB166_855:
	s_mov_b32 s0, -1
                                        ; implicit-def: $vgpr4
	s_branch .LBB166_860
.LBB166_856:
	s_mov_b32 s0, -1
                                        ; implicit-def: $vgpr4
.LBB166_857:
	s_delay_alu instid0(SALU_CYCLE_1)
	s_and_not1_b32 vcc_lo, exec_lo, s0
	s_cbranch_vccnz .LBB166_859
; %bb.858:
	global_load_b32 v3, v[0:1], off
	s_waitcnt vmcnt(0)
	v_cvt_f16_f32_e32 v4, v3
.LBB166_859:
	s_mov_b32 s0, 0
.LBB166_860:
	s_delay_alu instid0(SALU_CYCLE_1)
	s_and_not1_b32 vcc_lo, exec_lo, s0
	s_cbranch_vccnz .LBB166_862
; %bb.861:
	global_load_b32 v4, v[0:1], off
.LBB166_862:
	s_mov_b32 s0, 0
.LBB166_863:
	s_delay_alu instid0(SALU_CYCLE_1)
	s_and_not1_b32 vcc_lo, exec_lo, s0
	s_cbranch_vccnz .LBB166_874
; %bb.864:
	v_cmp_gt_i16_e32 vcc_lo, 6, v2
	s_cbranch_vccnz .LBB166_867
; %bb.865:
	v_cmp_lt_i16_e32 vcc_lo, 6, v2
	s_cbranch_vccz .LBB166_868
; %bb.866:
	global_load_b64 v[3:4], v[0:1], off
	s_mov_b32 s0, 0
	s_waitcnt vmcnt(0)
	v_cvt_f32_f64_e32 v3, v[3:4]
	s_delay_alu instid0(VALU_DEP_1)
	v_cvt_f16_f32_e32 v4, v3
	s_branch .LBB166_869
.LBB166_867:
	s_mov_b32 s0, -1
                                        ; implicit-def: $vgpr4
	s_branch .LBB166_872
.LBB166_868:
	s_mov_b32 s0, -1
                                        ; implicit-def: $vgpr4
.LBB166_869:
	s_delay_alu instid0(SALU_CYCLE_1)
	s_and_not1_b32 vcc_lo, exec_lo, s0
	s_cbranch_vccnz .LBB166_871
; %bb.870:
	global_load_b32 v3, v[0:1], off
	s_waitcnt vmcnt(0)
	v_cvt_f16_f32_e32 v4, v3
.LBB166_871:
	s_mov_b32 s0, 0
.LBB166_872:
	s_delay_alu instid0(SALU_CYCLE_1)
	s_and_not1_b32 vcc_lo, exec_lo, s0
	s_cbranch_vccnz .LBB166_874
; %bb.873:
	global_load_u16 v4, v[0:1], off
.LBB166_874:
	s_mov_b32 s0, 0
.LBB166_875:
	s_delay_alu instid0(SALU_CYCLE_1)
	s_and_not1_b32 vcc_lo, exec_lo, s0
	s_cbranch_vccnz .LBB166_895
; %bb.876:
	v_cmp_gt_i16_e32 vcc_lo, 2, v2
	s_cbranch_vccnz .LBB166_880
; %bb.877:
	v_cmp_gt_i16_e32 vcc_lo, 3, v2
	s_cbranch_vccnz .LBB166_881
; %bb.878:
	v_cmp_lt_i16_e32 vcc_lo, 3, v2
	s_cbranch_vccz .LBB166_882
; %bb.879:
	global_load_b64 v[3:4], v[0:1], off
	s_mov_b32 s0, 0
	s_waitcnt vmcnt(0)
	v_xor_b32_e32 v5, v3, v4
	v_cls_i32_e32 v6, v4
	s_delay_alu instid0(VALU_DEP_2) | instskip(NEXT) | instid1(VALU_DEP_2)
	v_ashrrev_i32_e32 v5, 31, v5
	v_add_nc_u32_e32 v6, -1, v6
	s_delay_alu instid0(VALU_DEP_2) | instskip(NEXT) | instid1(VALU_DEP_1)
	v_add_nc_u32_e32 v5, 32, v5
	v_min_u32_e32 v5, v6, v5
	s_delay_alu instid0(VALU_DEP_1) | instskip(NEXT) | instid1(VALU_DEP_1)
	v_lshlrev_b64 v[3:4], v5, v[3:4]
	v_min_u32_e32 v3, 1, v3
	s_delay_alu instid0(VALU_DEP_1) | instskip(SKIP_1) | instid1(VALU_DEP_2)
	v_or_b32_e32 v3, v4, v3
	v_sub_nc_u32_e32 v4, 32, v5
	v_cvt_f32_i32_e32 v3, v3
	s_delay_alu instid0(VALU_DEP_1) | instskip(NEXT) | instid1(VALU_DEP_1)
	v_ldexp_f32 v3, v3, v4
	v_cvt_f16_f32_e32 v4, v3
	s_branch .LBB166_883
.LBB166_880:
	s_mov_b32 s0, -1
                                        ; implicit-def: $vgpr4
	s_branch .LBB166_889
.LBB166_881:
	s_mov_b32 s0, -1
                                        ; implicit-def: $vgpr4
	s_branch .LBB166_886
.LBB166_882:
	s_mov_b32 s0, -1
                                        ; implicit-def: $vgpr4
.LBB166_883:
	s_delay_alu instid0(SALU_CYCLE_1)
	s_and_not1_b32 vcc_lo, exec_lo, s0
	s_cbranch_vccnz .LBB166_885
; %bb.884:
	global_load_b32 v3, v[0:1], off
	s_waitcnt vmcnt(0)
	v_cvt_f32_i32_e32 v3, v3
	s_delay_alu instid0(VALU_DEP_1)
	v_cvt_f16_f32_e32 v4, v3
.LBB166_885:
	s_mov_b32 s0, 0
.LBB166_886:
	s_delay_alu instid0(SALU_CYCLE_1)
	s_and_not1_b32 vcc_lo, exec_lo, s0
	s_cbranch_vccnz .LBB166_888
; %bb.887:
	global_load_u16 v3, v[0:1], off
	s_waitcnt vmcnt(0)
	v_cvt_f16_i16_e32 v4, v3
.LBB166_888:
	s_mov_b32 s0, 0
.LBB166_889:
	s_delay_alu instid0(SALU_CYCLE_1)
	s_and_not1_b32 vcc_lo, exec_lo, s0
	s_cbranch_vccnz .LBB166_895
; %bb.890:
	v_cmp_lt_i16_e32 vcc_lo, 0, v2
	s_mov_b32 s0, 0
	s_cbranch_vccz .LBB166_892
; %bb.891:
	global_load_i8 v2, v[0:1], off
	s_waitcnt vmcnt(0)
	v_cvt_f16_i16_e32 v4, v2
	s_branch .LBB166_893
.LBB166_892:
	s_mov_b32 s0, -1
                                        ; implicit-def: $vgpr4
.LBB166_893:
	s_delay_alu instid0(SALU_CYCLE_1)
	s_and_not1_b32 vcc_lo, exec_lo, s0
	s_cbranch_vccnz .LBB166_895
; %bb.894:
	global_load_u8 v0, v[0:1], off
	s_waitcnt vmcnt(0)
	v_cvt_f16_u16_e32 v4, v0
.LBB166_895:
	s_mov_b32 s0, -1
.LBB166_896:
	s_delay_alu instid0(SALU_CYCLE_1)
	s_and_not1_b32 vcc_lo, exec_lo, s0
	s_cbranch_vccnz .LBB166_904
; %bb.897:
	v_mul_lo_u32 v0, v7, s10
	v_and_b32_e64 v5, 0xff, s1
	s_delay_alu instid0(VALU_DEP_1) | instskip(NEXT) | instid1(VALU_DEP_3)
	v_cmp_gt_i16_e32 vcc_lo, 11, v5
	v_ashrrev_i32_e32 v1, 31, v0
	v_add_co_u32 v0, s0, s2, v0
	s_delay_alu instid0(VALU_DEP_1)
	v_add_co_ci_u32_e64 v1, s0, s3, v1, s0
	s_cbranch_vccnz .LBB166_905
; %bb.898:
	v_cmp_lt_i16_e32 vcc_lo, 25, v5
	s_cbranch_vccz .LBB166_906
; %bb.899:
	v_cmp_lt_i16_e32 vcc_lo, 28, v5
	s_cbranch_vccz .LBB166_907
	;; [unrolled: 3-line block ×4, first 2 shown]
; %bb.902:
	v_cmp_eq_u16_e32 vcc_lo, 46, v5
	s_mov_b32 s28, 0
	s_cbranch_vccz .LBB166_912
; %bb.903:
	global_load_b32 v2, v[0:1], off
	s_mov_b32 s0, -1
	s_mov_b32 s27, 0
	s_waitcnt vmcnt(0)
	v_lshlrev_b32_e32 v2, 16, v2
	s_delay_alu instid0(VALU_DEP_1) | instskip(NEXT) | instid1(VALU_DEP_1)
	v_trunc_f32_e32 v2, v2
	v_mul_f32_e64 v3, 0x2f800000, |v2|
	s_delay_alu instid0(VALU_DEP_1) | instskip(NEXT) | instid1(VALU_DEP_1)
	v_floor_f32_e32 v3, v3
	v_fma_f32 v3, 0xcf800000, v3, |v2|
	v_ashrrev_i32_e32 v2, 31, v2
	s_delay_alu instid0(VALU_DEP_2) | instskip(NEXT) | instid1(VALU_DEP_1)
	v_cvt_u32_f32_e32 v3, v3
	v_xor_b32_e32 v3, v3, v2
	s_delay_alu instid0(VALU_DEP_1)
	v_sub_nc_u32_e32 v2, v3, v2
	s_branch .LBB166_914
.LBB166_904:
	s_mov_b32 s29, 0
	s_mov_b32 s0, s22
	;; [unrolled: 1-line block ×3, first 2 shown]
	s_branch .LBB166_1149
.LBB166_905:
	s_mov_b32 s28, -1
	s_mov_b32 s0, 0
	s_mov_b32 s27, s23
                                        ; implicit-def: $vgpr2
	s_branch .LBB166_975
.LBB166_906:
	s_mov_b32 s28, -1
	s_mov_b32 s0, 0
	s_mov_b32 s27, s23
                                        ; implicit-def: $vgpr2
	s_branch .LBB166_941
.LBB166_907:
	s_mov_b32 s28, -1
	s_mov_b32 s0, 0
	s_mov_b32 s27, s23
                                        ; implicit-def: $vgpr2
	s_branch .LBB166_924
.LBB166_908:
	s_mov_b32 s28, -1
	s_mov_b32 s0, 0
	s_mov_b32 s27, s23
                                        ; implicit-def: $vgpr2
	s_branch .LBB166_919
.LBB166_909:
	s_mov_b32 s28, -1
	s_mov_b32 s0, 0
	s_mov_b32 s27, s23
	s_branch .LBB166_913
.LBB166_910:
	s_or_saveexec_b32 s26, s26
                                        ; implicit-def: $sgpr27
	s_delay_alu instid0(SALU_CYCLE_1)
	s_xor_b32 exec_lo, exec_lo, s26
	s_cbranch_execz .LBB166_685
.LBB166_911:
	v_add_f32_e64 v5, 0x42800000, |v4|
	s_and_not1_b32 s25, s25, exec_lo
	s_mov_b32 s27, 0
	s_delay_alu instid0(VALU_DEP_1) | instskip(NEXT) | instid1(VALU_DEP_1)
	v_and_b32_e32 v5, 0xff, v5
	v_cmp_ne_u32_e32 vcc_lo, 0, v5
	s_and_b32 s28, vcc_lo, exec_lo
	s_delay_alu instid0(SALU_CYCLE_1)
	s_or_b32 s25, s25, s28
	s_or_b32 exec_lo, exec_lo, s26
	v_mov_b32_e32 v6, s27
	s_and_saveexec_b32 s26, s25
	s_cbranch_execnz .LBB166_686
	s_branch .LBB166_687
.LBB166_912:
	s_mov_b32 s27, -1
	s_mov_b32 s0, 0
.LBB166_913:
                                        ; implicit-def: $vgpr2
.LBB166_914:
	s_and_b32 vcc_lo, exec_lo, s28
	s_cbranch_vccz .LBB166_918
; %bb.915:
	v_cmp_eq_u16_e32 vcc_lo, 44, v5
	s_cbranch_vccz .LBB166_917
; %bb.916:
	global_load_u8 v2, v[0:1], off
	s_mov_b32 s27, 0
	s_mov_b32 s0, -1
	s_waitcnt vmcnt(0)
	v_lshlrev_b32_e32 v3, 23, v2
	v_cmp_ne_u32_e32 vcc_lo, 0, v2
	s_delay_alu instid0(VALU_DEP_2) | instskip(NEXT) | instid1(VALU_DEP_1)
	v_trunc_f32_e32 v3, v3
	v_mul_f32_e64 v6, 0x2f800000, |v3|
	s_delay_alu instid0(VALU_DEP_1) | instskip(NEXT) | instid1(VALU_DEP_1)
	v_floor_f32_e32 v6, v6
	v_fma_f32 v6, 0xcf800000, v6, |v3|
	v_ashrrev_i32_e32 v3, 31, v3
	s_delay_alu instid0(VALU_DEP_2) | instskip(NEXT) | instid1(VALU_DEP_1)
	v_cvt_u32_f32_e32 v6, v6
	v_xor_b32_e32 v6, v6, v3
	s_delay_alu instid0(VALU_DEP_1) | instskip(NEXT) | instid1(VALU_DEP_1)
	v_sub_nc_u32_e32 v3, v6, v3
	v_cndmask_b32_e32 v2, 0, v3, vcc_lo
	s_branch .LBB166_918
.LBB166_917:
	s_mov_b32 s27, -1
                                        ; implicit-def: $vgpr2
.LBB166_918:
	s_mov_b32 s28, 0
.LBB166_919:
	s_delay_alu instid0(SALU_CYCLE_1)
	s_and_b32 vcc_lo, exec_lo, s28
	s_cbranch_vccz .LBB166_923
; %bb.920:
	v_cmp_eq_u16_e32 vcc_lo, 29, v5
	s_cbranch_vccz .LBB166_922
; %bb.921:
	global_load_b64 v[2:3], v[0:1], off
	s_mov_b32 s0, -1
	s_mov_b32 s27, 0
	s_branch .LBB166_923
.LBB166_922:
	s_mov_b32 s27, -1
                                        ; implicit-def: $vgpr2
.LBB166_923:
	s_mov_b32 s28, 0
.LBB166_924:
	s_delay_alu instid0(SALU_CYCLE_1)
	s_and_b32 vcc_lo, exec_lo, s28
	s_cbranch_vccz .LBB166_940
; %bb.925:
	v_cmp_gt_i16_e32 vcc_lo, 27, v5
	s_cbranch_vccnz .LBB166_928
; %bb.926:
	v_cmp_lt_i16_e32 vcc_lo, 27, v5
	s_cbranch_vccz .LBB166_929
; %bb.927:
	global_load_b32 v2, v[0:1], off
	s_mov_b32 s0, 0
	s_branch .LBB166_930
.LBB166_928:
	s_mov_b32 s0, -1
                                        ; implicit-def: $vgpr2
	s_branch .LBB166_933
.LBB166_929:
	s_mov_b32 s0, -1
                                        ; implicit-def: $vgpr2
.LBB166_930:
	s_delay_alu instid0(SALU_CYCLE_1)
	s_and_not1_b32 vcc_lo, exec_lo, s0
	s_cbranch_vccnz .LBB166_932
; %bb.931:
	global_load_u16 v2, v[0:1], off
.LBB166_932:
	s_mov_b32 s0, 0
.LBB166_933:
	s_delay_alu instid0(SALU_CYCLE_1)
	s_and_not1_b32 vcc_lo, exec_lo, s0
	s_cbranch_vccnz .LBB166_939
; %bb.934:
	global_load_u8 v3, v[0:1], off
	s_mov_b32 s28, 0
	s_mov_b32 s0, exec_lo
                                        ; implicit-def: $sgpr29
	s_waitcnt vmcnt(0)
	v_cmpx_lt_i16_e32 0x7f, v3
	s_xor_b32 s0, exec_lo, s0
	s_cbranch_execz .LBB166_951
; %bb.935:
	v_cmp_ne_u16_e32 vcc_lo, 0x80, v3
	s_mov_b32 s29, 0
	s_and_b32 s28, vcc_lo, exec_lo
	s_or_saveexec_b32 s0, s0
	v_mov_b32_e32 v2, s29
	s_xor_b32 exec_lo, exec_lo, s0
	s_cbranch_execnz .LBB166_952
.LBB166_936:
	s_or_b32 exec_lo, exec_lo, s0
	s_and_saveexec_b32 s0, s28
	s_cbranch_execz .LBB166_938
.LBB166_937:
	v_and_b32_e32 v2, 0xffff, v3
	s_delay_alu instid0(VALU_DEP_1) | instskip(NEXT) | instid1(VALU_DEP_1)
	v_and_b32_e32 v6, 7, v2
	v_clz_i32_u32_e32 v8, v6
	s_delay_alu instid0(VALU_DEP_1) | instskip(NEXT) | instid1(VALU_DEP_1)
	v_min_u32_e32 v8, 32, v8
	v_subrev_nc_u32_e32 v9, 28, v8
	v_sub_nc_u32_e32 v8, 29, v8
	s_delay_alu instid0(VALU_DEP_2) | instskip(SKIP_1) | instid1(VALU_DEP_1)
	v_lshlrev_b32_e32 v9, v9, v2
	v_bfe_u32 v2, v2, 3, 4
	v_cmp_eq_u32_e32 vcc_lo, 0, v2
	s_delay_alu instid0(VALU_DEP_3) | instskip(SKIP_1) | instid1(VALU_DEP_2)
	v_dual_cndmask_b32 v2, v2, v8 :: v_dual_and_b32 v9, 7, v9
	v_lshlrev_b32_e32 v3, 24, v3
	v_lshl_add_u32 v2, v2, 23, 0x3b800000
	s_delay_alu instid0(VALU_DEP_2) | instskip(NEXT) | instid1(VALU_DEP_1)
	v_dual_cndmask_b32 v6, v6, v9 :: v_dual_and_b32 v3, 0x80000000, v3
	v_lshlrev_b32_e32 v6, 20, v6
	s_delay_alu instid0(VALU_DEP_1) | instskip(NEXT) | instid1(VALU_DEP_1)
	v_or3_b32 v2, v3, v2, v6
	v_trunc_f32_e32 v2, v2
	s_delay_alu instid0(VALU_DEP_1) | instskip(NEXT) | instid1(VALU_DEP_1)
	v_mul_f32_e64 v3, 0x2f800000, |v2|
	v_floor_f32_e32 v3, v3
	s_delay_alu instid0(VALU_DEP_1) | instskip(SKIP_1) | instid1(VALU_DEP_2)
	v_fma_f32 v3, 0xcf800000, v3, |v2|
	v_ashrrev_i32_e32 v2, 31, v2
	v_cvt_u32_f32_e32 v3, v3
	s_delay_alu instid0(VALU_DEP_1) | instskip(NEXT) | instid1(VALU_DEP_1)
	v_xor_b32_e32 v3, v3, v2
	v_sub_nc_u32_e32 v2, v3, v2
.LBB166_938:
	s_or_b32 exec_lo, exec_lo, s0
.LBB166_939:
	s_mov_b32 s0, -1
.LBB166_940:
	s_mov_b32 s28, 0
.LBB166_941:
	s_delay_alu instid0(SALU_CYCLE_1)
	s_and_b32 vcc_lo, exec_lo, s28
	s_cbranch_vccz .LBB166_974
; %bb.942:
	v_cmp_lt_i16_e32 vcc_lo, 22, v5
	s_cbranch_vccz .LBB166_950
; %bb.943:
	v_cmp_gt_i16_e32 vcc_lo, 24, v5
	s_cbranch_vccnz .LBB166_953
; %bb.944:
	v_cmp_lt_i16_e32 vcc_lo, 24, v5
	s_cbranch_vccz .LBB166_954
; %bb.945:
	global_load_u8 v3, v[0:1], off
	s_mov_b32 s28, 0
	s_mov_b32 s0, exec_lo
                                        ; implicit-def: $sgpr29
	s_waitcnt vmcnt(0)
	v_cmpx_lt_i16_e32 0x7f, v3
	s_xor_b32 s0, exec_lo, s0
	s_cbranch_execz .LBB166_966
; %bb.946:
	v_cmp_ne_u16_e32 vcc_lo, 0x80, v3
	s_mov_b32 s29, 0
	s_and_b32 s28, vcc_lo, exec_lo
	s_or_saveexec_b32 s0, s0
	v_mov_b32_e32 v2, s29
	s_xor_b32 exec_lo, exec_lo, s0
	s_cbranch_execnz .LBB166_967
.LBB166_947:
	s_or_b32 exec_lo, exec_lo, s0
	s_and_saveexec_b32 s0, s28
	s_cbranch_execz .LBB166_949
.LBB166_948:
	v_and_b32_e32 v2, 0xffff, v3
	s_delay_alu instid0(VALU_DEP_1) | instskip(NEXT) | instid1(VALU_DEP_1)
	v_and_b32_e32 v6, 3, v2
	v_clz_i32_u32_e32 v8, v6
	s_delay_alu instid0(VALU_DEP_1) | instskip(NEXT) | instid1(VALU_DEP_1)
	v_min_u32_e32 v8, 32, v8
	v_subrev_nc_u32_e32 v9, 29, v8
	v_sub_nc_u32_e32 v8, 30, v8
	s_delay_alu instid0(VALU_DEP_2) | instskip(SKIP_1) | instid1(VALU_DEP_1)
	v_lshlrev_b32_e32 v9, v9, v2
	v_bfe_u32 v2, v2, 2, 5
	v_cmp_eq_u32_e32 vcc_lo, 0, v2
	s_delay_alu instid0(VALU_DEP_3) | instskip(SKIP_1) | instid1(VALU_DEP_2)
	v_dual_cndmask_b32 v2, v2, v8 :: v_dual_and_b32 v9, 3, v9
	v_lshlrev_b32_e32 v3, 24, v3
	v_lshl_add_u32 v2, v2, 23, 0x37800000
	s_delay_alu instid0(VALU_DEP_2) | instskip(NEXT) | instid1(VALU_DEP_1)
	v_dual_cndmask_b32 v6, v6, v9 :: v_dual_and_b32 v3, 0x80000000, v3
	v_lshlrev_b32_e32 v6, 21, v6
	s_delay_alu instid0(VALU_DEP_1) | instskip(NEXT) | instid1(VALU_DEP_1)
	v_or3_b32 v2, v3, v2, v6
	v_trunc_f32_e32 v2, v2
	s_delay_alu instid0(VALU_DEP_1) | instskip(NEXT) | instid1(VALU_DEP_1)
	v_mul_f32_e64 v3, 0x2f800000, |v2|
	v_floor_f32_e32 v3, v3
	s_delay_alu instid0(VALU_DEP_1) | instskip(SKIP_1) | instid1(VALU_DEP_2)
	v_fma_f32 v3, 0xcf800000, v3, |v2|
	v_ashrrev_i32_e32 v2, 31, v2
	v_cvt_u32_f32_e32 v3, v3
	s_delay_alu instid0(VALU_DEP_1) | instskip(NEXT) | instid1(VALU_DEP_1)
	v_xor_b32_e32 v3, v3, v2
	v_sub_nc_u32_e32 v2, v3, v2
.LBB166_949:
	s_or_b32 exec_lo, exec_lo, s0
	s_mov_b32 s0, 0
	s_branch .LBB166_955
.LBB166_950:
	s_mov_b32 s28, -1
                                        ; implicit-def: $vgpr2
	s_branch .LBB166_961
.LBB166_951:
	s_or_saveexec_b32 s0, s0
	v_mov_b32_e32 v2, s29
	s_xor_b32 exec_lo, exec_lo, s0
	s_cbranch_execz .LBB166_936
.LBB166_952:
	v_cmp_ne_u16_e32 vcc_lo, 0, v3
	v_mov_b32_e32 v2, 0
	s_and_not1_b32 s28, s28, exec_lo
	s_and_b32 s29, vcc_lo, exec_lo
	s_delay_alu instid0(SALU_CYCLE_1)
	s_or_b32 s28, s28, s29
	s_or_b32 exec_lo, exec_lo, s0
	s_and_saveexec_b32 s0, s28
	s_cbranch_execnz .LBB166_937
	s_branch .LBB166_938
.LBB166_953:
	s_mov_b32 s0, -1
                                        ; implicit-def: $vgpr2
	s_branch .LBB166_958
.LBB166_954:
	s_mov_b32 s0, -1
                                        ; implicit-def: $vgpr2
.LBB166_955:
	s_delay_alu instid0(SALU_CYCLE_1)
	s_and_b32 vcc_lo, exec_lo, s0
	s_cbranch_vccz .LBB166_957
; %bb.956:
	global_load_u8 v2, v[0:1], off
	s_waitcnt vmcnt(0)
	v_lshlrev_b32_e32 v2, 24, v2
	s_delay_alu instid0(VALU_DEP_1) | instskip(NEXT) | instid1(VALU_DEP_1)
	v_and_b32_e32 v3, 0x7f000000, v2
	v_clz_i32_u32_e32 v6, v3
	v_cmp_ne_u32_e32 vcc_lo, 0, v3
	v_add_nc_u32_e32 v9, 0x1000000, v3
	s_delay_alu instid0(VALU_DEP_3) | instskip(NEXT) | instid1(VALU_DEP_1)
	v_min_u32_e32 v6, 32, v6
	v_sub_nc_u32_e64 v6, v6, 4 clamp
	s_delay_alu instid0(VALU_DEP_1) | instskip(SKIP_1) | instid1(VALU_DEP_2)
	v_lshlrev_b32_e32 v8, v6, v3
	v_lshlrev_b32_e32 v6, 23, v6
	v_lshrrev_b32_e32 v8, 4, v8
	s_delay_alu instid0(VALU_DEP_1) | instskip(SKIP_1) | instid1(VALU_DEP_2)
	v_sub_nc_u32_e32 v6, v8, v6
	v_ashrrev_i32_e32 v8, 8, v9
	v_add_nc_u32_e32 v6, 0x3c000000, v6
	s_delay_alu instid0(VALU_DEP_1) | instskip(NEXT) | instid1(VALU_DEP_1)
	v_and_or_b32 v6, 0x7f800000, v8, v6
	v_cndmask_b32_e32 v3, 0, v6, vcc_lo
	s_delay_alu instid0(VALU_DEP_1) | instskip(NEXT) | instid1(VALU_DEP_1)
	v_and_or_b32 v2, 0x80000000, v2, v3
	v_trunc_f32_e32 v2, v2
	s_delay_alu instid0(VALU_DEP_1) | instskip(NEXT) | instid1(VALU_DEP_1)
	v_mul_f32_e64 v3, 0x2f800000, |v2|
	v_floor_f32_e32 v3, v3
	s_delay_alu instid0(VALU_DEP_1) | instskip(SKIP_1) | instid1(VALU_DEP_2)
	v_fma_f32 v3, 0xcf800000, v3, |v2|
	v_ashrrev_i32_e32 v2, 31, v2
	v_cvt_u32_f32_e32 v3, v3
	s_delay_alu instid0(VALU_DEP_1) | instskip(NEXT) | instid1(VALU_DEP_1)
	v_xor_b32_e32 v3, v3, v2
	v_sub_nc_u32_e32 v2, v3, v2
.LBB166_957:
	s_mov_b32 s0, 0
.LBB166_958:
	s_delay_alu instid0(SALU_CYCLE_1)
	s_and_not1_b32 vcc_lo, exec_lo, s0
	s_cbranch_vccnz .LBB166_960
; %bb.959:
	global_load_u8 v2, v[0:1], off
	s_waitcnt vmcnt(0)
	v_lshlrev_b32_e32 v3, 25, v2
	v_lshlrev_b16 v2, 8, v2
	s_delay_alu instid0(VALU_DEP_1) | instskip(SKIP_1) | instid1(VALU_DEP_2)
	v_and_or_b32 v8, 0x7f00, v2, 0.5
	v_bfe_i32 v2, v2, 0, 16
	v_add_f32_e32 v8, -0.5, v8
	v_lshrrev_b32_e32 v6, 4, v3
	v_cmp_gt_u32_e32 vcc_lo, 0x8000000, v3
	s_delay_alu instid0(VALU_DEP_2) | instskip(NEXT) | instid1(VALU_DEP_1)
	v_or_b32_e32 v6, 0x70000000, v6
	v_mul_f32_e32 v6, 0x7800000, v6
	s_delay_alu instid0(VALU_DEP_1) | instskip(NEXT) | instid1(VALU_DEP_1)
	v_cndmask_b32_e32 v3, v6, v8, vcc_lo
	v_and_or_b32 v2, 0x80000000, v2, v3
	s_delay_alu instid0(VALU_DEP_1) | instskip(NEXT) | instid1(VALU_DEP_1)
	v_trunc_f32_e32 v2, v2
	v_mul_f32_e64 v3, 0x2f800000, |v2|
	s_delay_alu instid0(VALU_DEP_1) | instskip(NEXT) | instid1(VALU_DEP_1)
	v_floor_f32_e32 v3, v3
	v_fma_f32 v3, 0xcf800000, v3, |v2|
	v_ashrrev_i32_e32 v2, 31, v2
	s_delay_alu instid0(VALU_DEP_2) | instskip(NEXT) | instid1(VALU_DEP_1)
	v_cvt_u32_f32_e32 v3, v3
	v_xor_b32_e32 v3, v3, v2
	s_delay_alu instid0(VALU_DEP_1)
	v_sub_nc_u32_e32 v2, v3, v2
.LBB166_960:
	s_mov_b32 s28, 0
	s_mov_b32 s0, -1
.LBB166_961:
	s_and_not1_b32 vcc_lo, exec_lo, s28
	s_cbranch_vccnz .LBB166_974
; %bb.962:
	v_cmp_lt_i16_e32 vcc_lo, 14, v5
	s_cbranch_vccz .LBB166_965
; %bb.963:
	v_cmp_eq_u16_e32 vcc_lo, 15, v5
	s_cbranch_vccz .LBB166_968
; %bb.964:
	global_load_u16 v2, v[0:1], off
	s_mov_b32 s0, -1
	s_mov_b32 s27, 0
	s_waitcnt vmcnt(0)
	v_lshlrev_b32_e32 v2, 16, v2
	s_delay_alu instid0(VALU_DEP_1) | instskip(NEXT) | instid1(VALU_DEP_1)
	v_trunc_f32_e32 v2, v2
	v_mul_f32_e64 v3, 0x2f800000, |v2|
	s_delay_alu instid0(VALU_DEP_1) | instskip(NEXT) | instid1(VALU_DEP_1)
	v_floor_f32_e32 v3, v3
	v_fma_f32 v3, 0xcf800000, v3, |v2|
	v_ashrrev_i32_e32 v2, 31, v2
	s_delay_alu instid0(VALU_DEP_2) | instskip(NEXT) | instid1(VALU_DEP_1)
	v_cvt_u32_f32_e32 v3, v3
	v_xor_b32_e32 v3, v3, v2
	s_delay_alu instid0(VALU_DEP_1)
	v_sub_nc_u32_e32 v2, v3, v2
	s_branch .LBB166_969
.LBB166_965:
	s_mov_b32 s28, -1
                                        ; implicit-def: $vgpr2
	s_branch .LBB166_970
.LBB166_966:
	s_or_saveexec_b32 s0, s0
	v_mov_b32_e32 v2, s29
	s_xor_b32 exec_lo, exec_lo, s0
	s_cbranch_execz .LBB166_947
.LBB166_967:
	v_cmp_ne_u16_e32 vcc_lo, 0, v3
	v_mov_b32_e32 v2, 0
	s_and_not1_b32 s28, s28, exec_lo
	s_and_b32 s29, vcc_lo, exec_lo
	s_delay_alu instid0(SALU_CYCLE_1)
	s_or_b32 s28, s28, s29
	s_or_b32 exec_lo, exec_lo, s0
	s_and_saveexec_b32 s0, s28
	s_cbranch_execnz .LBB166_948
	s_branch .LBB166_949
.LBB166_968:
	s_mov_b32 s27, -1
                                        ; implicit-def: $vgpr2
.LBB166_969:
	s_mov_b32 s28, 0
.LBB166_970:
	s_delay_alu instid0(SALU_CYCLE_1)
	s_and_b32 vcc_lo, exec_lo, s28
	s_cbranch_vccz .LBB166_974
; %bb.971:
	v_cmp_eq_u16_e32 vcc_lo, 11, v5
	s_cbranch_vccz .LBB166_973
; %bb.972:
	global_load_u8 v2, v[0:1], off
	s_mov_b32 s27, 0
	s_mov_b32 s0, -1
	s_waitcnt vmcnt(0)
	v_cmp_ne_u16_e32 vcc_lo, 0, v2
	v_cndmask_b32_e64 v2, 0, 1, vcc_lo
	s_branch .LBB166_974
.LBB166_973:
	s_mov_b32 s27, -1
                                        ; implicit-def: $vgpr2
.LBB166_974:
	s_mov_b32 s28, 0
.LBB166_975:
	s_delay_alu instid0(SALU_CYCLE_1)
	s_and_b32 vcc_lo, exec_lo, s28
	s_cbranch_vccz .LBB166_1024
; %bb.976:
	v_cmp_gt_i16_e32 vcc_lo, 5, v5
	s_cbranch_vccnz .LBB166_981
; %bb.977:
	v_cmp_gt_i16_e32 vcc_lo, 8, v5
	s_cbranch_vccnz .LBB166_982
	;; [unrolled: 3-line block ×3, first 2 shown]
; %bb.979:
	v_cmp_lt_i16_e32 vcc_lo, 9, v5
	s_cbranch_vccz .LBB166_984
; %bb.980:
	global_load_b64 v[2:3], v[0:1], off
	s_mov_b32 s0, 0
	s_waitcnt vmcnt(0)
	v_trunc_f64_e32 v[2:3], v[2:3]
	s_delay_alu instid0(VALU_DEP_1) | instskip(NEXT) | instid1(VALU_DEP_1)
	v_ldexp_f64 v[8:9], v[2:3], 0xffffffe0
	v_floor_f64_e32 v[8:9], v[8:9]
	s_delay_alu instid0(VALU_DEP_1) | instskip(NEXT) | instid1(VALU_DEP_1)
	v_fma_f64 v[2:3], 0xc1f00000, v[8:9], v[2:3]
	v_cvt_u32_f64_e32 v2, v[2:3]
	s_branch .LBB166_985
.LBB166_981:
	s_mov_b32 s0, -1
                                        ; implicit-def: $vgpr2
	s_branch .LBB166_1003
.LBB166_982:
	s_mov_b32 s0, -1
                                        ; implicit-def: $vgpr2
	s_branch .LBB166_991
.LBB166_983:
	s_mov_b32 s0, -1
                                        ; implicit-def: $vgpr2
	s_branch .LBB166_988
.LBB166_984:
	s_mov_b32 s0, -1
                                        ; implicit-def: $vgpr2
.LBB166_985:
	s_delay_alu instid0(SALU_CYCLE_1)
	s_and_not1_b32 vcc_lo, exec_lo, s0
	s_cbranch_vccnz .LBB166_987
; %bb.986:
	global_load_b32 v2, v[0:1], off
	s_waitcnt vmcnt(0)
	v_trunc_f32_e32 v2, v2
	s_delay_alu instid0(VALU_DEP_1) | instskip(NEXT) | instid1(VALU_DEP_1)
	v_mul_f32_e64 v3, 0x2f800000, |v2|
	v_floor_f32_e32 v3, v3
	s_delay_alu instid0(VALU_DEP_1) | instskip(SKIP_1) | instid1(VALU_DEP_2)
	v_fma_f32 v3, 0xcf800000, v3, |v2|
	v_ashrrev_i32_e32 v2, 31, v2
	v_cvt_u32_f32_e32 v3, v3
	s_delay_alu instid0(VALU_DEP_1) | instskip(NEXT) | instid1(VALU_DEP_1)
	v_xor_b32_e32 v3, v3, v2
	v_sub_nc_u32_e32 v2, v3, v2
.LBB166_987:
	s_mov_b32 s0, 0
.LBB166_988:
	s_delay_alu instid0(SALU_CYCLE_1)
	s_and_not1_b32 vcc_lo, exec_lo, s0
	s_cbranch_vccnz .LBB166_990
; %bb.989:
	global_load_b32 v2, v[0:1], off
	s_waitcnt vmcnt(0)
	v_cvt_f32_f16_e32 v2, v2
	s_delay_alu instid0(VALU_DEP_1)
	v_cvt_i32_f32_e32 v2, v2
.LBB166_990:
	s_mov_b32 s0, 0
.LBB166_991:
	s_delay_alu instid0(SALU_CYCLE_1)
	s_and_not1_b32 vcc_lo, exec_lo, s0
	s_cbranch_vccnz .LBB166_1002
; %bb.992:
	v_cmp_gt_i16_e32 vcc_lo, 6, v5
	s_cbranch_vccnz .LBB166_995
; %bb.993:
	v_cmp_lt_i16_e32 vcc_lo, 6, v5
	s_cbranch_vccz .LBB166_996
; %bb.994:
	global_load_b64 v[2:3], v[0:1], off
	s_mov_b32 s0, 0
	s_waitcnt vmcnt(0)
	v_trunc_f64_e32 v[2:3], v[2:3]
	s_delay_alu instid0(VALU_DEP_1) | instskip(NEXT) | instid1(VALU_DEP_1)
	v_ldexp_f64 v[8:9], v[2:3], 0xffffffe0
	v_floor_f64_e32 v[8:9], v[8:9]
	s_delay_alu instid0(VALU_DEP_1) | instskip(NEXT) | instid1(VALU_DEP_1)
	v_fma_f64 v[2:3], 0xc1f00000, v[8:9], v[2:3]
	v_cvt_u32_f64_e32 v2, v[2:3]
	s_branch .LBB166_997
.LBB166_995:
	s_mov_b32 s0, -1
                                        ; implicit-def: $vgpr2
	s_branch .LBB166_1000
.LBB166_996:
	s_mov_b32 s0, -1
                                        ; implicit-def: $vgpr2
.LBB166_997:
	s_delay_alu instid0(SALU_CYCLE_1)
	s_and_not1_b32 vcc_lo, exec_lo, s0
	s_cbranch_vccnz .LBB166_999
; %bb.998:
	global_load_b32 v2, v[0:1], off
	s_waitcnt vmcnt(0)
	v_trunc_f32_e32 v2, v2
	s_delay_alu instid0(VALU_DEP_1) | instskip(NEXT) | instid1(VALU_DEP_1)
	v_mul_f32_e64 v3, 0x2f800000, |v2|
	v_floor_f32_e32 v3, v3
	s_delay_alu instid0(VALU_DEP_1) | instskip(SKIP_1) | instid1(VALU_DEP_2)
	v_fma_f32 v3, 0xcf800000, v3, |v2|
	v_ashrrev_i32_e32 v2, 31, v2
	v_cvt_u32_f32_e32 v3, v3
	s_delay_alu instid0(VALU_DEP_1) | instskip(NEXT) | instid1(VALU_DEP_1)
	v_xor_b32_e32 v3, v3, v2
	v_sub_nc_u32_e32 v2, v3, v2
.LBB166_999:
	s_mov_b32 s0, 0
.LBB166_1000:
	s_delay_alu instid0(SALU_CYCLE_1)
	s_and_not1_b32 vcc_lo, exec_lo, s0
	s_cbranch_vccnz .LBB166_1002
; %bb.1001:
	global_load_u16 v2, v[0:1], off
	s_waitcnt vmcnt(0)
	v_cvt_f32_f16_e32 v2, v2
	s_delay_alu instid0(VALU_DEP_1)
	v_cvt_i32_f32_e32 v2, v2
.LBB166_1002:
	s_mov_b32 s0, 0
.LBB166_1003:
	s_delay_alu instid0(SALU_CYCLE_1)
	s_and_not1_b32 vcc_lo, exec_lo, s0
	s_cbranch_vccnz .LBB166_1023
; %bb.1004:
	v_cmp_gt_i16_e32 vcc_lo, 2, v5
	s_cbranch_vccnz .LBB166_1008
; %bb.1005:
	v_cmp_gt_i16_e32 vcc_lo, 3, v5
	s_cbranch_vccnz .LBB166_1009
; %bb.1006:
	v_cmp_lt_i16_e32 vcc_lo, 3, v5
	s_cbranch_vccz .LBB166_1010
; %bb.1007:
	global_load_b64 v[2:3], v[0:1], off
	s_mov_b32 s0, 0
	s_branch .LBB166_1011
.LBB166_1008:
	s_mov_b32 s0, -1
                                        ; implicit-def: $vgpr2
	s_branch .LBB166_1017
.LBB166_1009:
	s_mov_b32 s0, -1
                                        ; implicit-def: $vgpr2
	s_branch .LBB166_1014
.LBB166_1010:
	s_mov_b32 s0, -1
                                        ; implicit-def: $vgpr2
.LBB166_1011:
	s_delay_alu instid0(SALU_CYCLE_1)
	s_and_not1_b32 vcc_lo, exec_lo, s0
	s_cbranch_vccnz .LBB166_1013
; %bb.1012:
	global_load_b32 v2, v[0:1], off
.LBB166_1013:
	s_mov_b32 s0, 0
.LBB166_1014:
	s_delay_alu instid0(SALU_CYCLE_1)
	s_and_not1_b32 vcc_lo, exec_lo, s0
	s_cbranch_vccnz .LBB166_1016
; %bb.1015:
	global_load_u16 v2, v[0:1], off
.LBB166_1016:
	s_mov_b32 s0, 0
.LBB166_1017:
	s_delay_alu instid0(SALU_CYCLE_1)
	s_and_not1_b32 vcc_lo, exec_lo, s0
	s_cbranch_vccnz .LBB166_1023
; %bb.1018:
	v_cmp_lt_i16_e32 vcc_lo, 0, v5
	s_mov_b32 s0, 0
	s_cbranch_vccz .LBB166_1020
; %bb.1019:
	global_load_u8 v2, v[0:1], off
	s_branch .LBB166_1021
.LBB166_1020:
	s_mov_b32 s0, -1
                                        ; implicit-def: $vgpr2
.LBB166_1021:
	s_delay_alu instid0(SALU_CYCLE_1)
	s_and_not1_b32 vcc_lo, exec_lo, s0
	s_cbranch_vccnz .LBB166_1023
; %bb.1022:
	global_load_u8 v2, v[0:1], off
.LBB166_1023:
	s_mov_b32 s0, -1
.LBB166_1024:
	s_delay_alu instid0(SALU_CYCLE_1)
	s_and_not1_b32 vcc_lo, exec_lo, s0
	s_cbranch_vccnz .LBB166_1032
; %bb.1025:
	s_waitcnt vmcnt(0)
	v_cvt_f32_f16_e32 v1, v4
	v_mul_lo_u32 v4, v7, s8
	s_delay_alu instid0(VALU_DEP_3) | instskip(SKIP_1) | instid1(VALU_DEP_2)
	v_cvt_f32_ubyte0_e32 v0, v2
	v_and_b32_e64 v3, 0xff, s12
	v_mul_f32_e32 v0, v1, v0
	s_delay_alu instid0(VALU_DEP_2) | instskip(SKIP_1) | instid1(VALU_DEP_3)
	v_cmp_gt_i16_e32 vcc_lo, 11, v3
	v_ashrrev_i32_e32 v1, 31, v4
	v_fma_mixlo_f16 v2, s11, v0, 0
	v_add_co_u32 v0, s0, s4, v4
	s_delay_alu instid0(VALU_DEP_1)
	v_add_co_ci_u32_e64 v1, s0, s5, v1, s0
	s_cbranch_vccnz .LBB166_1033
; %bb.1026:
	v_cmp_lt_i16_e32 vcc_lo, 25, v3
	s_cbranch_vccz .LBB166_1034
; %bb.1027:
	v_cmp_lt_i16_e32 vcc_lo, 28, v3
	s_cbranch_vccz .LBB166_1035
	;; [unrolled: 3-line block ×4, first 2 shown]
; %bb.1030:
	v_cmp_eq_u16_e32 vcc_lo, 46, v3
	s_mov_b32 s29, 0
	s_mov_b32 s0, -1
	s_mov_b32 s28, 0
	s_cbranch_vccz .LBB166_1038
; %bb.1031:
	v_cvt_f32_f16_e32 v4, v2
	v_cmp_o_f16_e32 vcc_lo, v2, v2
	s_mov_b32 s28, -1
	s_mov_b32 s0, 0
	s_delay_alu instid0(VALU_DEP_2) | instskip(NEXT) | instid1(VALU_DEP_1)
	v_bfe_u32 v5, v4, 16, 1
	v_add3_u32 v4, v4, v5, 0x7fff
	s_delay_alu instid0(VALU_DEP_1) | instskip(NEXT) | instid1(VALU_DEP_1)
	v_lshrrev_b32_e32 v4, 16, v4
	v_cndmask_b32_e32 v4, 0x7fc0, v4, vcc_lo
	global_store_b32 v[0:1], v4, off
	s_branch .LBB166_1038
.LBB166_1032:
	s_mov_b32 s29, 0
	s_mov_b32 s0, s22
	s_branch .LBB166_1149
.LBB166_1033:
	s_mov_b32 s29, -1
	s_mov_b32 s28, 0
	s_mov_b32 s0, s22
	s_branch .LBB166_1107
.LBB166_1034:
	s_mov_b32 s29, -1
	s_mov_b32 s28, 0
	s_mov_b32 s0, s22
	s_branch .LBB166_1065
.LBB166_1035:
	s_mov_b32 s29, -1
	s_mov_b32 s28, 0
	s_mov_b32 s0, s22
	s_branch .LBB166_1048
.LBB166_1036:
	s_mov_b32 s29, -1
	s_mov_b32 s28, 0
	s_mov_b32 s0, s22
	s_branch .LBB166_1044
.LBB166_1037:
	s_mov_b32 s29, -1
	s_mov_b32 s28, 0
	s_mov_b32 s0, s22
.LBB166_1038:
	s_and_b32 vcc_lo, exec_lo, s29
	s_cbranch_vccz .LBB166_1043
; %bb.1039:
	v_cmp_eq_u16_e32 vcc_lo, 44, v3
	s_mov_b32 s0, -1
	s_cbranch_vccz .LBB166_1043
; %bb.1040:
	v_cvt_f32_f16_e32 v4, v2
	v_mov_b32_e32 v5, 0xff
	s_mov_b32 s28, exec_lo
	s_delay_alu instid0(VALU_DEP_2) | instskip(NEXT) | instid1(VALU_DEP_1)
	v_bfe_u32 v6, v4, 23, 8
	v_cmpx_ne_u32_e32 0xff, v6
; %bb.1041:
	v_and_b32_e32 v5, 0x400000, v4
	v_and_or_b32 v6, 0x3fffff, v4, v6
	v_lshrrev_b32_e32 v4, 23, v4
	s_delay_alu instid0(VALU_DEP_3) | instskip(NEXT) | instid1(VALU_DEP_3)
	v_cmp_ne_u32_e32 vcc_lo, 0, v5
	v_cmp_ne_u32_e64 s0, 0, v6
	s_delay_alu instid0(VALU_DEP_1) | instskip(NEXT) | instid1(SALU_CYCLE_1)
	s_and_b32 s0, vcc_lo, s0
	v_cndmask_b32_e64 v5, 0, 1, s0
	s_delay_alu instid0(VALU_DEP_1)
	v_add_nc_u32_e32 v5, v4, v5
; %bb.1042:
	s_or_b32 exec_lo, exec_lo, s28
	s_mov_b32 s28, -1
	s_mov_b32 s0, 0
	global_store_b8 v[0:1], v5, off
.LBB166_1043:
	s_mov_b32 s29, 0
.LBB166_1044:
	s_delay_alu instid0(SALU_CYCLE_1)
	s_and_b32 vcc_lo, exec_lo, s29
	s_cbranch_vccz .LBB166_1047
; %bb.1045:
	v_cmp_eq_u16_e32 vcc_lo, 29, v3
	s_mov_b32 s0, -1
	s_cbranch_vccz .LBB166_1047
; %bb.1046:
	v_cvt_f32_f16_e32 v4, v2
	v_mov_b32_e32 v5, 0
	s_mov_b32 s0, 0
	s_mov_b32 s28, -1
	s_mov_b32 s29, 0
	v_cvt_u32_f32_e32 v4, v4
	global_store_b64 v[0:1], v[4:5], off
	s_branch .LBB166_1048
.LBB166_1047:
	s_mov_b32 s29, 0
.LBB166_1048:
	s_delay_alu instid0(SALU_CYCLE_1)
	s_and_b32 vcc_lo, exec_lo, s29
	s_cbranch_vccz .LBB166_1064
; %bb.1049:
	v_cmp_gt_i16_e32 vcc_lo, 27, v3
	s_mov_b32 s28, -1
	s_cbranch_vccnz .LBB166_1055
; %bb.1050:
	v_cmp_lt_i16_e32 vcc_lo, 27, v3
	s_cbranch_vccz .LBB166_1052
; %bb.1051:
	v_cvt_f32_f16_e32 v4, v2
	s_mov_b32 s28, 0
	s_delay_alu instid0(VALU_DEP_1)
	v_cvt_u32_f32_e32 v4, v4
	global_store_b32 v[0:1], v4, off
.LBB166_1052:
	s_and_not1_b32 vcc_lo, exec_lo, s28
	s_cbranch_vccnz .LBB166_1054
; %bb.1053:
	v_cvt_u16_f16_e32 v4, v2
	global_store_b16 v[0:1], v4, off
.LBB166_1054:
	s_mov_b32 s28, 0
.LBB166_1055:
	s_delay_alu instid0(SALU_CYCLE_1)
	s_and_not1_b32 vcc_lo, exec_lo, s28
	s_cbranch_vccnz .LBB166_1063
; %bb.1056:
	v_cvt_f32_f16_e32 v4, v2
	v_mov_b32_e32 v6, 0x80
	s_mov_b32 s28, exec_lo
	s_delay_alu instid0(VALU_DEP_2) | instskip(NEXT) | instid1(VALU_DEP_1)
	v_and_b32_e32 v5, 0x7fffffff, v4
	v_cmpx_gt_u32_e32 0x43800000, v5
	s_cbranch_execz .LBB166_1062
; %bb.1057:
	v_cmp_lt_u32_e32 vcc_lo, 0x3bffffff, v5
	s_mov_b32 s29, 0
                                        ; implicit-def: $vgpr5
	s_and_saveexec_b32 s30, vcc_lo
	s_delay_alu instid0(SALU_CYCLE_1)
	s_xor_b32 s30, exec_lo, s30
	s_cbranch_execz .LBB166_1165
; %bb.1058:
	v_bfe_u32 v5, v4, 20, 1
	s_mov_b32 s29, exec_lo
	s_delay_alu instid0(VALU_DEP_1) | instskip(NEXT) | instid1(VALU_DEP_1)
	v_add3_u32 v5, v4, v5, 0x487ffff
	v_lshrrev_b32_e32 v5, 20, v5
	s_or_saveexec_b32 s30, s30
                                        ; implicit-def: $sgpr31
	s_delay_alu instid0(SALU_CYCLE_1)
	s_xor_b32 exec_lo, exec_lo, s30
	s_cbranch_execnz .LBB166_1166
.LBB166_1059:
	s_or_b32 exec_lo, exec_lo, s30
	v_mov_b32_e32 v6, s31
	s_and_saveexec_b32 s30, s29
.LBB166_1060:
	v_lshrrev_b32_e32 v4, 24, v4
	s_delay_alu instid0(VALU_DEP_1)
	v_and_or_b32 v6, 0x80, v4, v5
.LBB166_1061:
	s_or_b32 exec_lo, exec_lo, s30
.LBB166_1062:
	s_delay_alu instid0(SALU_CYCLE_1)
	s_or_b32 exec_lo, exec_lo, s28
	global_store_b8 v[0:1], v6, off
.LBB166_1063:
	s_mov_b32 s28, -1
.LBB166_1064:
	s_mov_b32 s29, 0
.LBB166_1065:
	s_delay_alu instid0(SALU_CYCLE_1)
	s_and_b32 vcc_lo, exec_lo, s29
	s_cbranch_vccz .LBB166_1106
; %bb.1066:
	v_cmp_lt_i16_e32 vcc_lo, 22, v3
	s_mov_b32 s29, -1
	s_cbranch_vccz .LBB166_1098
; %bb.1067:
	v_cmp_gt_i16_e32 vcc_lo, 24, v3
	s_mov_b32 s28, -1
	s_cbranch_vccnz .LBB166_1087
; %bb.1068:
	v_cmp_lt_i16_e32 vcc_lo, 24, v3
	s_cbranch_vccz .LBB166_1076
; %bb.1069:
	v_cvt_f32_f16_e32 v4, v2
	v_mov_b32_e32 v6, 0x80
	s_mov_b32 s28, exec_lo
	s_delay_alu instid0(VALU_DEP_2) | instskip(NEXT) | instid1(VALU_DEP_1)
	v_and_b32_e32 v5, 0x7fffffff, v4
	v_cmpx_gt_u32_e32 0x47800000, v5
	s_cbranch_execz .LBB166_1075
; %bb.1070:
	v_cmp_lt_u32_e32 vcc_lo, 0x37ffffff, v5
	s_mov_b32 s29, 0
                                        ; implicit-def: $vgpr5
	s_and_saveexec_b32 s30, vcc_lo
	s_delay_alu instid0(SALU_CYCLE_1)
	s_xor_b32 s30, exec_lo, s30
	s_cbranch_execz .LBB166_2208
; %bb.1071:
	v_bfe_u32 v5, v4, 21, 1
	s_mov_b32 s29, exec_lo
	s_delay_alu instid0(VALU_DEP_1) | instskip(NEXT) | instid1(VALU_DEP_1)
	v_add3_u32 v5, v4, v5, 0x88fffff
	v_lshrrev_b32_e32 v5, 21, v5
	s_or_saveexec_b32 s30, s30
                                        ; implicit-def: $sgpr31
	s_delay_alu instid0(SALU_CYCLE_1)
	s_xor_b32 exec_lo, exec_lo, s30
	s_cbranch_execnz .LBB166_2209
.LBB166_1072:
	s_or_b32 exec_lo, exec_lo, s30
	v_mov_b32_e32 v6, s31
	s_and_saveexec_b32 s30, s29
.LBB166_1073:
	v_lshrrev_b32_e32 v4, 24, v4
	s_delay_alu instid0(VALU_DEP_1)
	v_and_or_b32 v6, 0x80, v4, v5
.LBB166_1074:
	s_or_b32 exec_lo, exec_lo, s30
.LBB166_1075:
	s_delay_alu instid0(SALU_CYCLE_1)
	s_or_b32 exec_lo, exec_lo, s28
	s_mov_b32 s28, 0
	global_store_b8 v[0:1], v6, off
.LBB166_1076:
	s_and_b32 vcc_lo, exec_lo, s28
	s_cbranch_vccz .LBB166_1086
; %bb.1077:
	v_cvt_f32_f16_e32 v4, v2
	s_mov_b32 s28, exec_lo
                                        ; implicit-def: $vgpr5
	s_delay_alu instid0(VALU_DEP_1) | instskip(NEXT) | instid1(VALU_DEP_1)
	v_and_b32_e32 v6, 0x7fffffff, v4
	v_cmpx_gt_u32_e32 0x43f00000, v6
	s_xor_b32 s28, exec_lo, s28
	s_cbranch_execz .LBB166_1083
; %bb.1078:
	s_mov_b32 s29, exec_lo
                                        ; implicit-def: $vgpr5
	v_cmpx_lt_u32_e32 0x3c7fffff, v6
	s_xor_b32 s29, exec_lo, s29
; %bb.1079:
	v_bfe_u32 v5, v4, 20, 1
	s_delay_alu instid0(VALU_DEP_1) | instskip(NEXT) | instid1(VALU_DEP_1)
	v_add3_u32 v5, v4, v5, 0x407ffff
	v_and_b32_e32 v6, 0xff00000, v5
	v_lshrrev_b32_e32 v5, 20, v5
	s_delay_alu instid0(VALU_DEP_2) | instskip(NEXT) | instid1(VALU_DEP_2)
	v_cmp_ne_u32_e32 vcc_lo, 0x7f00000, v6
	v_cndmask_b32_e32 v5, 0x7e, v5, vcc_lo
; %bb.1080:
	s_and_not1_saveexec_b32 s29, s29
; %bb.1081:
	v_add_f32_e64 v5, 0x46800000, |v4|
; %bb.1082:
	s_or_b32 exec_lo, exec_lo, s29
                                        ; implicit-def: $vgpr6
.LBB166_1083:
	s_and_not1_saveexec_b32 s28, s28
; %bb.1084:
	v_mov_b32_e32 v5, 0x7f
	v_cmp_lt_u32_e32 vcc_lo, 0x7f800000, v6
	s_delay_alu instid0(VALU_DEP_2)
	v_cndmask_b32_e32 v5, 0x7e, v5, vcc_lo
; %bb.1085:
	s_or_b32 exec_lo, exec_lo, s28
	v_lshrrev_b32_e32 v4, 24, v4
	s_delay_alu instid0(VALU_DEP_1)
	v_and_or_b32 v4, 0x80, v4, v5
	global_store_b8 v[0:1], v4, off
.LBB166_1086:
	s_mov_b32 s28, 0
.LBB166_1087:
	s_delay_alu instid0(SALU_CYCLE_1)
	s_and_not1_b32 vcc_lo, exec_lo, s28
	s_cbranch_vccnz .LBB166_1097
; %bb.1088:
	v_cvt_f32_f16_e32 v4, v2
	s_mov_b32 s28, exec_lo
                                        ; implicit-def: $vgpr5
	s_delay_alu instid0(VALU_DEP_1) | instskip(NEXT) | instid1(VALU_DEP_1)
	v_and_b32_e32 v6, 0x7fffffff, v4
	v_cmpx_gt_u32_e32 0x47800000, v6
	s_xor_b32 s28, exec_lo, s28
	s_cbranch_execz .LBB166_1094
; %bb.1089:
	s_mov_b32 s29, exec_lo
                                        ; implicit-def: $vgpr5
	v_cmpx_lt_u32_e32 0x387fffff, v6
	s_xor_b32 s29, exec_lo, s29
; %bb.1090:
	v_bfe_u32 v5, v4, 21, 1
	s_delay_alu instid0(VALU_DEP_1) | instskip(NEXT) | instid1(VALU_DEP_1)
	v_add3_u32 v5, v4, v5, 0x80fffff
	v_lshrrev_b32_e32 v5, 21, v5
; %bb.1091:
	s_and_not1_saveexec_b32 s29, s29
; %bb.1092:
	v_add_f32_e64 v5, 0x43000000, |v4|
; %bb.1093:
	s_or_b32 exec_lo, exec_lo, s29
                                        ; implicit-def: $vgpr6
.LBB166_1094:
	s_and_not1_saveexec_b32 s28, s28
; %bb.1095:
	v_mov_b32_e32 v5, 0x7f
	v_cmp_lt_u32_e32 vcc_lo, 0x7f800000, v6
	s_delay_alu instid0(VALU_DEP_2)
	v_cndmask_b32_e32 v5, 0x7c, v5, vcc_lo
; %bb.1096:
	s_or_b32 exec_lo, exec_lo, s28
	v_lshrrev_b32_e32 v4, 24, v4
	s_delay_alu instid0(VALU_DEP_1)
	v_and_or_b32 v4, 0x80, v4, v5
	global_store_b8 v[0:1], v4, off
.LBB166_1097:
	s_mov_b32 s29, 0
	s_mov_b32 s28, -1
.LBB166_1098:
	s_and_not1_b32 vcc_lo, exec_lo, s29
	s_cbranch_vccnz .LBB166_1106
; %bb.1099:
	v_cmp_lt_i16_e32 vcc_lo, 14, v3
	s_mov_b32 s29, -1
	s_cbranch_vccz .LBB166_1103
; %bb.1100:
	v_cmp_eq_u16_e32 vcc_lo, 15, v3
	s_mov_b32 s0, -1
	s_cbranch_vccz .LBB166_1102
; %bb.1101:
	v_cvt_f32_f16_e32 v4, v2
	v_cmp_o_f16_e32 vcc_lo, v2, v2
	s_mov_b32 s28, -1
	s_mov_b32 s0, 0
	s_delay_alu instid0(VALU_DEP_2) | instskip(NEXT) | instid1(VALU_DEP_1)
	v_bfe_u32 v5, v4, 16, 1
	v_add3_u32 v4, v4, v5, 0x7fff
	s_delay_alu instid0(VALU_DEP_1) | instskip(NEXT) | instid1(VALU_DEP_1)
	v_lshrrev_b32_e32 v4, 16, v4
	v_cndmask_b32_e32 v4, 0x7fc0, v4, vcc_lo
	global_store_b16 v[0:1], v4, off
.LBB166_1102:
	s_mov_b32 s29, 0
.LBB166_1103:
	s_delay_alu instid0(SALU_CYCLE_1)
	s_and_b32 vcc_lo, exec_lo, s29
	s_cbranch_vccz .LBB166_1106
; %bb.1104:
	v_cmp_eq_u16_e32 vcc_lo, 11, v3
	s_mov_b32 s0, -1
	s_cbranch_vccz .LBB166_1106
; %bb.1105:
	v_cmp_neq_f16_e32 vcc_lo, 0, v2
	s_mov_b32 s0, 0
	s_mov_b32 s28, -1
	v_cndmask_b32_e64 v4, 0, 1, vcc_lo
	global_store_b8 v[0:1], v4, off
.LBB166_1106:
	s_mov_b32 s29, 0
.LBB166_1107:
	s_delay_alu instid0(SALU_CYCLE_1)
	s_and_b32 vcc_lo, exec_lo, s29
	s_cbranch_vccz .LBB166_1146
; %bb.1108:
	v_cmp_gt_i16_e32 vcc_lo, 5, v3
	s_mov_b32 s28, -1
	s_cbranch_vccnz .LBB166_1129
; %bb.1109:
	v_cmp_gt_i16_e32 vcc_lo, 8, v3
	s_cbranch_vccnz .LBB166_1119
; %bb.1110:
	v_cmp_gt_i16_e32 vcc_lo, 9, v3
	s_cbranch_vccnz .LBB166_1116
; %bb.1111:
	v_cmp_lt_i16_e32 vcc_lo, 9, v3
	s_cbranch_vccz .LBB166_1113
; %bb.1112:
	v_cvt_f32_f16_e32 v4, v2
	v_mov_b32_e32 v10, 0
	s_mov_b32 s28, 0
	s_delay_alu instid0(VALU_DEP_2) | instskip(NEXT) | instid1(VALU_DEP_2)
	v_cvt_f64_f32_e32 v[8:9], v4
	v_mov_b32_e32 v11, v10
	global_store_b128 v[0:1], v[8:11], off
.LBB166_1113:
	s_and_not1_b32 vcc_lo, exec_lo, s28
	s_cbranch_vccnz .LBB166_1115
; %bb.1114:
	v_cvt_f32_f16_e32 v4, v2
	v_mov_b32_e32 v5, 0
	global_store_b64 v[0:1], v[4:5], off
.LBB166_1115:
	s_mov_b32 s28, 0
.LBB166_1116:
	s_delay_alu instid0(SALU_CYCLE_1)
	s_and_not1_b32 vcc_lo, exec_lo, s28
	s_cbranch_vccnz .LBB166_1118
; %bb.1117:
	v_and_b32_e32 v4, 0xffff, v2
	global_store_b32 v[0:1], v4, off
.LBB166_1118:
	s_mov_b32 s28, 0
.LBB166_1119:
	s_delay_alu instid0(SALU_CYCLE_1)
	s_and_not1_b32 vcc_lo, exec_lo, s28
	s_cbranch_vccnz .LBB166_1128
; %bb.1120:
	v_cmp_gt_i16_e32 vcc_lo, 6, v3
	s_mov_b32 s28, -1
	s_cbranch_vccnz .LBB166_1126
; %bb.1121:
	v_cmp_lt_i16_e32 vcc_lo, 6, v3
	s_cbranch_vccz .LBB166_1123
; %bb.1122:
	v_cvt_f32_f16_e32 v4, v2
	s_mov_b32 s28, 0
	s_delay_alu instid0(VALU_DEP_1)
	v_cvt_f64_f32_e32 v[4:5], v4
	global_store_b64 v[0:1], v[4:5], off
.LBB166_1123:
	s_and_not1_b32 vcc_lo, exec_lo, s28
	s_cbranch_vccnz .LBB166_1125
; %bb.1124:
	v_cvt_f32_f16_e32 v4, v2
	global_store_b32 v[0:1], v4, off
.LBB166_1125:
	s_mov_b32 s28, 0
.LBB166_1126:
	s_delay_alu instid0(SALU_CYCLE_1)
	s_and_not1_b32 vcc_lo, exec_lo, s28
	s_cbranch_vccnz .LBB166_1128
; %bb.1127:
	global_store_b16 v[0:1], v2, off
.LBB166_1128:
	s_mov_b32 s28, 0
.LBB166_1129:
	s_delay_alu instid0(SALU_CYCLE_1)
	s_and_not1_b32 vcc_lo, exec_lo, s28
	s_cbranch_vccnz .LBB166_1145
; %bb.1130:
	v_cmp_gt_i16_e32 vcc_lo, 2, v3
	s_mov_b32 s28, -1
	s_cbranch_vccnz .LBB166_1140
; %bb.1131:
	v_cmp_gt_i16_e32 vcc_lo, 3, v3
	s_cbranch_vccnz .LBB166_1137
; %bb.1132:
	v_cmp_lt_i16_e32 vcc_lo, 3, v3
	s_cbranch_vccz .LBB166_1134
; %bb.1133:
	v_cvt_f32_f16_e32 v4, v2
	s_mov_b32 s28, 0
	s_delay_alu instid0(VALU_DEP_1) | instskip(NEXT) | instid1(VALU_DEP_1)
	v_cvt_i32_f32_e32 v4, v4
	v_ashrrev_i32_e32 v5, 31, v4
	global_store_b64 v[0:1], v[4:5], off
.LBB166_1134:
	s_and_not1_b32 vcc_lo, exec_lo, s28
	s_cbranch_vccnz .LBB166_1136
; %bb.1135:
	v_cvt_f32_f16_e32 v4, v2
	s_delay_alu instid0(VALU_DEP_1)
	v_cvt_i32_f32_e32 v4, v4
	global_store_b32 v[0:1], v4, off
.LBB166_1136:
	s_mov_b32 s28, 0
.LBB166_1137:
	s_delay_alu instid0(SALU_CYCLE_1)
	s_and_not1_b32 vcc_lo, exec_lo, s28
	s_cbranch_vccnz .LBB166_1139
; %bb.1138:
	v_cvt_i16_f16_e32 v4, v2
	global_store_b16 v[0:1], v4, off
.LBB166_1139:
	s_mov_b32 s28, 0
.LBB166_1140:
	s_delay_alu instid0(SALU_CYCLE_1)
	s_and_not1_b32 vcc_lo, exec_lo, s28
	s_cbranch_vccnz .LBB166_1145
; %bb.1141:
	v_cmp_lt_i16_e32 vcc_lo, 0, v3
	s_mov_b32 s28, -1
	s_cbranch_vccz .LBB166_1143
; %bb.1142:
	v_cvt_i16_f16_e32 v3, v2
	s_mov_b32 s28, 0
	global_store_b8 v[0:1], v3, off
.LBB166_1143:
	s_and_not1_b32 vcc_lo, exec_lo, s28
	s_cbranch_vccnz .LBB166_1145
; %bb.1144:
	v_cvt_f32_f16_e32 v2, v2
	s_delay_alu instid0(VALU_DEP_1)
	v_cvt_i32_f32_e32 v2, v2
	global_store_b8 v[0:1], v2, off
.LBB166_1145:
	s_mov_b32 s28, -1
.LBB166_1146:
	s_delay_alu instid0(SALU_CYCLE_1)
	s_and_not1_b32 vcc_lo, exec_lo, s28
	s_cbranch_vccnz .LBB166_1148
; %bb.1147:
	v_add_nc_u32_e32 v7, 0x80, v7
	s_mov_b32 s29, -1
	s_branch .LBB166_1150
.LBB166_1148:
	s_mov_b32 s29, 0
.LBB166_1149:
                                        ; implicit-def: $vgpr7
.LBB166_1150:
	s_and_not1_b32 s28, s22, exec_lo
	s_and_b32 s0, s0, exec_lo
	s_and_b32 s27, s27, exec_lo
	s_or_b32 s28, s28, s0
	s_and_not1_b32 s0, s23, exec_lo
	s_and_not1_b32 s30, s21, exec_lo
	s_and_b32 s26, s26, exec_lo
	s_or_b32 s27, s0, s27
	s_or_b32 s26, s30, s26
	s_or_not1_b32 s31, s29, exec_lo
.LBB166_1151:
	s_or_b32 exec_lo, exec_lo, s25
	s_mov_b32 s29, 0
	s_mov_b32 s30, 0
	;; [unrolled: 1-line block ×3, first 2 shown]
                                        ; implicit-def: $vgpr2
                                        ; implicit-def: $vgpr0_vgpr1
                                        ; implicit-def: $vgpr4
	s_and_saveexec_b32 s25, s31
	s_cbranch_execz .LBB166_1234
; %bb.1152:
	v_cmp_gt_i32_e32 vcc_lo, s17, v7
	s_mov_b32 s31, s26
	s_mov_b32 s33, 0
                                        ; implicit-def: $vgpr2
                                        ; implicit-def: $vgpr0_vgpr1
                                        ; implicit-def: $vgpr4
	s_and_saveexec_b32 s17, vcc_lo
	s_cbranch_execz .LBB166_1233
; %bb.1153:
	v_mul_lo_u32 v0, v7, s9
	s_waitcnt vmcnt(0)
	v_and_b32_e64 v2, 0xff, s14
	s_delay_alu instid0(VALU_DEP_1) | instskip(NEXT) | instid1(VALU_DEP_3)
	v_cmp_gt_i16_e32 vcc_lo, 11, v2
	v_ashrrev_i32_e32 v1, 31, v0
	v_add_co_u32 v0, s0, s6, v0
	s_delay_alu instid0(VALU_DEP_1)
	v_add_co_ci_u32_e64 v1, s0, s7, v1, s0
	s_cbranch_vccnz .LBB166_1160
; %bb.1154:
	v_cmp_lt_i16_e32 vcc_lo, 25, v2
	s_cbranch_vccz .LBB166_1161
; %bb.1155:
	v_cmp_lt_i16_e32 vcc_lo, 28, v2
	s_cbranch_vccz .LBB166_1162
	;; [unrolled: 3-line block ×4, first 2 shown]
; %bb.1158:
	v_cmp_eq_u16_e32 vcc_lo, 46, v2
	s_mov_b32 s31, 0
	s_cbranch_vccz .LBB166_1167
; %bb.1159:
	global_load_b32 v3, v[0:1], off
	s_mov_b32 s0, 0
	s_mov_b32 s30, -1
	s_waitcnt vmcnt(0)
	v_lshlrev_b32_e32 v3, 16, v3
	s_delay_alu instid0(VALU_DEP_1)
	v_cvt_f16_f32_e32 v4, v3
	s_branch .LBB166_1169
.LBB166_1160:
	s_mov_b32 s31, -1
	s_mov_b32 s0, s26
                                        ; implicit-def: $vgpr4
	s_branch .LBB166_1232
.LBB166_1161:
	s_mov_b32 s31, -1
	s_mov_b32 s0, s26
                                        ; implicit-def: $vgpr4
	s_branch .LBB166_1198
.LBB166_1162:
	s_mov_b32 s31, -1
	s_mov_b32 s0, s26
                                        ; implicit-def: $vgpr4
	s_branch .LBB166_1179
.LBB166_1163:
	s_mov_b32 s31, -1
	s_mov_b32 s0, s26
                                        ; implicit-def: $vgpr4
	s_branch .LBB166_1174
.LBB166_1164:
	s_mov_b32 s31, -1
	s_mov_b32 s0, s26
	s_branch .LBB166_1168
.LBB166_1165:
	s_or_saveexec_b32 s30, s30
                                        ; implicit-def: $sgpr31
	s_delay_alu instid0(SALU_CYCLE_1)
	s_xor_b32 exec_lo, exec_lo, s30
	s_cbranch_execz .LBB166_1059
.LBB166_1166:
	v_add_f32_e64 v5, 0x46000000, |v4|
	s_and_not1_b32 s29, s29, exec_lo
	s_mov_b32 s31, 0
	s_delay_alu instid0(VALU_DEP_1) | instskip(NEXT) | instid1(VALU_DEP_1)
	v_and_b32_e32 v5, 0xff, v5
	v_cmp_ne_u32_e32 vcc_lo, 0, v5
	s_and_b32 s33, vcc_lo, exec_lo
	s_delay_alu instid0(SALU_CYCLE_1)
	s_or_b32 s29, s29, s33
	s_or_b32 exec_lo, exec_lo, s30
	v_mov_b32_e32 v6, s31
	s_and_saveexec_b32 s30, s29
	s_cbranch_execnz .LBB166_1060
	s_branch .LBB166_1061
.LBB166_1167:
	s_mov_b32 s0, -1
.LBB166_1168:
                                        ; implicit-def: $vgpr4
.LBB166_1169:
	s_and_b32 vcc_lo, exec_lo, s31
	s_cbranch_vccz .LBB166_1173
; %bb.1170:
	v_cmp_eq_u16_e32 vcc_lo, 44, v2
	s_cbranch_vccz .LBB166_1172
; %bb.1171:
	global_load_u8 v3, v[0:1], off
	s_mov_b32 s0, 0
	s_mov_b32 s30, -1
	s_waitcnt vmcnt(0)
	v_lshlrev_b32_e32 v4, 23, v3
	v_cmp_ne_u32_e32 vcc_lo, 0xff, v3
	s_delay_alu instid0(VALU_DEP_2) | instskip(NEXT) | instid1(VALU_DEP_1)
	v_cvt_f16_f32_e32 v4, v4
	v_cndmask_b32_e32 v4, 0x7e00, v4, vcc_lo
	v_cmp_ne_u32_e32 vcc_lo, 0, v3
	s_delay_alu instid0(VALU_DEP_2)
	v_cndmask_b32_e32 v4, 0, v4, vcc_lo
	s_branch .LBB166_1173
.LBB166_1172:
	s_mov_b32 s0, -1
                                        ; implicit-def: $vgpr4
.LBB166_1173:
	s_mov_b32 s31, 0
.LBB166_1174:
	s_delay_alu instid0(SALU_CYCLE_1)
	s_and_b32 vcc_lo, exec_lo, s31
	s_cbranch_vccz .LBB166_1178
; %bb.1175:
	v_cmp_eq_u16_e32 vcc_lo, 29, v2
	s_cbranch_vccz .LBB166_1177
; %bb.1176:
	global_load_b64 v[3:4], v[0:1], off
	s_mov_b32 s0, 0
	s_mov_b32 s30, -1
	s_mov_b32 s31, 0
	s_waitcnt vmcnt(0)
	v_clz_i32_u32_e32 v5, v4
	s_delay_alu instid0(VALU_DEP_1) | instskip(NEXT) | instid1(VALU_DEP_1)
	v_min_u32_e32 v5, 32, v5
	v_lshlrev_b64 v[3:4], v5, v[3:4]
	s_delay_alu instid0(VALU_DEP_1) | instskip(NEXT) | instid1(VALU_DEP_1)
	v_min_u32_e32 v3, 1, v3
	v_or_b32_e32 v3, v4, v3
	v_sub_nc_u32_e32 v4, 32, v5
	s_delay_alu instid0(VALU_DEP_2) | instskip(NEXT) | instid1(VALU_DEP_1)
	v_cvt_f32_u32_e32 v3, v3
	v_ldexp_f32 v3, v3, v4
	s_delay_alu instid0(VALU_DEP_1)
	v_cvt_f16_f32_e32 v4, v3
	s_branch .LBB166_1179
.LBB166_1177:
	s_mov_b32 s0, -1
                                        ; implicit-def: $vgpr4
.LBB166_1178:
	s_mov_b32 s31, 0
.LBB166_1179:
	s_delay_alu instid0(SALU_CYCLE_1)
	s_and_b32 vcc_lo, exec_lo, s31
	s_cbranch_vccz .LBB166_1197
; %bb.1180:
	v_cmp_gt_i16_e32 vcc_lo, 27, v2
	s_cbranch_vccnz .LBB166_1183
; %bb.1181:
	v_cmp_lt_i16_e32 vcc_lo, 27, v2
	s_cbranch_vccz .LBB166_1184
; %bb.1182:
	global_load_b32 v3, v[0:1], off
	s_mov_b32 s30, 0
	s_waitcnt vmcnt(0)
	v_cvt_f32_u32_e32 v3, v3
	s_delay_alu instid0(VALU_DEP_1)
	v_cvt_f16_f32_e32 v4, v3
	s_branch .LBB166_1185
.LBB166_1183:
	s_mov_b32 s30, -1
                                        ; implicit-def: $vgpr4
	s_branch .LBB166_1188
.LBB166_1184:
	s_mov_b32 s30, -1
                                        ; implicit-def: $vgpr4
.LBB166_1185:
	s_delay_alu instid0(SALU_CYCLE_1)
	s_and_not1_b32 vcc_lo, exec_lo, s30
	s_cbranch_vccnz .LBB166_1187
; %bb.1186:
	global_load_u16 v3, v[0:1], off
	s_waitcnt vmcnt(0)
	v_cvt_f16_u16_e32 v4, v3
.LBB166_1187:
	s_mov_b32 s30, 0
.LBB166_1188:
	s_delay_alu instid0(SALU_CYCLE_1)
	s_and_not1_b32 vcc_lo, exec_lo, s30
	s_cbranch_vccnz .LBB166_1196
; %bb.1189:
	global_load_u8 v3, v[0:1], off
	s_mov_b32 s30, 0
	s_mov_b32 s33, exec_lo
                                        ; implicit-def: $sgpr31
	s_waitcnt vmcnt(0)
	v_cmpx_lt_i16_e32 0x7f, v3
	s_xor_b32 s33, exec_lo, s33
	s_cbranch_execz .LBB166_1210
; %bb.1190:
	s_mov_b32 s30, -1
	s_mov_b32 s34, exec_lo
                                        ; implicit-def: $sgpr31
	v_cmpx_eq_u16_e32 0x80, v3
; %bb.1191:
	s_movk_i32 s31, 0x7e00
	s_xor_b32 s30, exec_lo, -1
; %bb.1192:
	s_or_b32 exec_lo, exec_lo, s34
	s_delay_alu instid0(SALU_CYCLE_1)
	s_and_b32 s30, s30, exec_lo
	s_or_saveexec_b32 s33, s33
	v_mov_b32_e32 v4, s31
	s_xor_b32 exec_lo, exec_lo, s33
	s_cbranch_execnz .LBB166_1211
.LBB166_1193:
	s_or_b32 exec_lo, exec_lo, s33
	s_and_saveexec_b32 s31, s30
	s_cbranch_execz .LBB166_1195
.LBB166_1194:
	v_and_b32_e32 v4, 0xffff, v3
	v_lshlrev_b32_e32 v3, 24, v3
	s_delay_alu instid0(VALU_DEP_2) | instskip(NEXT) | instid1(VALU_DEP_2)
	v_and_b32_e32 v5, 7, v4
	v_and_b32_e32 v3, 0x80000000, v3
	s_delay_alu instid0(VALU_DEP_2) | instskip(NEXT) | instid1(VALU_DEP_1)
	v_clz_i32_u32_e32 v6, v5
	v_min_u32_e32 v6, 32, v6
	s_delay_alu instid0(VALU_DEP_1) | instskip(SKIP_1) | instid1(VALU_DEP_2)
	v_subrev_nc_u32_e32 v8, 28, v6
	v_sub_nc_u32_e32 v6, 29, v6
	v_lshlrev_b32_e32 v8, v8, v4
	v_bfe_u32 v4, v4, 3, 4
	s_delay_alu instid0(VALU_DEP_2) | instskip(NEXT) | instid1(VALU_DEP_2)
	v_and_b32_e32 v8, 7, v8
	v_cmp_eq_u32_e32 vcc_lo, 0, v4
	s_delay_alu instid0(VALU_DEP_2) | instskip(NEXT) | instid1(VALU_DEP_1)
	v_dual_cndmask_b32 v4, v4, v6 :: v_dual_cndmask_b32 v5, v5, v8
	v_lshl_add_u32 v4, v4, 23, 0x3b800000
	s_delay_alu instid0(VALU_DEP_2) | instskip(NEXT) | instid1(VALU_DEP_1)
	v_lshlrev_b32_e32 v5, 20, v5
	v_or3_b32 v3, v3, v4, v5
	s_delay_alu instid0(VALU_DEP_1)
	v_cvt_f16_f32_e32 v4, v3
.LBB166_1195:
	s_or_b32 exec_lo, exec_lo, s31
.LBB166_1196:
	s_mov_b32 s30, -1
.LBB166_1197:
	s_mov_b32 s31, 0
.LBB166_1198:
	s_delay_alu instid0(SALU_CYCLE_1)
	s_and_b32 vcc_lo, exec_lo, s31
	s_cbranch_vccz .LBB166_1231
; %bb.1199:
	v_cmp_lt_i16_e32 vcc_lo, 22, v2
	s_cbranch_vccz .LBB166_1209
; %bb.1200:
	v_cmp_gt_i16_e32 vcc_lo, 24, v2
	s_cbranch_vccnz .LBB166_1212
; %bb.1201:
	v_cmp_lt_i16_e32 vcc_lo, 24, v2
	s_cbranch_vccz .LBB166_1213
; %bb.1202:
	global_load_u8 v3, v[0:1], off
	s_mov_b32 s31, exec_lo
                                        ; implicit-def: $sgpr30
	s_waitcnt vmcnt(0)
	v_cmpx_lt_i16_e32 0x7f, v3
	s_xor_b32 s31, exec_lo, s31
	s_cbranch_execz .LBB166_1225
; %bb.1203:
	s_mov_b32 s29, -1
	s_mov_b32 s33, exec_lo
                                        ; implicit-def: $sgpr30
	v_cmpx_eq_u16_e32 0x80, v3
; %bb.1204:
	s_movk_i32 s30, 0x7e00
	s_xor_b32 s29, exec_lo, -1
; %bb.1205:
	s_or_b32 exec_lo, exec_lo, s33
	s_delay_alu instid0(SALU_CYCLE_1)
	s_and_b32 s29, s29, exec_lo
	s_or_saveexec_b32 s31, s31
	v_mov_b32_e32 v4, s30
	s_xor_b32 exec_lo, exec_lo, s31
	s_cbranch_execnz .LBB166_1226
.LBB166_1206:
	s_or_b32 exec_lo, exec_lo, s31
	s_and_saveexec_b32 s30, s29
	s_cbranch_execz .LBB166_1208
.LBB166_1207:
	v_and_b32_e32 v4, 0xffff, v3
	v_lshlrev_b32_e32 v3, 24, v3
	s_delay_alu instid0(VALU_DEP_2) | instskip(NEXT) | instid1(VALU_DEP_2)
	v_and_b32_e32 v5, 3, v4
	v_and_b32_e32 v3, 0x80000000, v3
	s_delay_alu instid0(VALU_DEP_2) | instskip(NEXT) | instid1(VALU_DEP_1)
	v_clz_i32_u32_e32 v6, v5
	v_min_u32_e32 v6, 32, v6
	s_delay_alu instid0(VALU_DEP_1) | instskip(SKIP_1) | instid1(VALU_DEP_2)
	v_subrev_nc_u32_e32 v8, 29, v6
	v_sub_nc_u32_e32 v6, 30, v6
	v_lshlrev_b32_e32 v8, v8, v4
	v_bfe_u32 v4, v4, 2, 5
	s_delay_alu instid0(VALU_DEP_2) | instskip(NEXT) | instid1(VALU_DEP_2)
	v_and_b32_e32 v8, 3, v8
	v_cmp_eq_u32_e32 vcc_lo, 0, v4
	s_delay_alu instid0(VALU_DEP_2) | instskip(NEXT) | instid1(VALU_DEP_1)
	v_dual_cndmask_b32 v4, v4, v6 :: v_dual_cndmask_b32 v5, v5, v8
	v_lshl_add_u32 v4, v4, 23, 0x37800000
	s_delay_alu instid0(VALU_DEP_2) | instskip(NEXT) | instid1(VALU_DEP_1)
	v_lshlrev_b32_e32 v5, 21, v5
	v_or3_b32 v3, v3, v4, v5
	s_delay_alu instid0(VALU_DEP_1)
	v_cvt_f16_f32_e32 v4, v3
.LBB166_1208:
	s_or_b32 exec_lo, exec_lo, s30
	s_mov_b32 s29, 0
	s_branch .LBB166_1214
.LBB166_1209:
	s_mov_b32 s29, -1
                                        ; implicit-def: $vgpr4
	s_branch .LBB166_1220
.LBB166_1210:
	s_or_saveexec_b32 s33, s33
	v_mov_b32_e32 v4, s31
	s_xor_b32 exec_lo, exec_lo, s33
	s_cbranch_execz .LBB166_1193
.LBB166_1211:
	v_cmp_ne_u16_e32 vcc_lo, 0, v3
	v_mov_b32_e32 v4, v3
	s_and_not1_b32 s30, s30, exec_lo
	s_and_b32 s31, vcc_lo, exec_lo
	s_delay_alu instid0(SALU_CYCLE_1)
	s_or_b32 s30, s30, s31
	s_or_b32 exec_lo, exec_lo, s33
	s_and_saveexec_b32 s31, s30
	s_cbranch_execnz .LBB166_1194
	s_branch .LBB166_1195
.LBB166_1212:
	s_mov_b32 s29, -1
                                        ; implicit-def: $vgpr4
	s_branch .LBB166_1217
.LBB166_1213:
	s_mov_b32 s29, -1
                                        ; implicit-def: $vgpr4
.LBB166_1214:
	s_delay_alu instid0(SALU_CYCLE_1)
	s_and_b32 vcc_lo, exec_lo, s29
	s_cbranch_vccz .LBB166_1216
; %bb.1215:
	global_load_u8 v3, v[0:1], off
	s_waitcnt vmcnt(0)
	v_lshlrev_b32_e32 v3, 24, v3
	s_delay_alu instid0(VALU_DEP_1) | instskip(NEXT) | instid1(VALU_DEP_1)
	v_and_b32_e32 v4, 0x7f000000, v3
	v_clz_i32_u32_e32 v5, v4
	v_add_nc_u32_e32 v8, 0x1000000, v4
	v_cmp_ne_u32_e32 vcc_lo, 0, v4
	s_delay_alu instid0(VALU_DEP_3) | instskip(NEXT) | instid1(VALU_DEP_1)
	v_min_u32_e32 v5, 32, v5
	v_sub_nc_u32_e64 v5, v5, 4 clamp
	s_delay_alu instid0(VALU_DEP_1) | instskip(SKIP_1) | instid1(VALU_DEP_2)
	v_lshlrev_b32_e32 v6, v5, v4
	v_lshlrev_b32_e32 v5, 23, v5
	v_lshrrev_b32_e32 v6, 4, v6
	s_delay_alu instid0(VALU_DEP_1) | instskip(SKIP_1) | instid1(VALU_DEP_2)
	v_sub_nc_u32_e32 v5, v6, v5
	v_ashrrev_i32_e32 v6, 8, v8
	v_add_nc_u32_e32 v5, 0x3c000000, v5
	s_delay_alu instid0(VALU_DEP_1) | instskip(NEXT) | instid1(VALU_DEP_1)
	v_and_or_b32 v5, 0x7f800000, v6, v5
	v_cndmask_b32_e32 v4, 0, v5, vcc_lo
	s_delay_alu instid0(VALU_DEP_1) | instskip(NEXT) | instid1(VALU_DEP_1)
	v_and_or_b32 v3, 0x80000000, v3, v4
	v_cvt_f16_f32_e32 v4, v3
.LBB166_1216:
	s_mov_b32 s29, 0
.LBB166_1217:
	s_delay_alu instid0(SALU_CYCLE_1)
	s_and_not1_b32 vcc_lo, exec_lo, s29
	s_cbranch_vccnz .LBB166_1219
; %bb.1218:
	global_load_u8 v3, v[0:1], off
	s_waitcnt vmcnt(0)
	v_lshlrev_b32_e32 v4, 25, v3
	v_lshlrev_b16 v3, 8, v3
	s_delay_alu instid0(VALU_DEP_2) | instskip(NEXT) | instid1(VALU_DEP_2)
	v_lshrrev_b32_e32 v5, 4, v4
	v_and_or_b32 v6, 0x7f00, v3, 0.5
	v_bfe_i32 v3, v3, 0, 16
	s_delay_alu instid0(VALU_DEP_3) | instskip(NEXT) | instid1(VALU_DEP_1)
	v_or_b32_e32 v5, 0x70000000, v5
	v_dual_add_f32 v6, -0.5, v6 :: v_dual_mul_f32 v5, 0x7800000, v5
	v_cmp_gt_u32_e32 vcc_lo, 0x8000000, v4
	s_delay_alu instid0(VALU_DEP_2) | instskip(NEXT) | instid1(VALU_DEP_1)
	v_cndmask_b32_e32 v4, v5, v6, vcc_lo
	v_and_or_b32 v3, 0x80000000, v3, v4
	s_delay_alu instid0(VALU_DEP_1)
	v_cvt_f16_f32_e32 v4, v3
.LBB166_1219:
	s_mov_b32 s29, 0
	s_mov_b32 s30, -1
.LBB166_1220:
	s_and_not1_b32 vcc_lo, exec_lo, s29
	s_mov_b32 s29, 0
	s_cbranch_vccnz .LBB166_1231
; %bb.1221:
	v_cmp_lt_i16_e32 vcc_lo, 14, v2
	s_cbranch_vccz .LBB166_1224
; %bb.1222:
	v_cmp_eq_u16_e32 vcc_lo, 15, v2
	s_cbranch_vccz .LBB166_1227
; %bb.1223:
	global_load_u16 v3, v[0:1], off
	s_mov_b32 s0, 0
	s_mov_b32 s30, -1
	s_waitcnt vmcnt(0)
	v_lshlrev_b32_e32 v3, 16, v3
	s_delay_alu instid0(VALU_DEP_1)
	v_cvt_f16_f32_e32 v4, v3
	s_branch .LBB166_1229
.LBB166_1224:
	s_mov_b32 s29, -1
	s_branch .LBB166_1228
.LBB166_1225:
	s_or_saveexec_b32 s31, s31
	v_mov_b32_e32 v4, s30
	s_xor_b32 exec_lo, exec_lo, s31
	s_cbranch_execz .LBB166_1206
.LBB166_1226:
	v_cmp_ne_u16_e32 vcc_lo, 0, v3
	v_mov_b32_e32 v4, v3
	s_and_not1_b32 s29, s29, exec_lo
	s_and_b32 s30, vcc_lo, exec_lo
	s_delay_alu instid0(SALU_CYCLE_1)
	s_or_b32 s29, s29, s30
	s_or_b32 exec_lo, exec_lo, s31
	s_and_saveexec_b32 s30, s29
	s_cbranch_execnz .LBB166_1207
	s_branch .LBB166_1208
.LBB166_1227:
	s_mov_b32 s0, -1
.LBB166_1228:
                                        ; implicit-def: $vgpr4
.LBB166_1229:
	s_and_b32 vcc_lo, exec_lo, s29
	s_mov_b32 s29, 0
	s_cbranch_vccz .LBB166_1231
; %bb.1230:
	v_cmp_ne_u16_e32 vcc_lo, 11, v2
	s_and_not1_b32 s0, s0, exec_lo
	s_mov_b32 s29, -1
                                        ; implicit-def: $vgpr4
	s_and_b32 s31, vcc_lo, exec_lo
	s_delay_alu instid0(SALU_CYCLE_1)
	s_or_b32 s0, s0, s31
.LBB166_1231:
	s_mov_b32 s31, 0
.LBB166_1232:
	s_and_b32 s33, s30, exec_lo
	s_and_b32 s30, s31, exec_lo
	s_and_not1_b32 s31, s26, exec_lo
	s_and_b32 s0, s0, exec_lo
	s_and_b32 s29, s29, exec_lo
	s_or_b32 s31, s31, s0
.LBB166_1233:
	s_or_b32 exec_lo, exec_lo, s17
	s_delay_alu instid0(SALU_CYCLE_1)
	s_and_not1_b32 s17, s26, exec_lo
	s_and_b32 s26, s31, exec_lo
	s_and_b32 s0, s33, exec_lo
	;; [unrolled: 1-line block ×4, first 2 shown]
	s_or_b32 s26, s17, s26
.LBB166_1234:
	s_or_b32 exec_lo, exec_lo, s25
	s_delay_alu instid0(SALU_CYCLE_1)
	s_and_not1_b32 s17, s22, exec_lo
	s_and_b32 s22, s28, exec_lo
	s_and_not1_b32 s23, s23, exec_lo
	s_and_b32 s25, s27, exec_lo
	s_or_b32 s22, s17, s22
	s_and_not1_b32 s17, s21, exec_lo
	s_and_b32 s21, s26, exec_lo
	s_or_b32 s23, s23, s25
	s_and_b32 s0, s0, exec_lo
	s_and_b32 s27, s30, exec_lo
	;; [unrolled: 1-line block ×3, first 2 shown]
	s_or_b32 s21, s17, s21
.LBB166_1235:
	s_or_b32 exec_lo, exec_lo, s24
	s_delay_alu instid0(SALU_CYCLE_1)
	s_and_not1_b32 s16, s16, exec_lo
	s_and_b32 s17, s22, exec_lo
	s_and_not1_b32 s18, s18, exec_lo
	s_and_b32 s22, s23, exec_lo
	s_or_b32 s16, s16, s17
	s_and_not1_b32 s17, s19, exec_lo
	s_and_b32 s19, s21, exec_lo
	s_or_b32 s18, s18, s22
	s_and_b32 s0, s0, exec_lo
	s_and_b32 s22, s27, exec_lo
	;; [unrolled: 1-line block ×3, first 2 shown]
	s_or_b32 s19, s17, s19
.LBB166_1236:
	s_or_b32 exec_lo, exec_lo, s20
	s_mov_b32 s17, 0
	s_and_saveexec_b32 s20, s19
	s_cbranch_execnz .LBB166_1248
; %bb.1237:
	s_or_b32 exec_lo, exec_lo, s20
	s_and_saveexec_b32 s19, s21
	s_delay_alu instid0(SALU_CYCLE_1)
	s_xor_b32 s19, exec_lo, s19
	s_cbranch_execz .LBB166_1239
.LBB166_1238:
	global_load_u8 v3, v[0:1], off
	s_or_b32 s0, s0, exec_lo
	s_waitcnt vmcnt(0)
	v_cmp_ne_u16_e32 vcc_lo, 0, v3
	v_cndmask_b32_e64 v4, 0, 0x3c00, vcc_lo
.LBB166_1239:
	s_or_b32 exec_lo, exec_lo, s19
	s_and_saveexec_b32 s19, s22
	s_cbranch_execz .LBB166_1287
; %bb.1240:
	s_waitcnt vmcnt(0)
	v_cmp_gt_i16_e32 vcc_lo, 5, v2
	s_cbranch_vccnz .LBB166_1245
; %bb.1241:
	v_cmp_gt_i16_e32 vcc_lo, 8, v2
	s_cbranch_vccnz .LBB166_1246
; %bb.1242:
	;; [unrolled: 3-line block ×3, first 2 shown]
	v_cmp_lt_i16_e32 vcc_lo, 9, v2
	s_cbranch_vccz .LBB166_1250
; %bb.1244:
	global_load_b64 v[3:4], v[0:1], off
	s_mov_b32 s20, 0
	s_waitcnt vmcnt(0)
	v_cvt_f32_f64_e32 v3, v[3:4]
	s_delay_alu instid0(VALU_DEP_1)
	v_cvt_f16_f32_e32 v4, v3
	s_branch .LBB166_1251
.LBB166_1245:
                                        ; implicit-def: $vgpr4
	s_branch .LBB166_1268
.LBB166_1246:
                                        ; implicit-def: $vgpr4
	s_branch .LBB166_1257
.LBB166_1247:
	s_mov_b32 s20, -1
                                        ; implicit-def: $vgpr4
	s_branch .LBB166_1254
.LBB166_1248:
	s_cbranch_execnz .LBB166_1299
; %bb.1249:
	s_mov_b32 s17, exec_lo
	s_and_not1_b32 s21, s21, exec_lo
                                        ; implicit-def: $vgpr4
	s_or_b32 exec_lo, exec_lo, s20
	s_and_saveexec_b32 s19, s21
	s_delay_alu instid0(SALU_CYCLE_1)
	s_xor_b32 s19, exec_lo, s19
	s_cbranch_execnz .LBB166_1238
	s_branch .LBB166_1239
.LBB166_1250:
	s_mov_b32 s20, -1
                                        ; implicit-def: $vgpr4
.LBB166_1251:
	s_delay_alu instid0(SALU_CYCLE_1)
	s_and_not1_b32 vcc_lo, exec_lo, s20
	s_cbranch_vccnz .LBB166_1253
; %bb.1252:
	global_load_b32 v3, v[0:1], off
	s_waitcnt vmcnt(0)
	v_cvt_f16_f32_e32 v4, v3
.LBB166_1253:
	s_mov_b32 s20, 0
.LBB166_1254:
	s_delay_alu instid0(SALU_CYCLE_1)
	s_and_not1_b32 vcc_lo, exec_lo, s20
	s_cbranch_vccnz .LBB166_1256
; %bb.1255:
	global_load_b32 v4, v[0:1], off
.LBB166_1256:
	s_cbranch_execnz .LBB166_1267
.LBB166_1257:
	v_cmp_gt_i16_e32 vcc_lo, 6, v2
	s_cbranch_vccnz .LBB166_1260
; %bb.1258:
	v_cmp_lt_i16_e32 vcc_lo, 6, v2
	s_cbranch_vccz .LBB166_1261
; %bb.1259:
	global_load_b64 v[3:4], v[0:1], off
	s_mov_b32 s20, 0
	s_waitcnt vmcnt(0)
	v_cvt_f32_f64_e32 v3, v[3:4]
	s_delay_alu instid0(VALU_DEP_1)
	v_cvt_f16_f32_e32 v4, v3
	s_branch .LBB166_1262
.LBB166_1260:
	s_mov_b32 s20, -1
                                        ; implicit-def: $vgpr4
	s_branch .LBB166_1265
.LBB166_1261:
	s_mov_b32 s20, -1
                                        ; implicit-def: $vgpr4
.LBB166_1262:
	s_delay_alu instid0(SALU_CYCLE_1)
	s_and_not1_b32 vcc_lo, exec_lo, s20
	s_cbranch_vccnz .LBB166_1264
; %bb.1263:
	global_load_b32 v3, v[0:1], off
	s_waitcnt vmcnt(0)
	v_cvt_f16_f32_e32 v4, v3
.LBB166_1264:
	s_mov_b32 s20, 0
.LBB166_1265:
	s_delay_alu instid0(SALU_CYCLE_1)
	s_and_not1_b32 vcc_lo, exec_lo, s20
	s_cbranch_vccnz .LBB166_1267
; %bb.1266:
	global_load_u16 v4, v[0:1], off
.LBB166_1267:
	s_cbranch_execnz .LBB166_1286
.LBB166_1268:
	v_cmp_gt_i16_e32 vcc_lo, 2, v2
	s_cbranch_vccnz .LBB166_1272
; %bb.1269:
	v_cmp_gt_i16_e32 vcc_lo, 3, v2
	s_cbranch_vccnz .LBB166_1273
; %bb.1270:
	v_cmp_lt_i16_e32 vcc_lo, 3, v2
	s_cbranch_vccz .LBB166_1274
; %bb.1271:
	global_load_b64 v[3:4], v[0:1], off
	s_mov_b32 s20, 0
	s_waitcnt vmcnt(0)
	v_xor_b32_e32 v5, v3, v4
	v_cls_i32_e32 v6, v4
	s_delay_alu instid0(VALU_DEP_2) | instskip(NEXT) | instid1(VALU_DEP_2)
	v_ashrrev_i32_e32 v5, 31, v5
	v_add_nc_u32_e32 v6, -1, v6
	s_delay_alu instid0(VALU_DEP_2) | instskip(NEXT) | instid1(VALU_DEP_1)
	v_add_nc_u32_e32 v5, 32, v5
	v_min_u32_e32 v5, v6, v5
	s_delay_alu instid0(VALU_DEP_1) | instskip(NEXT) | instid1(VALU_DEP_1)
	v_lshlrev_b64 v[3:4], v5, v[3:4]
	v_min_u32_e32 v3, 1, v3
	s_delay_alu instid0(VALU_DEP_1) | instskip(SKIP_1) | instid1(VALU_DEP_2)
	v_or_b32_e32 v3, v4, v3
	v_sub_nc_u32_e32 v4, 32, v5
	v_cvt_f32_i32_e32 v3, v3
	s_delay_alu instid0(VALU_DEP_1) | instskip(NEXT) | instid1(VALU_DEP_1)
	v_ldexp_f32 v3, v3, v4
	v_cvt_f16_f32_e32 v4, v3
	s_branch .LBB166_1275
.LBB166_1272:
                                        ; implicit-def: $vgpr4
	s_branch .LBB166_1281
.LBB166_1273:
	s_mov_b32 s20, -1
                                        ; implicit-def: $vgpr4
	s_branch .LBB166_1278
.LBB166_1274:
	s_mov_b32 s20, -1
                                        ; implicit-def: $vgpr4
.LBB166_1275:
	s_delay_alu instid0(SALU_CYCLE_1)
	s_and_not1_b32 vcc_lo, exec_lo, s20
	s_cbranch_vccnz .LBB166_1277
; %bb.1276:
	global_load_b32 v3, v[0:1], off
	s_waitcnt vmcnt(0)
	v_cvt_f32_i32_e32 v3, v3
	s_delay_alu instid0(VALU_DEP_1)
	v_cvt_f16_f32_e32 v4, v3
.LBB166_1277:
	s_mov_b32 s20, 0
.LBB166_1278:
	s_delay_alu instid0(SALU_CYCLE_1)
	s_and_not1_b32 vcc_lo, exec_lo, s20
	s_cbranch_vccnz .LBB166_1280
; %bb.1279:
	global_load_u16 v3, v[0:1], off
	s_waitcnt vmcnt(0)
	v_cvt_f16_i16_e32 v4, v3
.LBB166_1280:
	s_cbranch_execnz .LBB166_1286
.LBB166_1281:
	v_cmp_lt_i16_e32 vcc_lo, 0, v2
	s_mov_b32 s20, 0
	s_cbranch_vccz .LBB166_1283
; %bb.1282:
	global_load_i8 v2, v[0:1], off
	s_waitcnt vmcnt(0)
	v_cvt_f16_i16_e32 v4, v2
	s_branch .LBB166_1284
.LBB166_1283:
	s_mov_b32 s20, -1
                                        ; implicit-def: $vgpr4
.LBB166_1284:
	s_delay_alu instid0(SALU_CYCLE_1)
	s_and_not1_b32 vcc_lo, exec_lo, s20
	s_cbranch_vccnz .LBB166_1286
; %bb.1285:
	global_load_u8 v0, v[0:1], off
	s_waitcnt vmcnt(0)
	v_cvt_f16_u16_e32 v4, v0
.LBB166_1286:
	s_or_b32 s0, s0, exec_lo
.LBB166_1287:
	s_or_b32 exec_lo, exec_lo, s19
	s_mov_b32 s21, 0
	s_mov_b32 s22, 0
	;; [unrolled: 1-line block ×3, first 2 shown]
                                        ; implicit-def: $vgpr5
                                        ; implicit-def: $vgpr0_vgpr1
                                        ; implicit-def: $vgpr2
	s_and_saveexec_b32 s19, s0
	s_cbranch_execz .LBB166_1363
; %bb.1288:
	v_mul_lo_u32 v0, v7, s10
	v_and_b32_e64 v5, 0xff, s1
	s_delay_alu instid0(VALU_DEP_1) | instskip(NEXT) | instid1(VALU_DEP_3)
	v_cmp_gt_i16_e32 vcc_lo, 11, v5
	v_ashrrev_i32_e32 v1, 31, v0
	v_add_co_u32 v0, s0, s2, v0
	s_delay_alu instid0(VALU_DEP_1)
	v_add_co_ci_u32_e64 v1, s0, s3, v1, s0
	s_cbranch_vccnz .LBB166_1295
; %bb.1289:
	v_cmp_lt_i16_e32 vcc_lo, 25, v5
	s_cbranch_vccz .LBB166_1296
; %bb.1290:
	v_cmp_lt_i16_e32 vcc_lo, 28, v5
	s_cbranch_vccz .LBB166_1297
	;; [unrolled: 3-line block ×4, first 2 shown]
; %bb.1293:
	v_cmp_eq_u16_e32 vcc_lo, 46, v5
	s_cbranch_vccz .LBB166_1302
; %bb.1294:
	global_load_b32 v2, v[0:1], off
	s_mov_b32 s0, 0
	s_mov_b32 s20, -1
	s_waitcnt vmcnt(0)
	v_lshlrev_b32_e32 v2, 16, v2
	s_delay_alu instid0(VALU_DEP_1) | instskip(NEXT) | instid1(VALU_DEP_1)
	v_trunc_f32_e32 v2, v2
	v_mul_f32_e64 v3, 0x2f800000, |v2|
	s_delay_alu instid0(VALU_DEP_1) | instskip(NEXT) | instid1(VALU_DEP_1)
	v_floor_f32_e32 v3, v3
	v_fma_f32 v3, 0xcf800000, v3, |v2|
	v_ashrrev_i32_e32 v2, 31, v2
	s_delay_alu instid0(VALU_DEP_2) | instskip(NEXT) | instid1(VALU_DEP_1)
	v_cvt_u32_f32_e32 v3, v3
	v_xor_b32_e32 v3, v3, v2
	s_delay_alu instid0(VALU_DEP_1)
	v_sub_nc_u32_e32 v2, v3, v2
	s_branch .LBB166_1304
.LBB166_1295:
	s_mov_b32 s22, -1
	s_mov_b32 s0, s18
                                        ; implicit-def: $vgpr2
	s_branch .LBB166_1362
.LBB166_1296:
	s_mov_b32 s0, s18
                                        ; implicit-def: $vgpr2
	s_cbranch_execnz .LBB166_1331
	s_branch .LBB166_1361
.LBB166_1297:
	s_mov_b32 s22, -1
	s_mov_b32 s0, s18
                                        ; implicit-def: $vgpr2
	s_branch .LBB166_1314
.LBB166_1298:
	s_mov_b32 s22, -1
	s_mov_b32 s0, s18
                                        ; implicit-def: $vgpr2
	s_branch .LBB166_1309
.LBB166_1299:
	s_trap 2
	s_sendmsg_rtn_b32 s0, sendmsg(MSG_RTN_GET_DOORBELL)
	s_mov_b32 ttmp2, m0
	s_waitcnt lgkmcnt(0)
	s_and_b32 s0, s0, 0x3ff
	s_delay_alu instid0(SALU_CYCLE_1) | instskip(NEXT) | instid1(SALU_CYCLE_1)
	s_bitset1_b32 s0, 10
	s_mov_b32 m0, s0
	s_sendmsg sendmsg(MSG_INTERRUPT)
	s_mov_b32 m0, ttmp2
.LBB166_1300:                           ; =>This Inner Loop Header: Depth=1
	s_sethalt 5
	s_branch .LBB166_1300
.LBB166_1301:
	s_mov_b32 s22, -1
	s_mov_b32 s0, s18
	s_branch .LBB166_1303
.LBB166_1302:
	s_mov_b32 s0, -1
.LBB166_1303:
                                        ; implicit-def: $vgpr2
.LBB166_1304:
	s_and_b32 vcc_lo, exec_lo, s22
	s_cbranch_vccz .LBB166_1308
; %bb.1305:
	v_cmp_eq_u16_e32 vcc_lo, 44, v5
	s_cbranch_vccz .LBB166_1307
; %bb.1306:
	global_load_u8 v2, v[0:1], off
	s_mov_b32 s0, 0
	s_mov_b32 s20, -1
	s_waitcnt vmcnt(0)
	v_lshlrev_b32_e32 v3, 23, v2
	v_cmp_ne_u32_e32 vcc_lo, 0, v2
	s_delay_alu instid0(VALU_DEP_2) | instskip(NEXT) | instid1(VALU_DEP_1)
	v_trunc_f32_e32 v3, v3
	v_mul_f32_e64 v6, 0x2f800000, |v3|
	s_delay_alu instid0(VALU_DEP_1) | instskip(NEXT) | instid1(VALU_DEP_1)
	v_floor_f32_e32 v6, v6
	v_fma_f32 v6, 0xcf800000, v6, |v3|
	v_ashrrev_i32_e32 v3, 31, v3
	s_delay_alu instid0(VALU_DEP_2) | instskip(NEXT) | instid1(VALU_DEP_1)
	v_cvt_u32_f32_e32 v6, v6
	v_xor_b32_e32 v6, v6, v3
	s_delay_alu instid0(VALU_DEP_1) | instskip(NEXT) | instid1(VALU_DEP_1)
	v_sub_nc_u32_e32 v3, v6, v3
	v_cndmask_b32_e32 v2, 0, v3, vcc_lo
	s_branch .LBB166_1308
.LBB166_1307:
	s_mov_b32 s0, -1
                                        ; implicit-def: $vgpr2
.LBB166_1308:
	s_mov_b32 s22, 0
.LBB166_1309:
	s_delay_alu instid0(SALU_CYCLE_1)
	s_and_b32 vcc_lo, exec_lo, s22
	s_cbranch_vccz .LBB166_1313
; %bb.1310:
	v_cmp_eq_u16_e32 vcc_lo, 29, v5
	s_cbranch_vccz .LBB166_1312
; %bb.1311:
	global_load_b64 v[2:3], v[0:1], off
	s_mov_b32 s0, 0
	s_mov_b32 s20, -1
	s_branch .LBB166_1313
.LBB166_1312:
	s_mov_b32 s0, -1
                                        ; implicit-def: $vgpr2
.LBB166_1313:
	s_mov_b32 s22, 0
.LBB166_1314:
	s_delay_alu instid0(SALU_CYCLE_1)
	s_and_b32 vcc_lo, exec_lo, s22
	s_cbranch_vccz .LBB166_1330
; %bb.1315:
	v_cmp_gt_i16_e32 vcc_lo, 27, v5
	s_cbranch_vccnz .LBB166_1318
; %bb.1316:
	v_cmp_lt_i16_e32 vcc_lo, 27, v5
	s_cbranch_vccz .LBB166_1319
; %bb.1317:
	global_load_b32 v2, v[0:1], off
	s_mov_b32 s20, 0
	s_branch .LBB166_1320
.LBB166_1318:
	s_mov_b32 s20, -1
                                        ; implicit-def: $vgpr2
	s_branch .LBB166_1323
.LBB166_1319:
	s_mov_b32 s20, -1
                                        ; implicit-def: $vgpr2
.LBB166_1320:
	s_delay_alu instid0(SALU_CYCLE_1)
	s_and_not1_b32 vcc_lo, exec_lo, s20
	s_cbranch_vccnz .LBB166_1322
; %bb.1321:
	global_load_u16 v2, v[0:1], off
.LBB166_1322:
	s_mov_b32 s20, 0
.LBB166_1323:
	s_delay_alu instid0(SALU_CYCLE_1)
	s_and_not1_b32 vcc_lo, exec_lo, s20
	s_cbranch_vccnz .LBB166_1329
; %bb.1324:
	global_load_u8 v3, v[0:1], off
	s_mov_b32 s22, 0
	s_mov_b32 s20, exec_lo
                                        ; implicit-def: $sgpr23
	s_waitcnt vmcnt(0)
	v_cmpx_lt_i16_e32 0x7f, v3
	s_xor_b32 s20, exec_lo, s20
	s_cbranch_execz .LBB166_1340
; %bb.1325:
	v_cmp_ne_u16_e32 vcc_lo, 0x80, v3
	s_mov_b32 s23, 0
	s_and_b32 s22, vcc_lo, exec_lo
	s_or_saveexec_b32 s20, s20
	v_mov_b32_e32 v2, s23
	s_xor_b32 exec_lo, exec_lo, s20
	s_cbranch_execnz .LBB166_1341
.LBB166_1326:
	s_or_b32 exec_lo, exec_lo, s20
	s_and_saveexec_b32 s20, s22
	s_cbranch_execz .LBB166_1328
.LBB166_1327:
	v_and_b32_e32 v2, 0xffff, v3
	s_delay_alu instid0(VALU_DEP_1) | instskip(NEXT) | instid1(VALU_DEP_1)
	v_and_b32_e32 v6, 7, v2
	v_clz_i32_u32_e32 v8, v6
	s_delay_alu instid0(VALU_DEP_1) | instskip(NEXT) | instid1(VALU_DEP_1)
	v_min_u32_e32 v8, 32, v8
	v_subrev_nc_u32_e32 v9, 28, v8
	v_sub_nc_u32_e32 v8, 29, v8
	s_delay_alu instid0(VALU_DEP_2) | instskip(SKIP_1) | instid1(VALU_DEP_1)
	v_lshlrev_b32_e32 v9, v9, v2
	v_bfe_u32 v2, v2, 3, 4
	v_cmp_eq_u32_e32 vcc_lo, 0, v2
	s_delay_alu instid0(VALU_DEP_3) | instskip(SKIP_1) | instid1(VALU_DEP_2)
	v_dual_cndmask_b32 v2, v2, v8 :: v_dual_and_b32 v9, 7, v9
	v_lshlrev_b32_e32 v3, 24, v3
	v_lshl_add_u32 v2, v2, 23, 0x3b800000
	s_delay_alu instid0(VALU_DEP_2) | instskip(NEXT) | instid1(VALU_DEP_1)
	v_dual_cndmask_b32 v6, v6, v9 :: v_dual_and_b32 v3, 0x80000000, v3
	v_lshlrev_b32_e32 v6, 20, v6
	s_delay_alu instid0(VALU_DEP_1) | instskip(NEXT) | instid1(VALU_DEP_1)
	v_or3_b32 v2, v3, v2, v6
	v_trunc_f32_e32 v2, v2
	s_delay_alu instid0(VALU_DEP_1) | instskip(NEXT) | instid1(VALU_DEP_1)
	v_mul_f32_e64 v3, 0x2f800000, |v2|
	v_floor_f32_e32 v3, v3
	s_delay_alu instid0(VALU_DEP_1) | instskip(SKIP_1) | instid1(VALU_DEP_2)
	v_fma_f32 v3, 0xcf800000, v3, |v2|
	v_ashrrev_i32_e32 v2, 31, v2
	v_cvt_u32_f32_e32 v3, v3
	s_delay_alu instid0(VALU_DEP_1) | instskip(NEXT) | instid1(VALU_DEP_1)
	v_xor_b32_e32 v3, v3, v2
	v_sub_nc_u32_e32 v2, v3, v2
.LBB166_1328:
	s_or_b32 exec_lo, exec_lo, s20
.LBB166_1329:
	s_mov_b32 s20, -1
.LBB166_1330:
	s_branch .LBB166_1361
.LBB166_1331:
	v_cmp_lt_i16_e32 vcc_lo, 22, v5
	s_cbranch_vccz .LBB166_1339
; %bb.1332:
	v_cmp_gt_i16_e32 vcc_lo, 24, v5
	s_cbranch_vccnz .LBB166_1342
; %bb.1333:
	v_cmp_lt_i16_e32 vcc_lo, 24, v5
	s_cbranch_vccz .LBB166_1343
; %bb.1334:
	global_load_u8 v3, v[0:1], off
	s_mov_b32 s20, exec_lo
                                        ; implicit-def: $sgpr22
	s_waitcnt vmcnt(0)
	v_cmpx_lt_i16_e32 0x7f, v3
	s_xor_b32 s20, exec_lo, s20
	s_cbranch_execz .LBB166_1355
; %bb.1335:
	v_cmp_ne_u16_e32 vcc_lo, 0x80, v3
	s_mov_b32 s22, 0
	s_and_b32 s21, vcc_lo, exec_lo
	s_or_saveexec_b32 s20, s20
	v_mov_b32_e32 v2, s22
	s_xor_b32 exec_lo, exec_lo, s20
	s_cbranch_execnz .LBB166_1356
.LBB166_1336:
	s_or_b32 exec_lo, exec_lo, s20
	s_and_saveexec_b32 s20, s21
	s_cbranch_execz .LBB166_1338
.LBB166_1337:
	v_and_b32_e32 v2, 0xffff, v3
	s_delay_alu instid0(VALU_DEP_1) | instskip(NEXT) | instid1(VALU_DEP_1)
	v_and_b32_e32 v6, 3, v2
	v_clz_i32_u32_e32 v8, v6
	s_delay_alu instid0(VALU_DEP_1) | instskip(NEXT) | instid1(VALU_DEP_1)
	v_min_u32_e32 v8, 32, v8
	v_subrev_nc_u32_e32 v9, 29, v8
	v_sub_nc_u32_e32 v8, 30, v8
	s_delay_alu instid0(VALU_DEP_2) | instskip(SKIP_1) | instid1(VALU_DEP_1)
	v_lshlrev_b32_e32 v9, v9, v2
	v_bfe_u32 v2, v2, 2, 5
	v_cmp_eq_u32_e32 vcc_lo, 0, v2
	s_delay_alu instid0(VALU_DEP_3) | instskip(SKIP_1) | instid1(VALU_DEP_2)
	v_dual_cndmask_b32 v2, v2, v8 :: v_dual_and_b32 v9, 3, v9
	v_lshlrev_b32_e32 v3, 24, v3
	v_lshl_add_u32 v2, v2, 23, 0x37800000
	s_delay_alu instid0(VALU_DEP_2) | instskip(NEXT) | instid1(VALU_DEP_1)
	v_dual_cndmask_b32 v6, v6, v9 :: v_dual_and_b32 v3, 0x80000000, v3
	v_lshlrev_b32_e32 v6, 21, v6
	s_delay_alu instid0(VALU_DEP_1) | instskip(NEXT) | instid1(VALU_DEP_1)
	v_or3_b32 v2, v3, v2, v6
	v_trunc_f32_e32 v2, v2
	s_delay_alu instid0(VALU_DEP_1) | instskip(NEXT) | instid1(VALU_DEP_1)
	v_mul_f32_e64 v3, 0x2f800000, |v2|
	v_floor_f32_e32 v3, v3
	s_delay_alu instid0(VALU_DEP_1) | instskip(SKIP_1) | instid1(VALU_DEP_2)
	v_fma_f32 v3, 0xcf800000, v3, |v2|
	v_ashrrev_i32_e32 v2, 31, v2
	v_cvt_u32_f32_e32 v3, v3
	s_delay_alu instid0(VALU_DEP_1) | instskip(NEXT) | instid1(VALU_DEP_1)
	v_xor_b32_e32 v3, v3, v2
	v_sub_nc_u32_e32 v2, v3, v2
.LBB166_1338:
	s_or_b32 exec_lo, exec_lo, s20
	s_mov_b32 s20, 0
	s_branch .LBB166_1344
.LBB166_1339:
	s_mov_b32 s21, -1
                                        ; implicit-def: $vgpr2
	s_branch .LBB166_1350
.LBB166_1340:
	s_or_saveexec_b32 s20, s20
	v_mov_b32_e32 v2, s23
	s_xor_b32 exec_lo, exec_lo, s20
	s_cbranch_execz .LBB166_1326
.LBB166_1341:
	v_cmp_ne_u16_e32 vcc_lo, 0, v3
	v_mov_b32_e32 v2, 0
	s_and_not1_b32 s22, s22, exec_lo
	s_and_b32 s23, vcc_lo, exec_lo
	s_delay_alu instid0(SALU_CYCLE_1)
	s_or_b32 s22, s22, s23
	s_or_b32 exec_lo, exec_lo, s20
	s_and_saveexec_b32 s20, s22
	s_cbranch_execnz .LBB166_1327
	s_branch .LBB166_1328
.LBB166_1342:
	s_mov_b32 s20, -1
                                        ; implicit-def: $vgpr2
	s_branch .LBB166_1347
.LBB166_1343:
	s_mov_b32 s20, -1
                                        ; implicit-def: $vgpr2
.LBB166_1344:
	s_delay_alu instid0(SALU_CYCLE_1)
	s_and_b32 vcc_lo, exec_lo, s20
	s_cbranch_vccz .LBB166_1346
; %bb.1345:
	global_load_u8 v2, v[0:1], off
	s_waitcnt vmcnt(0)
	v_lshlrev_b32_e32 v2, 24, v2
	s_delay_alu instid0(VALU_DEP_1) | instskip(NEXT) | instid1(VALU_DEP_1)
	v_and_b32_e32 v3, 0x7f000000, v2
	v_clz_i32_u32_e32 v6, v3
	v_cmp_ne_u32_e32 vcc_lo, 0, v3
	v_add_nc_u32_e32 v9, 0x1000000, v3
	s_delay_alu instid0(VALU_DEP_3) | instskip(NEXT) | instid1(VALU_DEP_1)
	v_min_u32_e32 v6, 32, v6
	v_sub_nc_u32_e64 v6, v6, 4 clamp
	s_delay_alu instid0(VALU_DEP_1) | instskip(SKIP_1) | instid1(VALU_DEP_2)
	v_lshlrev_b32_e32 v8, v6, v3
	v_lshlrev_b32_e32 v6, 23, v6
	v_lshrrev_b32_e32 v8, 4, v8
	s_delay_alu instid0(VALU_DEP_1) | instskip(SKIP_1) | instid1(VALU_DEP_2)
	v_sub_nc_u32_e32 v6, v8, v6
	v_ashrrev_i32_e32 v8, 8, v9
	v_add_nc_u32_e32 v6, 0x3c000000, v6
	s_delay_alu instid0(VALU_DEP_1) | instskip(NEXT) | instid1(VALU_DEP_1)
	v_and_or_b32 v6, 0x7f800000, v8, v6
	v_cndmask_b32_e32 v3, 0, v6, vcc_lo
	s_delay_alu instid0(VALU_DEP_1) | instskip(NEXT) | instid1(VALU_DEP_1)
	v_and_or_b32 v2, 0x80000000, v2, v3
	v_trunc_f32_e32 v2, v2
	s_delay_alu instid0(VALU_DEP_1) | instskip(NEXT) | instid1(VALU_DEP_1)
	v_mul_f32_e64 v3, 0x2f800000, |v2|
	v_floor_f32_e32 v3, v3
	s_delay_alu instid0(VALU_DEP_1) | instskip(SKIP_1) | instid1(VALU_DEP_2)
	v_fma_f32 v3, 0xcf800000, v3, |v2|
	v_ashrrev_i32_e32 v2, 31, v2
	v_cvt_u32_f32_e32 v3, v3
	s_delay_alu instid0(VALU_DEP_1) | instskip(NEXT) | instid1(VALU_DEP_1)
	v_xor_b32_e32 v3, v3, v2
	v_sub_nc_u32_e32 v2, v3, v2
.LBB166_1346:
	s_mov_b32 s20, 0
.LBB166_1347:
	s_delay_alu instid0(SALU_CYCLE_1)
	s_and_not1_b32 vcc_lo, exec_lo, s20
	s_cbranch_vccnz .LBB166_1349
; %bb.1348:
	global_load_u8 v2, v[0:1], off
	s_waitcnt vmcnt(0)
	v_lshlrev_b32_e32 v3, 25, v2
	v_lshlrev_b16 v2, 8, v2
	s_delay_alu instid0(VALU_DEP_1) | instskip(SKIP_1) | instid1(VALU_DEP_2)
	v_and_or_b32 v8, 0x7f00, v2, 0.5
	v_bfe_i32 v2, v2, 0, 16
	v_add_f32_e32 v8, -0.5, v8
	v_lshrrev_b32_e32 v6, 4, v3
	v_cmp_gt_u32_e32 vcc_lo, 0x8000000, v3
	s_delay_alu instid0(VALU_DEP_2) | instskip(NEXT) | instid1(VALU_DEP_1)
	v_or_b32_e32 v6, 0x70000000, v6
	v_mul_f32_e32 v6, 0x7800000, v6
	s_delay_alu instid0(VALU_DEP_1) | instskip(NEXT) | instid1(VALU_DEP_1)
	v_cndmask_b32_e32 v3, v6, v8, vcc_lo
	v_and_or_b32 v2, 0x80000000, v2, v3
	s_delay_alu instid0(VALU_DEP_1) | instskip(NEXT) | instid1(VALU_DEP_1)
	v_trunc_f32_e32 v2, v2
	v_mul_f32_e64 v3, 0x2f800000, |v2|
	s_delay_alu instid0(VALU_DEP_1) | instskip(NEXT) | instid1(VALU_DEP_1)
	v_floor_f32_e32 v3, v3
	v_fma_f32 v3, 0xcf800000, v3, |v2|
	v_ashrrev_i32_e32 v2, 31, v2
	s_delay_alu instid0(VALU_DEP_2) | instskip(NEXT) | instid1(VALU_DEP_1)
	v_cvt_u32_f32_e32 v3, v3
	v_xor_b32_e32 v3, v3, v2
	s_delay_alu instid0(VALU_DEP_1)
	v_sub_nc_u32_e32 v2, v3, v2
.LBB166_1349:
	s_mov_b32 s21, 0
	s_mov_b32 s20, -1
.LBB166_1350:
	s_and_not1_b32 vcc_lo, exec_lo, s21
	s_mov_b32 s21, 0
	s_cbranch_vccnz .LBB166_1361
; %bb.1351:
	v_cmp_lt_i16_e32 vcc_lo, 14, v5
	s_cbranch_vccz .LBB166_1354
; %bb.1352:
	v_cmp_eq_u16_e32 vcc_lo, 15, v5
	s_cbranch_vccz .LBB166_1357
; %bb.1353:
	global_load_u16 v2, v[0:1], off
	s_mov_b32 s0, 0
	s_mov_b32 s20, -1
	s_waitcnt vmcnt(0)
	v_lshlrev_b32_e32 v2, 16, v2
	s_delay_alu instid0(VALU_DEP_1) | instskip(NEXT) | instid1(VALU_DEP_1)
	v_trunc_f32_e32 v2, v2
	v_mul_f32_e64 v3, 0x2f800000, |v2|
	s_delay_alu instid0(VALU_DEP_1) | instskip(NEXT) | instid1(VALU_DEP_1)
	v_floor_f32_e32 v3, v3
	v_fma_f32 v3, 0xcf800000, v3, |v2|
	v_ashrrev_i32_e32 v2, 31, v2
	s_delay_alu instid0(VALU_DEP_2) | instskip(NEXT) | instid1(VALU_DEP_1)
	v_cvt_u32_f32_e32 v3, v3
	v_xor_b32_e32 v3, v3, v2
	s_delay_alu instid0(VALU_DEP_1)
	v_sub_nc_u32_e32 v2, v3, v2
	s_branch .LBB166_1359
.LBB166_1354:
	s_mov_b32 s21, -1
	s_branch .LBB166_1358
.LBB166_1355:
	s_or_saveexec_b32 s20, s20
	v_mov_b32_e32 v2, s22
	s_xor_b32 exec_lo, exec_lo, s20
	s_cbranch_execz .LBB166_1336
.LBB166_1356:
	v_cmp_ne_u16_e32 vcc_lo, 0, v3
	v_mov_b32_e32 v2, 0
	s_and_not1_b32 s21, s21, exec_lo
	s_and_b32 s22, vcc_lo, exec_lo
	s_delay_alu instid0(SALU_CYCLE_1)
	s_or_b32 s21, s21, s22
	s_or_b32 exec_lo, exec_lo, s20
	s_and_saveexec_b32 s20, s21
	s_cbranch_execnz .LBB166_1337
	s_branch .LBB166_1338
.LBB166_1357:
	s_mov_b32 s0, -1
.LBB166_1358:
                                        ; implicit-def: $vgpr2
.LBB166_1359:
	s_and_b32 vcc_lo, exec_lo, s21
	s_mov_b32 s21, 0
	s_cbranch_vccz .LBB166_1361
; %bb.1360:
	v_cmp_ne_u16_e32 vcc_lo, 11, v5
	s_and_not1_b32 s0, s0, exec_lo
	s_mov_b32 s21, -1
                                        ; implicit-def: $vgpr2
	s_and_b32 s22, vcc_lo, exec_lo
	s_delay_alu instid0(SALU_CYCLE_1)
	s_or_b32 s0, s0, s22
.LBB166_1361:
	s_mov_b32 s22, 0
.LBB166_1362:
	s_and_not1_b32 s18, s18, exec_lo
	s_and_b32 s0, s0, exec_lo
	s_and_b32 s20, s20, exec_lo
	;; [unrolled: 1-line block ×4, first 2 shown]
	s_or_b32 s18, s18, s0
.LBB166_1363:
	s_or_b32 exec_lo, exec_lo, s19
	s_and_saveexec_b32 s0, s18
	s_cbranch_execnz .LBB166_1375
; %bb.1364:
	s_or_b32 exec_lo, exec_lo, s0
	s_and_saveexec_b32 s0, s21
	s_delay_alu instid0(SALU_CYCLE_1)
	s_xor_b32 s0, exec_lo, s0
	s_cbranch_execz .LBB166_1366
.LBB166_1365:
	global_load_u8 v2, v[0:1], off
	s_or_b32 s20, s20, exec_lo
	s_waitcnt vmcnt(0)
	v_cmp_ne_u16_e32 vcc_lo, 0, v2
	v_cndmask_b32_e64 v2, 0, 1, vcc_lo
.LBB166_1366:
	s_or_b32 exec_lo, exec_lo, s0
	s_and_saveexec_b32 s0, s22
	s_cbranch_execz .LBB166_1414
; %bb.1367:
	v_cmp_gt_i16_e32 vcc_lo, 5, v5
	s_cbranch_vccnz .LBB166_1372
; %bb.1368:
	v_cmp_gt_i16_e32 vcc_lo, 8, v5
	s_cbranch_vccnz .LBB166_1373
	;; [unrolled: 3-line block ×3, first 2 shown]
; %bb.1370:
	v_cmp_lt_i16_e32 vcc_lo, 9, v5
	s_cbranch_vccz .LBB166_1377
; %bb.1371:
	global_load_b64 v[2:3], v[0:1], off
	s_mov_b32 s18, 0
	s_waitcnt vmcnt(0)
	v_trunc_f64_e32 v[2:3], v[2:3]
	s_delay_alu instid0(VALU_DEP_1) | instskip(NEXT) | instid1(VALU_DEP_1)
	v_ldexp_f64 v[8:9], v[2:3], 0xffffffe0
	v_floor_f64_e32 v[8:9], v[8:9]
	s_delay_alu instid0(VALU_DEP_1) | instskip(NEXT) | instid1(VALU_DEP_1)
	v_fma_f64 v[2:3], 0xc1f00000, v[8:9], v[2:3]
	v_cvt_u32_f64_e32 v2, v[2:3]
	s_branch .LBB166_1378
.LBB166_1372:
                                        ; implicit-def: $vgpr2
	s_branch .LBB166_1395
.LBB166_1373:
                                        ; implicit-def: $vgpr2
	s_branch .LBB166_1384
.LBB166_1374:
	s_mov_b32 s18, -1
                                        ; implicit-def: $vgpr2
	s_branch .LBB166_1381
.LBB166_1375:
	s_cbranch_execnz .LBB166_1423
; %bb.1376:
	s_or_b32 s17, s17, exec_lo
	s_and_not1_b32 s21, s21, exec_lo
                                        ; implicit-def: $vgpr2
	s_or_b32 exec_lo, exec_lo, s0
	s_and_saveexec_b32 s0, s21
	s_delay_alu instid0(SALU_CYCLE_1)
	s_xor_b32 s0, exec_lo, s0
	s_cbranch_execnz .LBB166_1365
	s_branch .LBB166_1366
.LBB166_1377:
	s_mov_b32 s18, -1
                                        ; implicit-def: $vgpr2
.LBB166_1378:
	s_delay_alu instid0(SALU_CYCLE_1)
	s_and_not1_b32 vcc_lo, exec_lo, s18
	s_cbranch_vccnz .LBB166_1380
; %bb.1379:
	global_load_b32 v2, v[0:1], off
	s_waitcnt vmcnt(0)
	v_trunc_f32_e32 v2, v2
	s_delay_alu instid0(VALU_DEP_1) | instskip(NEXT) | instid1(VALU_DEP_1)
	v_mul_f32_e64 v3, 0x2f800000, |v2|
	v_floor_f32_e32 v3, v3
	s_delay_alu instid0(VALU_DEP_1) | instskip(SKIP_1) | instid1(VALU_DEP_2)
	v_fma_f32 v3, 0xcf800000, v3, |v2|
	v_ashrrev_i32_e32 v2, 31, v2
	v_cvt_u32_f32_e32 v3, v3
	s_delay_alu instid0(VALU_DEP_1) | instskip(NEXT) | instid1(VALU_DEP_1)
	v_xor_b32_e32 v3, v3, v2
	v_sub_nc_u32_e32 v2, v3, v2
.LBB166_1380:
	s_mov_b32 s18, 0
.LBB166_1381:
	s_delay_alu instid0(SALU_CYCLE_1)
	s_and_not1_b32 vcc_lo, exec_lo, s18
	s_cbranch_vccnz .LBB166_1383
; %bb.1382:
	global_load_b32 v2, v[0:1], off
	s_waitcnt vmcnt(0)
	v_cvt_f32_f16_e32 v2, v2
	s_delay_alu instid0(VALU_DEP_1)
	v_cvt_i32_f32_e32 v2, v2
.LBB166_1383:
	s_cbranch_execnz .LBB166_1394
.LBB166_1384:
	v_cmp_gt_i16_e32 vcc_lo, 6, v5
	s_cbranch_vccnz .LBB166_1387
; %bb.1385:
	v_cmp_lt_i16_e32 vcc_lo, 6, v5
	s_cbranch_vccz .LBB166_1388
; %bb.1386:
	global_load_b64 v[2:3], v[0:1], off
	s_mov_b32 s18, 0
	s_waitcnt vmcnt(0)
	v_trunc_f64_e32 v[2:3], v[2:3]
	s_delay_alu instid0(VALU_DEP_1) | instskip(NEXT) | instid1(VALU_DEP_1)
	v_ldexp_f64 v[8:9], v[2:3], 0xffffffe0
	v_floor_f64_e32 v[8:9], v[8:9]
	s_delay_alu instid0(VALU_DEP_1) | instskip(NEXT) | instid1(VALU_DEP_1)
	v_fma_f64 v[2:3], 0xc1f00000, v[8:9], v[2:3]
	v_cvt_u32_f64_e32 v2, v[2:3]
	s_branch .LBB166_1389
.LBB166_1387:
	s_mov_b32 s18, -1
                                        ; implicit-def: $vgpr2
	s_branch .LBB166_1392
.LBB166_1388:
	s_mov_b32 s18, -1
                                        ; implicit-def: $vgpr2
.LBB166_1389:
	s_delay_alu instid0(SALU_CYCLE_1)
	s_and_not1_b32 vcc_lo, exec_lo, s18
	s_cbranch_vccnz .LBB166_1391
; %bb.1390:
	global_load_b32 v2, v[0:1], off
	s_waitcnt vmcnt(0)
	v_trunc_f32_e32 v2, v2
	s_delay_alu instid0(VALU_DEP_1) | instskip(NEXT) | instid1(VALU_DEP_1)
	v_mul_f32_e64 v3, 0x2f800000, |v2|
	v_floor_f32_e32 v3, v3
	s_delay_alu instid0(VALU_DEP_1) | instskip(SKIP_1) | instid1(VALU_DEP_2)
	v_fma_f32 v3, 0xcf800000, v3, |v2|
	v_ashrrev_i32_e32 v2, 31, v2
	v_cvt_u32_f32_e32 v3, v3
	s_delay_alu instid0(VALU_DEP_1) | instskip(NEXT) | instid1(VALU_DEP_1)
	v_xor_b32_e32 v3, v3, v2
	v_sub_nc_u32_e32 v2, v3, v2
.LBB166_1391:
	s_mov_b32 s18, 0
.LBB166_1392:
	s_delay_alu instid0(SALU_CYCLE_1)
	s_and_not1_b32 vcc_lo, exec_lo, s18
	s_cbranch_vccnz .LBB166_1394
; %bb.1393:
	global_load_u16 v2, v[0:1], off
	s_waitcnt vmcnt(0)
	v_cvt_f32_f16_e32 v2, v2
	s_delay_alu instid0(VALU_DEP_1)
	v_cvt_i32_f32_e32 v2, v2
.LBB166_1394:
	s_cbranch_execnz .LBB166_1413
.LBB166_1395:
	v_cmp_gt_i16_e32 vcc_lo, 2, v5
	s_cbranch_vccnz .LBB166_1399
; %bb.1396:
	v_cmp_gt_i16_e32 vcc_lo, 3, v5
	s_cbranch_vccnz .LBB166_1400
; %bb.1397:
	v_cmp_lt_i16_e32 vcc_lo, 3, v5
	s_cbranch_vccz .LBB166_1401
; %bb.1398:
	global_load_b64 v[2:3], v[0:1], off
	s_mov_b32 s18, 0
	s_branch .LBB166_1402
.LBB166_1399:
                                        ; implicit-def: $vgpr2
	s_branch .LBB166_1408
.LBB166_1400:
	s_mov_b32 s18, -1
                                        ; implicit-def: $vgpr2
	s_branch .LBB166_1405
.LBB166_1401:
	s_mov_b32 s18, -1
                                        ; implicit-def: $vgpr2
.LBB166_1402:
	s_delay_alu instid0(SALU_CYCLE_1)
	s_and_not1_b32 vcc_lo, exec_lo, s18
	s_cbranch_vccnz .LBB166_1404
; %bb.1403:
	global_load_b32 v2, v[0:1], off
.LBB166_1404:
	s_mov_b32 s18, 0
.LBB166_1405:
	s_delay_alu instid0(SALU_CYCLE_1)
	s_and_not1_b32 vcc_lo, exec_lo, s18
	s_cbranch_vccnz .LBB166_1407
; %bb.1406:
	global_load_u16 v2, v[0:1], off
.LBB166_1407:
	s_cbranch_execnz .LBB166_1413
.LBB166_1408:
	v_cmp_lt_i16_e32 vcc_lo, 0, v5
	s_mov_b32 s18, 0
	s_cbranch_vccz .LBB166_1410
; %bb.1409:
	global_load_u8 v2, v[0:1], off
	s_branch .LBB166_1411
.LBB166_1410:
	s_mov_b32 s18, -1
                                        ; implicit-def: $vgpr2
.LBB166_1411:
	s_delay_alu instid0(SALU_CYCLE_1)
	s_and_not1_b32 vcc_lo, exec_lo, s18
	s_cbranch_vccnz .LBB166_1413
; %bb.1412:
	global_load_u8 v2, v[0:1], off
.LBB166_1413:
	s_or_b32 s20, s20, exec_lo
.LBB166_1414:
	s_or_b32 exec_lo, exec_lo, s0
	s_mov_b32 s0, 0
	s_mov_b32 s19, 0
                                        ; implicit-def: $vgpr5
                                        ; implicit-def: $vgpr0_vgpr1
                                        ; implicit-def: $vgpr3
	s_and_saveexec_b32 s18, s20
	s_cbranch_execz .LBB166_1494
; %bb.1415:
	s_waitcnt vmcnt(0)
	s_delay_alu instid0(VALU_DEP_1) | instskip(SKIP_3) | instid1(VALU_DEP_2)
	v_cvt_f32_ubyte0_e32 v0, v2
	v_mul_lo_u32 v2, v7, s8
	v_cvt_f32_f16_e32 v1, v4
	v_and_b32_e64 v5, 0xff, s12
	v_mul_f32_e32 v0, v1, v0
	s_delay_alu instid0(VALU_DEP_2) | instskip(SKIP_1) | instid1(VALU_DEP_3)
	v_cmp_gt_i16_e32 vcc_lo, 11, v5
	v_ashrrev_i32_e32 v1, 31, v2
	v_fma_mixlo_f16 v3, s11, v0, 0
	v_add_co_u32 v0, s0, s4, v2
	s_delay_alu instid0(VALU_DEP_1)
	v_add_co_ci_u32_e64 v1, s0, s5, v1, s0
	s_cbranch_vccnz .LBB166_1422
; %bb.1416:
	v_cmp_lt_i16_e32 vcc_lo, 25, v5
	s_mov_b32 s19, -1
	s_mov_b32 s0, s16
	s_cbranch_vccz .LBB166_1452
; %bb.1417:
	v_cmp_lt_i16_e32 vcc_lo, 28, v5
	s_mov_b32 s0, s16
	s_cbranch_vccz .LBB166_1436
; %bb.1418:
	v_cmp_lt_i16_e32 vcc_lo, 43, v5
	;; [unrolled: 4-line block ×3, first 2 shown]
	s_mov_b32 s0, s16
	s_cbranch_vccz .LBB166_1426
; %bb.1420:
	v_cmp_eq_u16_e32 vcc_lo, 46, v5
	s_mov_b32 s0, -1
	s_cbranch_vccz .LBB166_1425
; %bb.1421:
	v_cvt_f32_f16_e32 v2, v3
	v_cmp_o_f16_e32 vcc_lo, v3, v3
	s_mov_b32 s0, 0
	s_mov_b32 s19, 0
	s_delay_alu instid0(VALU_DEP_2) | instskip(NEXT) | instid1(VALU_DEP_1)
	v_bfe_u32 v4, v2, 16, 1
	v_add3_u32 v2, v2, v4, 0x7fff
	s_delay_alu instid0(VALU_DEP_1) | instskip(NEXT) | instid1(VALU_DEP_1)
	v_lshrrev_b32_e32 v2, 16, v2
	v_cndmask_b32_e32 v2, 0x7fc0, v2, vcc_lo
	global_store_b32 v[0:1], v2, off
	s_branch .LBB166_1426
.LBB166_1422:
	s_mov_b32 s20, 0
	s_mov_b32 s19, -1
	s_mov_b32 s0, s16
	s_branch .LBB166_1493
.LBB166_1423:
	s_trap 2
	s_sendmsg_rtn_b32 s0, sendmsg(MSG_RTN_GET_DOORBELL)
	s_mov_b32 ttmp2, m0
	s_waitcnt lgkmcnt(0)
	s_and_b32 s0, s0, 0x3ff
	s_delay_alu instid0(SALU_CYCLE_1) | instskip(NEXT) | instid1(SALU_CYCLE_1)
	s_bitset1_b32 s0, 10
	s_mov_b32 m0, s0
	s_sendmsg sendmsg(MSG_INTERRUPT)
	s_mov_b32 m0, ttmp2
.LBB166_1424:                           ; =>This Inner Loop Header: Depth=1
	s_sethalt 5
	s_branch .LBB166_1424
.LBB166_1425:
	s_mov_b32 s19, 0
.LBB166_1426:
	s_delay_alu instid0(SALU_CYCLE_1)
	s_and_b32 vcc_lo, exec_lo, s19
	s_cbranch_vccz .LBB166_1431
; %bb.1427:
	v_cmp_eq_u16_e32 vcc_lo, 44, v5
	s_mov_b32 s0, -1
	s_cbranch_vccz .LBB166_1431
; %bb.1428:
	v_cvt_f32_f16_e32 v2, v3
	v_mov_b32_e32 v4, 0xff
	s_mov_b32 s19, exec_lo
	s_delay_alu instid0(VALU_DEP_2) | instskip(NEXT) | instid1(VALU_DEP_1)
	v_bfe_u32 v6, v2, 23, 8
	v_cmpx_ne_u32_e32 0xff, v6
; %bb.1429:
	v_and_b32_e32 v4, 0x400000, v2
	v_and_or_b32 v6, 0x3fffff, v2, v6
	v_lshrrev_b32_e32 v2, 23, v2
	s_delay_alu instid0(VALU_DEP_3) | instskip(NEXT) | instid1(VALU_DEP_3)
	v_cmp_ne_u32_e32 vcc_lo, 0, v4
	v_cmp_ne_u32_e64 s0, 0, v6
	s_delay_alu instid0(VALU_DEP_1) | instskip(NEXT) | instid1(SALU_CYCLE_1)
	s_and_b32 s0, vcc_lo, s0
	v_cndmask_b32_e64 v4, 0, 1, s0
	s_delay_alu instid0(VALU_DEP_1)
	v_add_nc_u32_e32 v4, v2, v4
; %bb.1430:
	s_or_b32 exec_lo, exec_lo, s19
	s_mov_b32 s0, 0
	global_store_b8 v[0:1], v4, off
.LBB166_1431:
	s_mov_b32 s19, 0
.LBB166_1432:
	s_delay_alu instid0(SALU_CYCLE_1)
	s_and_b32 vcc_lo, exec_lo, s19
	s_cbranch_vccz .LBB166_1435
; %bb.1433:
	v_cmp_eq_u16_e32 vcc_lo, 29, v5
	s_mov_b32 s0, -1
	s_cbranch_vccz .LBB166_1435
; %bb.1434:
	v_cvt_f32_f16_e32 v2, v3
	v_mov_b32_e32 v7, 0
	s_mov_b32 s0, 0
	s_mov_b32 s19, 0
	s_delay_alu instid0(VALU_DEP_2)
	v_cvt_u32_f32_e32 v6, v2
	global_store_b64 v[0:1], v[6:7], off
	s_branch .LBB166_1436
.LBB166_1435:
	s_mov_b32 s19, 0
.LBB166_1436:
	s_delay_alu instid0(SALU_CYCLE_1)
	s_and_b32 vcc_lo, exec_lo, s19
	s_cbranch_vccz .LBB166_1451
; %bb.1437:
	v_cmp_gt_i16_e32 vcc_lo, 27, v5
	s_mov_b32 s19, -1
	s_cbranch_vccnz .LBB166_1443
; %bb.1438:
	v_cmp_lt_i16_e32 vcc_lo, 27, v5
	s_cbranch_vccz .LBB166_1440
; %bb.1439:
	v_cvt_f32_f16_e32 v2, v3
	s_mov_b32 s19, 0
	s_delay_alu instid0(VALU_DEP_1)
	v_cvt_u32_f32_e32 v2, v2
	global_store_b32 v[0:1], v2, off
.LBB166_1440:
	s_and_not1_b32 vcc_lo, exec_lo, s19
	s_cbranch_vccnz .LBB166_1442
; %bb.1441:
	v_cvt_u16_f16_e32 v2, v3
	global_store_b16 v[0:1], v2, off
.LBB166_1442:
	s_mov_b32 s19, 0
.LBB166_1443:
	s_delay_alu instid0(SALU_CYCLE_1)
	s_and_not1_b32 vcc_lo, exec_lo, s19
	s_cbranch_vccnz .LBB166_1451
; %bb.1444:
	v_cvt_f32_f16_e32 v2, v3
	v_mov_b32_e32 v6, 0x80
	s_mov_b32 s19, exec_lo
	s_delay_alu instid0(VALU_DEP_2) | instskip(NEXT) | instid1(VALU_DEP_1)
	v_and_b32_e32 v4, 0x7fffffff, v2
	v_cmpx_gt_u32_e32 0x43800000, v4
	s_cbranch_execz .LBB166_1450
; %bb.1445:
	v_cmp_lt_u32_e32 vcc_lo, 0x3bffffff, v4
	s_mov_b32 s20, 0
                                        ; implicit-def: $vgpr4
	s_and_saveexec_b32 s21, vcc_lo
	s_delay_alu instid0(SALU_CYCLE_1)
	s_xor_b32 s21, exec_lo, s21
	s_cbranch_execz .LBB166_1686
; %bb.1446:
	v_bfe_u32 v4, v2, 20, 1
	s_mov_b32 s20, exec_lo
	s_delay_alu instid0(VALU_DEP_1) | instskip(NEXT) | instid1(VALU_DEP_1)
	v_add3_u32 v4, v2, v4, 0x487ffff
	v_lshrrev_b32_e32 v4, 20, v4
	s_or_saveexec_b32 s21, s21
                                        ; implicit-def: $sgpr22
	s_delay_alu instid0(SALU_CYCLE_1)
	s_xor_b32 exec_lo, exec_lo, s21
	s_cbranch_execnz .LBB166_1687
.LBB166_1447:
	s_or_b32 exec_lo, exec_lo, s21
	v_mov_b32_e32 v6, s22
	s_and_saveexec_b32 s21, s20
.LBB166_1448:
	v_lshrrev_b32_e32 v2, 24, v2
	s_delay_alu instid0(VALU_DEP_1)
	v_and_or_b32 v6, 0x80, v2, v4
.LBB166_1449:
	s_or_b32 exec_lo, exec_lo, s21
.LBB166_1450:
	s_delay_alu instid0(SALU_CYCLE_1)
	s_or_b32 exec_lo, exec_lo, s19
	global_store_b8 v[0:1], v6, off
.LBB166_1451:
	s_mov_b32 s19, 0
.LBB166_1452:
	s_delay_alu instid0(SALU_CYCLE_1)
	s_and_b32 vcc_lo, exec_lo, s19
	s_mov_b32 s19, 0
	s_cbranch_vccz .LBB166_1492
; %bb.1453:
	v_cmp_lt_i16_e32 vcc_lo, 22, v5
	s_mov_b32 s20, -1
	s_cbranch_vccz .LBB166_1485
; %bb.1454:
	v_cmp_gt_i16_e32 vcc_lo, 24, v5
	s_cbranch_vccnz .LBB166_1474
; %bb.1455:
	v_cmp_lt_i16_e32 vcc_lo, 24, v5
	s_cbranch_vccz .LBB166_1463
; %bb.1456:
	v_cvt_f32_f16_e32 v2, v3
	v_mov_b32_e32 v6, 0x80
	s_mov_b32 s20, exec_lo
	s_delay_alu instid0(VALU_DEP_2) | instskip(NEXT) | instid1(VALU_DEP_1)
	v_and_b32_e32 v4, 0x7fffffff, v2
	v_cmpx_gt_u32_e32 0x47800000, v4
	s_cbranch_execz .LBB166_1462
; %bb.1457:
	v_cmp_lt_u32_e32 vcc_lo, 0x37ffffff, v4
	s_mov_b32 s21, 0
                                        ; implicit-def: $vgpr4
	s_and_saveexec_b32 s22, vcc_lo
	s_delay_alu instid0(SALU_CYCLE_1)
	s_xor_b32 s22, exec_lo, s22
	s_cbranch_execz .LBB166_1814
; %bb.1458:
	v_bfe_u32 v4, v2, 21, 1
	s_mov_b32 s21, exec_lo
	s_delay_alu instid0(VALU_DEP_1) | instskip(NEXT) | instid1(VALU_DEP_1)
	v_add3_u32 v4, v2, v4, 0x88fffff
	v_lshrrev_b32_e32 v4, 21, v4
	s_or_saveexec_b32 s22, s22
                                        ; implicit-def: $sgpr23
	s_delay_alu instid0(SALU_CYCLE_1)
	s_xor_b32 exec_lo, exec_lo, s22
	s_cbranch_execnz .LBB166_1815
.LBB166_1459:
	s_or_b32 exec_lo, exec_lo, s22
	v_mov_b32_e32 v6, s23
	s_and_saveexec_b32 s22, s21
.LBB166_1460:
	v_lshrrev_b32_e32 v2, 24, v2
	s_delay_alu instid0(VALU_DEP_1)
	v_and_or_b32 v6, 0x80, v2, v4
.LBB166_1461:
	s_or_b32 exec_lo, exec_lo, s22
.LBB166_1462:
	s_delay_alu instid0(SALU_CYCLE_1)
	s_or_b32 exec_lo, exec_lo, s20
	s_mov_b32 s20, 0
	global_store_b8 v[0:1], v6, off
.LBB166_1463:
	s_and_b32 vcc_lo, exec_lo, s20
	s_cbranch_vccz .LBB166_1473
; %bb.1464:
	v_cvt_f32_f16_e32 v2, v3
	s_mov_b32 s20, exec_lo
                                        ; implicit-def: $vgpr4
	s_delay_alu instid0(VALU_DEP_1) | instskip(NEXT) | instid1(VALU_DEP_1)
	v_and_b32_e32 v6, 0x7fffffff, v2
	v_cmpx_gt_u32_e32 0x43f00000, v6
	s_xor_b32 s20, exec_lo, s20
	s_cbranch_execz .LBB166_1470
; %bb.1465:
	s_mov_b32 s21, exec_lo
                                        ; implicit-def: $vgpr4
	v_cmpx_lt_u32_e32 0x3c7fffff, v6
	s_xor_b32 s21, exec_lo, s21
; %bb.1466:
	v_bfe_u32 v4, v2, 20, 1
	s_delay_alu instid0(VALU_DEP_1) | instskip(NEXT) | instid1(VALU_DEP_1)
	v_add3_u32 v4, v2, v4, 0x407ffff
	v_and_b32_e32 v6, 0xff00000, v4
	v_lshrrev_b32_e32 v4, 20, v4
	s_delay_alu instid0(VALU_DEP_2) | instskip(NEXT) | instid1(VALU_DEP_2)
	v_cmp_ne_u32_e32 vcc_lo, 0x7f00000, v6
	v_cndmask_b32_e32 v4, 0x7e, v4, vcc_lo
; %bb.1467:
	s_and_not1_saveexec_b32 s21, s21
; %bb.1468:
	v_add_f32_e64 v4, 0x46800000, |v2|
; %bb.1469:
	s_or_b32 exec_lo, exec_lo, s21
                                        ; implicit-def: $vgpr6
.LBB166_1470:
	s_and_not1_saveexec_b32 s20, s20
; %bb.1471:
	v_mov_b32_e32 v4, 0x7f
	v_cmp_lt_u32_e32 vcc_lo, 0x7f800000, v6
	s_delay_alu instid0(VALU_DEP_2)
	v_cndmask_b32_e32 v4, 0x7e, v4, vcc_lo
; %bb.1472:
	s_or_b32 exec_lo, exec_lo, s20
	v_lshrrev_b32_e32 v2, 24, v2
	s_delay_alu instid0(VALU_DEP_1)
	v_and_or_b32 v2, 0x80, v2, v4
	global_store_b8 v[0:1], v2, off
.LBB166_1473:
	s_mov_b32 s20, 0
.LBB166_1474:
	s_delay_alu instid0(SALU_CYCLE_1)
	s_and_not1_b32 vcc_lo, exec_lo, s20
	s_cbranch_vccnz .LBB166_1484
; %bb.1475:
	v_cvt_f32_f16_e32 v2, v3
	s_mov_b32 s20, exec_lo
                                        ; implicit-def: $vgpr4
	s_delay_alu instid0(VALU_DEP_1) | instskip(NEXT) | instid1(VALU_DEP_1)
	v_and_b32_e32 v6, 0x7fffffff, v2
	v_cmpx_gt_u32_e32 0x47800000, v6
	s_xor_b32 s20, exec_lo, s20
	s_cbranch_execz .LBB166_1481
; %bb.1476:
	s_mov_b32 s21, exec_lo
                                        ; implicit-def: $vgpr4
	v_cmpx_lt_u32_e32 0x387fffff, v6
	s_xor_b32 s21, exec_lo, s21
; %bb.1477:
	v_bfe_u32 v4, v2, 21, 1
	s_delay_alu instid0(VALU_DEP_1) | instskip(NEXT) | instid1(VALU_DEP_1)
	v_add3_u32 v4, v2, v4, 0x80fffff
	v_lshrrev_b32_e32 v4, 21, v4
; %bb.1478:
	s_and_not1_saveexec_b32 s21, s21
; %bb.1479:
	v_add_f32_e64 v4, 0x43000000, |v2|
; %bb.1480:
	s_or_b32 exec_lo, exec_lo, s21
                                        ; implicit-def: $vgpr6
.LBB166_1481:
	s_and_not1_saveexec_b32 s20, s20
; %bb.1482:
	v_mov_b32_e32 v4, 0x7f
	v_cmp_lt_u32_e32 vcc_lo, 0x7f800000, v6
	s_delay_alu instid0(VALU_DEP_2)
	v_cndmask_b32_e32 v4, 0x7c, v4, vcc_lo
; %bb.1483:
	s_or_b32 exec_lo, exec_lo, s20
	v_lshrrev_b32_e32 v2, 24, v2
	s_delay_alu instid0(VALU_DEP_1)
	v_and_or_b32 v2, 0x80, v2, v4
	global_store_b8 v[0:1], v2, off
.LBB166_1484:
	s_mov_b32 s20, 0
.LBB166_1485:
	s_delay_alu instid0(SALU_CYCLE_1)
	s_and_not1_b32 vcc_lo, exec_lo, s20
	s_mov_b32 s20, 0
	s_cbranch_vccnz .LBB166_1493
; %bb.1486:
	v_cmp_lt_i16_e32 vcc_lo, 14, v5
	s_mov_b32 s20, -1
	s_cbranch_vccz .LBB166_1490
; %bb.1487:
	v_cmp_eq_u16_e32 vcc_lo, 15, v5
	s_mov_b32 s0, -1
	s_cbranch_vccz .LBB166_1489
; %bb.1488:
	v_cvt_f32_f16_e32 v2, v3
	v_cmp_o_f16_e32 vcc_lo, v3, v3
	s_mov_b32 s0, 0
	s_delay_alu instid0(VALU_DEP_2) | instskip(NEXT) | instid1(VALU_DEP_1)
	v_bfe_u32 v4, v2, 16, 1
	v_add3_u32 v2, v2, v4, 0x7fff
	s_delay_alu instid0(VALU_DEP_1) | instskip(NEXT) | instid1(VALU_DEP_1)
	v_lshrrev_b32_e32 v2, 16, v2
	v_cndmask_b32_e32 v2, 0x7fc0, v2, vcc_lo
	global_store_b16 v[0:1], v2, off
.LBB166_1489:
	s_mov_b32 s20, 0
.LBB166_1490:
	s_delay_alu instid0(SALU_CYCLE_1)
	s_and_b32 vcc_lo, exec_lo, s20
	s_mov_b32 s20, 0
	s_cbranch_vccz .LBB166_1493
; %bb.1491:
	v_cmp_ne_u16_e32 vcc_lo, 11, v5
	s_and_not1_b32 s0, s0, exec_lo
	s_mov_b32 s20, -1
	s_and_b32 s21, vcc_lo, exec_lo
	s_delay_alu instid0(SALU_CYCLE_1)
	s_or_b32 s0, s0, s21
	s_branch .LBB166_1493
.LBB166_1492:
	s_mov_b32 s20, 0
.LBB166_1493:
	s_and_not1_b32 s16, s16, exec_lo
	s_and_b32 s21, s0, exec_lo
	s_and_b32 s19, s19, exec_lo
	;; [unrolled: 1-line block ×3, first 2 shown]
	s_or_b32 s16, s16, s21
.LBB166_1494:
	s_or_b32 exec_lo, exec_lo, s18
	s_and_saveexec_b32 s18, s16
	s_cbranch_execnz .LBB166_1556
; %bb.1495:
	s_or_b32 exec_lo, exec_lo, s18
	s_and_saveexec_b32 s16, s0
	s_delay_alu instid0(SALU_CYCLE_1)
	s_xor_b32 s0, exec_lo, s16
	s_cbranch_execz .LBB166_1497
.LBB166_1496:
	s_waitcnt vmcnt(0)
	v_cmp_neq_f16_e32 vcc_lo, 0, v3
	v_cndmask_b32_e64 v2, 0, 1, vcc_lo
	global_store_b8 v[0:1], v2, off
.LBB166_1497:
	s_or_b32 exec_lo, exec_lo, s0
	s_and_saveexec_b32 s0, s19
	s_delay_alu instid0(SALU_CYCLE_1)
	s_xor_b32 s0, exec_lo, s0
	s_cbranch_execz .LBB166_1535
; %bb.1498:
	v_cmp_gt_i16_e32 vcc_lo, 5, v5
	s_mov_b32 s16, -1
	s_cbranch_vccnz .LBB166_1519
; %bb.1499:
	v_cmp_gt_i16_e32 vcc_lo, 8, v5
	s_cbranch_vccnz .LBB166_1509
; %bb.1500:
	v_cmp_gt_i16_e32 vcc_lo, 9, v5
	s_cbranch_vccnz .LBB166_1506
; %bb.1501:
	v_cmp_lt_i16_e32 vcc_lo, 9, v5
	s_cbranch_vccz .LBB166_1503
; %bb.1502:
	s_waitcnt vmcnt(0)
	v_cvt_f32_f16_e32 v2, v3
	v_mov_b32_e32 v8, 0
	s_mov_b32 s16, 0
	s_delay_alu instid0(VALU_DEP_2) | instskip(NEXT) | instid1(VALU_DEP_2)
	v_cvt_f64_f32_e32 v[6:7], v2
	v_mov_b32_e32 v9, v8
	global_store_b128 v[0:1], v[6:9], off
.LBB166_1503:
	s_and_not1_b32 vcc_lo, exec_lo, s16
	s_cbranch_vccnz .LBB166_1505
; %bb.1504:
	s_waitcnt vmcnt(0)
	v_cvt_f32_f16_e32 v6, v3
	v_mov_b32_e32 v7, 0
	global_store_b64 v[0:1], v[6:7], off
.LBB166_1505:
	s_mov_b32 s16, 0
.LBB166_1506:
	s_delay_alu instid0(SALU_CYCLE_1)
	s_and_not1_b32 vcc_lo, exec_lo, s16
	s_cbranch_vccnz .LBB166_1508
; %bb.1507:
	s_waitcnt vmcnt(0)
	v_and_b32_e32 v2, 0xffff, v3
	global_store_b32 v[0:1], v2, off
.LBB166_1508:
	s_mov_b32 s16, 0
.LBB166_1509:
	s_delay_alu instid0(SALU_CYCLE_1)
	s_and_not1_b32 vcc_lo, exec_lo, s16
	s_cbranch_vccnz .LBB166_1518
; %bb.1510:
	v_cmp_gt_i16_e32 vcc_lo, 6, v5
	s_mov_b32 s16, -1
	s_cbranch_vccnz .LBB166_1516
; %bb.1511:
	v_cmp_lt_i16_e32 vcc_lo, 6, v5
	s_cbranch_vccz .LBB166_1513
; %bb.1512:
	s_waitcnt vmcnt(0)
	v_cvt_f32_f16_e32 v2, v3
	s_mov_b32 s16, 0
	s_delay_alu instid0(VALU_DEP_1)
	v_cvt_f64_f32_e32 v[6:7], v2
	global_store_b64 v[0:1], v[6:7], off
.LBB166_1513:
	s_and_not1_b32 vcc_lo, exec_lo, s16
	s_cbranch_vccnz .LBB166_1515
; %bb.1514:
	s_waitcnt vmcnt(0)
	v_cvt_f32_f16_e32 v2, v3
	global_store_b32 v[0:1], v2, off
.LBB166_1515:
	s_mov_b32 s16, 0
.LBB166_1516:
	s_delay_alu instid0(SALU_CYCLE_1)
	s_and_not1_b32 vcc_lo, exec_lo, s16
	s_cbranch_vccnz .LBB166_1518
; %bb.1517:
	s_waitcnt vmcnt(0)
	global_store_b16 v[0:1], v3, off
.LBB166_1518:
	s_mov_b32 s16, 0
.LBB166_1519:
	s_delay_alu instid0(SALU_CYCLE_1)
	s_and_not1_b32 vcc_lo, exec_lo, s16
	s_cbranch_vccnz .LBB166_1535
; %bb.1520:
	v_cmp_gt_i16_e32 vcc_lo, 2, v5
	s_mov_b32 s16, -1
	s_cbranch_vccnz .LBB166_1530
; %bb.1521:
	v_cmp_gt_i16_e32 vcc_lo, 3, v5
	s_cbranch_vccnz .LBB166_1527
; %bb.1522:
	v_cmp_lt_i16_e32 vcc_lo, 3, v5
	s_cbranch_vccz .LBB166_1524
; %bb.1523:
	s_waitcnt vmcnt(0)
	v_cvt_f32_f16_e32 v2, v3
	s_mov_b32 s16, 0
	s_delay_alu instid0(VALU_DEP_1) | instskip(NEXT) | instid1(VALU_DEP_1)
	v_cvt_i32_f32_e32 v6, v2
	v_ashrrev_i32_e32 v7, 31, v6
	global_store_b64 v[0:1], v[6:7], off
.LBB166_1524:
	s_and_not1_b32 vcc_lo, exec_lo, s16
	s_cbranch_vccnz .LBB166_1526
; %bb.1525:
	s_waitcnt vmcnt(0)
	v_cvt_f32_f16_e32 v2, v3
	s_delay_alu instid0(VALU_DEP_1)
	v_cvt_i32_f32_e32 v2, v2
	global_store_b32 v[0:1], v2, off
.LBB166_1526:
	s_mov_b32 s16, 0
.LBB166_1527:
	s_delay_alu instid0(SALU_CYCLE_1)
	s_and_not1_b32 vcc_lo, exec_lo, s16
	s_cbranch_vccnz .LBB166_1529
; %bb.1528:
	s_waitcnt vmcnt(0)
	v_cvt_i16_f16_e32 v2, v3
	global_store_b16 v[0:1], v2, off
.LBB166_1529:
	s_mov_b32 s16, 0
.LBB166_1530:
	s_delay_alu instid0(SALU_CYCLE_1)
	s_and_not1_b32 vcc_lo, exec_lo, s16
	s_cbranch_vccnz .LBB166_1535
; %bb.1531:
	v_cmp_lt_i16_e32 vcc_lo, 0, v5
	s_mov_b32 s16, -1
	s_cbranch_vccz .LBB166_1533
; %bb.1532:
	s_waitcnt vmcnt(0)
	v_cvt_i16_f16_e32 v2, v3
	s_mov_b32 s16, 0
	global_store_b8 v[0:1], v2, off
.LBB166_1533:
	s_and_not1_b32 vcc_lo, exec_lo, s16
	s_cbranch_vccnz .LBB166_1535
; %bb.1534:
	s_waitcnt vmcnt(0)
	v_cvt_f32_f16_e32 v2, v3
	s_delay_alu instid0(VALU_DEP_1)
	v_cvt_i32_f32_e32 v2, v2
	global_store_b8 v[0:1], v2, off
.LBB166_1535:
	s_or_b32 exec_lo, exec_lo, s0
	s_delay_alu instid0(SALU_CYCLE_1)
	s_and_b32 s16, s17, exec_lo
                                        ; implicit-def: $vgpr7
.LBB166_1536:
	s_or_saveexec_b32 s15, s15
	s_mov_b32 s0, 0
                                        ; implicit-def: $vgpr6
                                        ; implicit-def: $vgpr0_vgpr1
                                        ; implicit-def: $vgpr2
	s_xor_b32 exec_lo, exec_lo, s15
	s_cbranch_execz .LBB166_3023
; %bb.1537:
	s_waitcnt vmcnt(0)
	v_mul_lo_u32 v4, s9, v7
	v_and_b32_e64 v6, 0xff, s14
	s_delay_alu instid0(VALU_DEP_1) | instskip(NEXT) | instid1(VALU_DEP_3)
	v_cmp_gt_i16_e32 vcc_lo, 11, v6
	v_ashrrev_i32_e32 v1, 31, v4
	v_add_co_u32 v0, s0, s6, v4
	s_delay_alu instid0(VALU_DEP_1)
	v_add_co_ci_u32_e64 v1, s0, s7, v1, s0
	s_cbranch_vccnz .LBB166_1544
; %bb.1538:
	v_cmp_lt_i16_e32 vcc_lo, 25, v6
	s_mov_b32 s14, 0
	s_cbranch_vccz .LBB166_1550
; %bb.1539:
	v_cmp_lt_i16_e32 vcc_lo, 28, v6
	s_cbranch_vccz .LBB166_1552
; %bb.1540:
	v_cmp_lt_i16_e32 vcc_lo, 43, v6
	;; [unrolled: 3-line block ×3, first 2 shown]
	s_cbranch_vccz .LBB166_1558
; %bb.1542:
	v_cmp_eq_u16_e32 vcc_lo, 46, v6
	s_cbranch_vccz .LBB166_1598
; %bb.1543:
	global_load_b32 v2, v[0:1], off
	s_mov_b32 s0, 0
	s_mov_b32 s17, -1
	s_waitcnt vmcnt(0)
	v_lshlrev_b32_e32 v2, 16, v2
	s_delay_alu instid0(VALU_DEP_1)
	v_cvt_f16_f32_e32 v8, v2
	s_branch .LBB166_1600
.LBB166_1544:
	s_mov_b32 s17, 0
	s_mov_b32 s13, s16
                                        ; implicit-def: $vgpr8
	s_cbranch_execz .LBB166_1663
; %bb.1545:
	v_cmp_gt_i16_e32 vcc_lo, 5, v6
	s_cbranch_vccnz .LBB166_1551
; %bb.1546:
	v_cmp_gt_i16_e32 vcc_lo, 8, v6
	s_cbranch_vccnz .LBB166_1553
; %bb.1547:
	v_cmp_gt_i16_e32 vcc_lo, 9, v6
	s_cbranch_vccnz .LBB166_1555
; %bb.1548:
	v_cmp_lt_i16_e32 vcc_lo, 9, v6
	s_cbranch_vccz .LBB166_1559
; %bb.1549:
	global_load_b64 v[2:3], v[0:1], off
	s_mov_b32 s0, 0
	s_waitcnt vmcnt(0)
	v_cvt_f32_f64_e32 v2, v[2:3]
	s_delay_alu instid0(VALU_DEP_1)
	v_cvt_f16_f32_e32 v8, v2
	s_branch .LBB166_1560
.LBB166_1550:
	s_mov_b32 s17, 0
	s_mov_b32 s0, 0
                                        ; implicit-def: $vgpr8
	s_cbranch_execnz .LBB166_1628
	s_branch .LBB166_1659
.LBB166_1551:
                                        ; implicit-def: $vgpr8
	s_branch .LBB166_1577
.LBB166_1552:
	s_mov_b32 s13, -1
	s_mov_b32 s17, 0
	s_mov_b32 s0, 0
                                        ; implicit-def: $vgpr8
	s_branch .LBB166_1609
.LBB166_1553:
                                        ; implicit-def: $vgpr8
	s_branch .LBB166_1566
.LBB166_1554:
	s_mov_b32 s17, 0
	s_mov_b32 s0, 0
                                        ; implicit-def: $vgpr8
	s_cbranch_execnz .LBB166_1605
	s_branch .LBB166_1608
.LBB166_1555:
	s_mov_b32 s0, -1
                                        ; implicit-def: $vgpr8
	s_branch .LBB166_1563
.LBB166_1556:
	s_cbranch_execnz .LBB166_1596
; %bb.1557:
	s_or_b32 s17, s17, exec_lo
	s_and_not1_b32 s0, s0, exec_lo
	s_or_b32 exec_lo, exec_lo, s18
	s_and_saveexec_b32 s16, s0
	s_delay_alu instid0(SALU_CYCLE_1)
	s_xor_b32 s0, exec_lo, s16
	s_cbranch_execnz .LBB166_1496
	s_branch .LBB166_1497
.LBB166_1558:
	s_mov_b32 s13, -1
	s_mov_b32 s17, 0
	s_mov_b32 s0, 0
	s_branch .LBB166_1599
.LBB166_1559:
	s_mov_b32 s0, -1
                                        ; implicit-def: $vgpr8
.LBB166_1560:
	s_delay_alu instid0(SALU_CYCLE_1)
	s_and_not1_b32 vcc_lo, exec_lo, s0
	s_cbranch_vccnz .LBB166_1562
; %bb.1561:
	global_load_b32 v2, v[0:1], off
	s_waitcnt vmcnt(0)
	v_cvt_f16_f32_e32 v8, v2
.LBB166_1562:
	s_mov_b32 s0, 0
.LBB166_1563:
	s_delay_alu instid0(SALU_CYCLE_1)
	s_and_not1_b32 vcc_lo, exec_lo, s0
	s_cbranch_vccnz .LBB166_1565
; %bb.1564:
	global_load_b32 v8, v[0:1], off
.LBB166_1565:
	s_cbranch_execnz .LBB166_1576
.LBB166_1566:
	v_cmp_gt_i16_e32 vcc_lo, 6, v6
	s_cbranch_vccnz .LBB166_1569
; %bb.1567:
	v_cmp_lt_i16_e32 vcc_lo, 6, v6
	s_cbranch_vccz .LBB166_1570
; %bb.1568:
	global_load_b64 v[2:3], v[0:1], off
	s_mov_b32 s0, 0
	s_waitcnt vmcnt(0)
	v_cvt_f32_f64_e32 v2, v[2:3]
	s_delay_alu instid0(VALU_DEP_1)
	v_cvt_f16_f32_e32 v8, v2
	s_branch .LBB166_1571
.LBB166_1569:
	s_mov_b32 s0, -1
                                        ; implicit-def: $vgpr8
	s_branch .LBB166_1574
.LBB166_1570:
	s_mov_b32 s0, -1
                                        ; implicit-def: $vgpr8
.LBB166_1571:
	s_delay_alu instid0(SALU_CYCLE_1)
	s_and_not1_b32 vcc_lo, exec_lo, s0
	s_cbranch_vccnz .LBB166_1573
; %bb.1572:
	global_load_b32 v2, v[0:1], off
	s_waitcnt vmcnt(0)
	v_cvt_f16_f32_e32 v8, v2
.LBB166_1573:
	s_mov_b32 s0, 0
.LBB166_1574:
	s_delay_alu instid0(SALU_CYCLE_1)
	s_and_not1_b32 vcc_lo, exec_lo, s0
	s_cbranch_vccnz .LBB166_1576
; %bb.1575:
	global_load_u16 v8, v[0:1], off
.LBB166_1576:
	s_cbranch_execnz .LBB166_1595
.LBB166_1577:
	v_cmp_gt_i16_e32 vcc_lo, 2, v6
	s_cbranch_vccnz .LBB166_1581
; %bb.1578:
	v_cmp_gt_i16_e32 vcc_lo, 3, v6
	s_cbranch_vccnz .LBB166_1582
; %bb.1579:
	v_cmp_lt_i16_e32 vcc_lo, 3, v6
	s_cbranch_vccz .LBB166_1583
; %bb.1580:
	global_load_b64 v[2:3], v[0:1], off
	s_mov_b32 s0, 0
	s_waitcnt vmcnt(0)
	v_xor_b32_e32 v5, v2, v3
	v_cls_i32_e32 v8, v3
	s_delay_alu instid0(VALU_DEP_2) | instskip(NEXT) | instid1(VALU_DEP_2)
	v_ashrrev_i32_e32 v5, 31, v5
	v_add_nc_u32_e32 v8, -1, v8
	s_delay_alu instid0(VALU_DEP_2) | instskip(NEXT) | instid1(VALU_DEP_1)
	v_add_nc_u32_e32 v5, 32, v5
	v_min_u32_e32 v5, v8, v5
	s_delay_alu instid0(VALU_DEP_1) | instskip(NEXT) | instid1(VALU_DEP_1)
	v_lshlrev_b64 v[2:3], v5, v[2:3]
	v_min_u32_e32 v2, 1, v2
	s_delay_alu instid0(VALU_DEP_1) | instskip(SKIP_1) | instid1(VALU_DEP_2)
	v_or_b32_e32 v2, v3, v2
	v_sub_nc_u32_e32 v3, 32, v5
	v_cvt_f32_i32_e32 v2, v2
	s_delay_alu instid0(VALU_DEP_1) | instskip(NEXT) | instid1(VALU_DEP_1)
	v_ldexp_f32 v2, v2, v3
	v_cvt_f16_f32_e32 v8, v2
	s_branch .LBB166_1584
.LBB166_1581:
                                        ; implicit-def: $vgpr8
	s_branch .LBB166_1590
.LBB166_1582:
	s_mov_b32 s0, -1
                                        ; implicit-def: $vgpr8
	s_branch .LBB166_1587
.LBB166_1583:
	s_mov_b32 s0, -1
                                        ; implicit-def: $vgpr8
.LBB166_1584:
	s_delay_alu instid0(SALU_CYCLE_1)
	s_and_not1_b32 vcc_lo, exec_lo, s0
	s_cbranch_vccnz .LBB166_1586
; %bb.1585:
	global_load_b32 v2, v[0:1], off
	s_waitcnt vmcnt(0)
	v_cvt_f32_i32_e32 v2, v2
	s_delay_alu instid0(VALU_DEP_1)
	v_cvt_f16_f32_e32 v8, v2
.LBB166_1586:
	s_mov_b32 s0, 0
.LBB166_1587:
	s_delay_alu instid0(SALU_CYCLE_1)
	s_and_not1_b32 vcc_lo, exec_lo, s0
	s_cbranch_vccnz .LBB166_1589
; %bb.1588:
	global_load_u16 v2, v[0:1], off
	s_waitcnt vmcnt(0)
	v_cvt_f16_i16_e32 v8, v2
.LBB166_1589:
	s_cbranch_execnz .LBB166_1595
.LBB166_1590:
	v_cmp_lt_i16_e32 vcc_lo, 0, v6
	s_mov_b32 s0, 0
	s_cbranch_vccz .LBB166_1592
; %bb.1591:
	global_load_i8 v2, v[0:1], off
	s_waitcnt vmcnt(0)
	v_cvt_f16_i16_e32 v8, v2
	s_branch .LBB166_1593
.LBB166_1592:
	s_mov_b32 s0, -1
                                        ; implicit-def: $vgpr8
.LBB166_1593:
	s_delay_alu instid0(SALU_CYCLE_1)
	s_and_not1_b32 vcc_lo, exec_lo, s0
	s_cbranch_vccnz .LBB166_1595
; %bb.1594:
	global_load_u8 v0, v[0:1], off
	s_waitcnt vmcnt(0)
	v_cvt_f16_u16_e32 v8, v0
.LBB166_1595:
	s_branch .LBB166_1664
.LBB166_1596:
	s_trap 2
	s_sendmsg_rtn_b32 s0, sendmsg(MSG_RTN_GET_DOORBELL)
	s_mov_b32 ttmp2, m0
	s_waitcnt lgkmcnt(0)
	s_and_b32 s0, s0, 0x3ff
	s_delay_alu instid0(SALU_CYCLE_1) | instskip(NEXT) | instid1(SALU_CYCLE_1)
	s_bitset1_b32 s0, 10
	s_mov_b32 m0, s0
	s_sendmsg sendmsg(MSG_INTERRUPT)
	s_mov_b32 m0, ttmp2
.LBB166_1597:                           ; =>This Inner Loop Header: Depth=1
	s_sethalt 5
	s_branch .LBB166_1597
.LBB166_1598:
	s_mov_b32 s0, -1
	s_mov_b32 s17, 0
.LBB166_1599:
                                        ; implicit-def: $vgpr8
.LBB166_1600:
	s_and_b32 vcc_lo, exec_lo, s13
	s_cbranch_vccz .LBB166_1603
; %bb.1601:
	v_cmp_eq_u16_e32 vcc_lo, 44, v6
	s_cbranch_vccz .LBB166_1604
; %bb.1602:
	global_load_u8 v2, v[0:1], off
	s_mov_b32 s0, 0
	s_mov_b32 s17, -1
	s_waitcnt vmcnt(0)
	v_lshlrev_b32_e32 v3, 23, v2
	v_cmp_ne_u32_e32 vcc_lo, 0xff, v2
	s_delay_alu instid0(VALU_DEP_2) | instskip(NEXT) | instid1(VALU_DEP_1)
	v_cvt_f16_f32_e32 v3, v3
	v_cndmask_b32_e32 v3, 0x7e00, v3, vcc_lo
	v_cmp_ne_u32_e32 vcc_lo, 0, v2
	s_delay_alu instid0(VALU_DEP_2)
	v_cndmask_b32_e32 v8, 0, v3, vcc_lo
.LBB166_1603:
	s_branch .LBB166_1608
.LBB166_1604:
	s_mov_b32 s0, -1
                                        ; implicit-def: $vgpr8
	s_branch .LBB166_1608
.LBB166_1605:
	v_cmp_eq_u16_e32 vcc_lo, 29, v6
	s_cbranch_vccz .LBB166_1607
; %bb.1606:
	global_load_b64 v[2:3], v[0:1], off
	s_mov_b32 s0, 0
	s_mov_b32 s17, -1
	s_mov_b32 s13, 0
	s_waitcnt vmcnt(0)
	v_clz_i32_u32_e32 v5, v3
	s_delay_alu instid0(VALU_DEP_1) | instskip(NEXT) | instid1(VALU_DEP_1)
	v_min_u32_e32 v5, 32, v5
	v_lshlrev_b64 v[2:3], v5, v[2:3]
	s_delay_alu instid0(VALU_DEP_1) | instskip(NEXT) | instid1(VALU_DEP_1)
	v_min_u32_e32 v2, 1, v2
	v_or_b32_e32 v2, v3, v2
	v_sub_nc_u32_e32 v3, 32, v5
	s_delay_alu instid0(VALU_DEP_2) | instskip(NEXT) | instid1(VALU_DEP_1)
	v_cvt_f32_u32_e32 v2, v2
	v_ldexp_f32 v2, v2, v3
	s_delay_alu instid0(VALU_DEP_1)
	v_cvt_f16_f32_e32 v8, v2
	s_branch .LBB166_1609
.LBB166_1607:
	s_mov_b32 s0, -1
                                        ; implicit-def: $vgpr8
.LBB166_1608:
	s_mov_b32 s13, 0
.LBB166_1609:
	s_delay_alu instid0(SALU_CYCLE_1)
	s_and_b32 vcc_lo, exec_lo, s13
	s_cbranch_vccz .LBB166_1627
; %bb.1610:
	v_cmp_gt_i16_e32 vcc_lo, 27, v6
	s_cbranch_vccnz .LBB166_1613
; %bb.1611:
	v_cmp_lt_i16_e32 vcc_lo, 27, v6
	s_cbranch_vccz .LBB166_1614
; %bb.1612:
	global_load_b32 v2, v[0:1], off
	s_mov_b32 s13, 0
	s_waitcnt vmcnt(0)
	v_cvt_f32_u32_e32 v2, v2
	s_delay_alu instid0(VALU_DEP_1)
	v_cvt_f16_f32_e32 v8, v2
	s_branch .LBB166_1615
.LBB166_1613:
	s_mov_b32 s13, -1
                                        ; implicit-def: $vgpr8
	s_branch .LBB166_1618
.LBB166_1614:
	s_mov_b32 s13, -1
                                        ; implicit-def: $vgpr8
.LBB166_1615:
	s_delay_alu instid0(SALU_CYCLE_1)
	s_and_not1_b32 vcc_lo, exec_lo, s13
	s_cbranch_vccnz .LBB166_1617
; %bb.1616:
	global_load_u16 v2, v[0:1], off
	s_waitcnt vmcnt(0)
	v_cvt_f16_u16_e32 v8, v2
.LBB166_1617:
	s_mov_b32 s13, 0
.LBB166_1618:
	s_delay_alu instid0(SALU_CYCLE_1)
	s_and_not1_b32 vcc_lo, exec_lo, s13
	s_cbranch_vccnz .LBB166_1626
; %bb.1619:
	global_load_u8 v2, v[0:1], off
	s_mov_b32 s13, 0
	s_mov_b32 s18, exec_lo
                                        ; implicit-def: $sgpr17
	s_waitcnt vmcnt(0)
	v_cmpx_lt_i16_e32 0x7f, v2
	s_xor_b32 s18, exec_lo, s18
	s_cbranch_execz .LBB166_1639
; %bb.1620:
	s_mov_b32 s13, -1
	s_mov_b32 s19, exec_lo
                                        ; implicit-def: $sgpr17
	v_cmpx_eq_u16_e32 0x80, v2
; %bb.1621:
	s_movk_i32 s17, 0x7e00
	s_xor_b32 s13, exec_lo, -1
; %bb.1622:
	s_or_b32 exec_lo, exec_lo, s19
	s_delay_alu instid0(SALU_CYCLE_1)
	s_and_b32 s13, s13, exec_lo
	s_or_saveexec_b32 s18, s18
	v_mov_b32_e32 v8, s17
	s_xor_b32 exec_lo, exec_lo, s18
	s_cbranch_execnz .LBB166_1640
.LBB166_1623:
	s_or_b32 exec_lo, exec_lo, s18
	s_and_saveexec_b32 s17, s13
	s_cbranch_execz .LBB166_1625
.LBB166_1624:
	v_and_b32_e32 v3, 0xffff, v2
	s_delay_alu instid0(VALU_DEP_1) | instskip(NEXT) | instid1(VALU_DEP_1)
	v_and_b32_e32 v5, 7, v3
	v_clz_i32_u32_e32 v8, v5
	s_delay_alu instid0(VALU_DEP_1) | instskip(NEXT) | instid1(VALU_DEP_1)
	v_min_u32_e32 v8, 32, v8
	v_subrev_nc_u32_e32 v9, 28, v8
	v_sub_nc_u32_e32 v8, 29, v8
	s_delay_alu instid0(VALU_DEP_2) | instskip(SKIP_1) | instid1(VALU_DEP_2)
	v_lshlrev_b32_e32 v9, v9, v3
	v_bfe_u32 v3, v3, 3, 4
	v_and_b32_e32 v9, 7, v9
	s_delay_alu instid0(VALU_DEP_2) | instskip(SKIP_1) | instid1(VALU_DEP_1)
	v_cmp_eq_u32_e32 vcc_lo, 0, v3
	v_dual_cndmask_b32 v3, v3, v8 :: v_dual_lshlrev_b32 v2, 24, v2
	v_dual_cndmask_b32 v5, v5, v9 :: v_dual_and_b32 v2, 0x80000000, v2
	s_delay_alu instid0(VALU_DEP_2) | instskip(NEXT) | instid1(VALU_DEP_2)
	v_lshl_add_u32 v3, v3, 23, 0x3b800000
	v_lshlrev_b32_e32 v5, 20, v5
	s_delay_alu instid0(VALU_DEP_1) | instskip(NEXT) | instid1(VALU_DEP_1)
	v_or3_b32 v2, v2, v3, v5
	v_cvt_f16_f32_e32 v8, v2
.LBB166_1625:
	s_or_b32 exec_lo, exec_lo, s17
.LBB166_1626:
	s_mov_b32 s17, -1
.LBB166_1627:
	s_branch .LBB166_1659
.LBB166_1628:
	v_cmp_lt_i16_e32 vcc_lo, 22, v6
	s_cbranch_vccz .LBB166_1638
; %bb.1629:
	v_cmp_gt_i16_e32 vcc_lo, 24, v6
	s_cbranch_vccnz .LBB166_1641
; %bb.1630:
	v_cmp_lt_i16_e32 vcc_lo, 24, v6
	s_cbranch_vccz .LBB166_1642
; %bb.1631:
	global_load_u8 v2, v[0:1], off
	s_mov_b32 s13, 0
	s_mov_b32 s17, exec_lo
                                        ; implicit-def: $sgpr14
	s_waitcnt vmcnt(0)
	v_cmpx_lt_i16_e32 0x7f, v2
	s_xor_b32 s17, exec_lo, s17
	s_cbranch_execz .LBB166_1653
; %bb.1632:
	s_mov_b32 s13, -1
	s_mov_b32 s18, exec_lo
                                        ; implicit-def: $sgpr14
	v_cmpx_eq_u16_e32 0x80, v2
; %bb.1633:
	s_movk_i32 s14, 0x7e00
	s_xor_b32 s13, exec_lo, -1
; %bb.1634:
	s_or_b32 exec_lo, exec_lo, s18
	s_delay_alu instid0(SALU_CYCLE_1)
	s_and_b32 s13, s13, exec_lo
	s_or_saveexec_b32 s17, s17
	v_mov_b32_e32 v8, s14
	s_xor_b32 exec_lo, exec_lo, s17
	s_cbranch_execnz .LBB166_1654
.LBB166_1635:
	s_or_b32 exec_lo, exec_lo, s17
	s_and_saveexec_b32 s14, s13
	s_cbranch_execz .LBB166_1637
.LBB166_1636:
	v_and_b32_e32 v3, 0xffff, v2
	s_delay_alu instid0(VALU_DEP_1) | instskip(NEXT) | instid1(VALU_DEP_1)
	v_and_b32_e32 v5, 3, v3
	v_clz_i32_u32_e32 v8, v5
	s_delay_alu instid0(VALU_DEP_1) | instskip(NEXT) | instid1(VALU_DEP_1)
	v_min_u32_e32 v8, 32, v8
	v_subrev_nc_u32_e32 v9, 29, v8
	v_sub_nc_u32_e32 v8, 30, v8
	s_delay_alu instid0(VALU_DEP_2) | instskip(SKIP_1) | instid1(VALU_DEP_2)
	v_lshlrev_b32_e32 v9, v9, v3
	v_bfe_u32 v3, v3, 2, 5
	v_and_b32_e32 v9, 3, v9
	s_delay_alu instid0(VALU_DEP_2) | instskip(SKIP_1) | instid1(VALU_DEP_1)
	v_cmp_eq_u32_e32 vcc_lo, 0, v3
	v_dual_cndmask_b32 v3, v3, v8 :: v_dual_lshlrev_b32 v2, 24, v2
	v_dual_cndmask_b32 v5, v5, v9 :: v_dual_and_b32 v2, 0x80000000, v2
	s_delay_alu instid0(VALU_DEP_2) | instskip(NEXT) | instid1(VALU_DEP_2)
	v_lshl_add_u32 v3, v3, 23, 0x37800000
	v_lshlrev_b32_e32 v5, 21, v5
	s_delay_alu instid0(VALU_DEP_1) | instskip(NEXT) | instid1(VALU_DEP_1)
	v_or3_b32 v2, v2, v3, v5
	v_cvt_f16_f32_e32 v8, v2
.LBB166_1637:
	s_or_b32 exec_lo, exec_lo, s14
	s_mov_b32 s13, 0
	s_branch .LBB166_1643
.LBB166_1638:
                                        ; implicit-def: $vgpr8
	s_mov_b32 s14, 0
	s_branch .LBB166_1649
.LBB166_1639:
	s_or_saveexec_b32 s18, s18
	v_mov_b32_e32 v8, s17
	s_xor_b32 exec_lo, exec_lo, s18
	s_cbranch_execz .LBB166_1623
.LBB166_1640:
	v_cmp_ne_u16_e32 vcc_lo, 0, v2
	v_mov_b32_e32 v8, v2
	s_and_not1_b32 s13, s13, exec_lo
	s_and_b32 s17, vcc_lo, exec_lo
	s_delay_alu instid0(SALU_CYCLE_1)
	s_or_b32 s13, s13, s17
	s_or_b32 exec_lo, exec_lo, s18
	s_and_saveexec_b32 s17, s13
	s_cbranch_execnz .LBB166_1624
	s_branch .LBB166_1625
.LBB166_1641:
	s_mov_b32 s13, -1
                                        ; implicit-def: $vgpr8
	s_branch .LBB166_1646
.LBB166_1642:
	s_mov_b32 s13, -1
                                        ; implicit-def: $vgpr8
.LBB166_1643:
	s_delay_alu instid0(SALU_CYCLE_1)
	s_and_b32 vcc_lo, exec_lo, s13
	s_cbranch_vccz .LBB166_1645
; %bb.1644:
	global_load_u8 v2, v[0:1], off
	s_waitcnt vmcnt(0)
	v_lshlrev_b32_e32 v2, 24, v2
	s_delay_alu instid0(VALU_DEP_1) | instskip(NEXT) | instid1(VALU_DEP_1)
	v_and_b32_e32 v3, 0x7f000000, v2
	v_clz_i32_u32_e32 v5, v3
	v_add_nc_u32_e32 v9, 0x1000000, v3
	v_cmp_ne_u32_e32 vcc_lo, 0, v3
	s_delay_alu instid0(VALU_DEP_3) | instskip(NEXT) | instid1(VALU_DEP_1)
	v_min_u32_e32 v5, 32, v5
	v_sub_nc_u32_e64 v5, v5, 4 clamp
	s_delay_alu instid0(VALU_DEP_1) | instskip(SKIP_1) | instid1(VALU_DEP_2)
	v_lshlrev_b32_e32 v8, v5, v3
	v_lshlrev_b32_e32 v5, 23, v5
	v_lshrrev_b32_e32 v8, 4, v8
	s_delay_alu instid0(VALU_DEP_1) | instskip(SKIP_1) | instid1(VALU_DEP_2)
	v_sub_nc_u32_e32 v5, v8, v5
	v_ashrrev_i32_e32 v8, 8, v9
	v_add_nc_u32_e32 v5, 0x3c000000, v5
	s_delay_alu instid0(VALU_DEP_1) | instskip(NEXT) | instid1(VALU_DEP_1)
	v_and_or_b32 v5, 0x7f800000, v8, v5
	v_cndmask_b32_e32 v3, 0, v5, vcc_lo
	s_delay_alu instid0(VALU_DEP_1) | instskip(NEXT) | instid1(VALU_DEP_1)
	v_and_or_b32 v2, 0x80000000, v2, v3
	v_cvt_f16_f32_e32 v8, v2
.LBB166_1645:
	s_mov_b32 s13, 0
.LBB166_1646:
	s_delay_alu instid0(SALU_CYCLE_1)
	s_and_not1_b32 vcc_lo, exec_lo, s13
	s_cbranch_vccnz .LBB166_1648
; %bb.1647:
	global_load_u8 v2, v[0:1], off
	s_waitcnt vmcnt(0)
	v_lshlrev_b32_e32 v3, 25, v2
	v_lshlrev_b16 v2, 8, v2
	s_delay_alu instid0(VALU_DEP_1) | instskip(SKIP_1) | instid1(VALU_DEP_2)
	v_and_or_b32 v8, 0x7f00, v2, 0.5
	v_bfe_i32 v2, v2, 0, 16
	v_add_f32_e32 v8, -0.5, v8
	v_lshrrev_b32_e32 v5, 4, v3
	v_cmp_gt_u32_e32 vcc_lo, 0x8000000, v3
	s_delay_alu instid0(VALU_DEP_2) | instskip(NEXT) | instid1(VALU_DEP_1)
	v_or_b32_e32 v5, 0x70000000, v5
	v_mul_f32_e32 v5, 0x7800000, v5
	s_delay_alu instid0(VALU_DEP_1) | instskip(NEXT) | instid1(VALU_DEP_1)
	v_cndmask_b32_e32 v3, v5, v8, vcc_lo
	v_and_or_b32 v2, 0x80000000, v2, v3
	s_delay_alu instid0(VALU_DEP_1)
	v_cvt_f16_f32_e32 v8, v2
.LBB166_1648:
	s_mov_b32 s17, -1
	s_mov_b32 s14, 0
	s_cbranch_execnz .LBB166_1659
.LBB166_1649:
	v_cmp_lt_i16_e32 vcc_lo, 14, v6
	s_cbranch_vccz .LBB166_1652
; %bb.1650:
	v_cmp_eq_u16_e32 vcc_lo, 15, v6
	s_cbranch_vccz .LBB166_1655
; %bb.1651:
	global_load_u16 v2, v[0:1], off
	s_mov_b32 s0, 0
	s_mov_b32 s17, -1
	s_waitcnt vmcnt(0)
	v_lshlrev_b32_e32 v2, 16, v2
	s_delay_alu instid0(VALU_DEP_1)
	v_cvt_f16_f32_e32 v8, v2
	s_branch .LBB166_1656
.LBB166_1652:
	s_mov_b32 s13, -1
                                        ; implicit-def: $vgpr8
	s_branch .LBB166_1657
.LBB166_1653:
	s_or_saveexec_b32 s17, s17
	v_mov_b32_e32 v8, s14
	s_xor_b32 exec_lo, exec_lo, s17
	s_cbranch_execz .LBB166_1635
.LBB166_1654:
	v_cmp_ne_u16_e32 vcc_lo, 0, v2
	v_mov_b32_e32 v8, v2
	s_and_not1_b32 s13, s13, exec_lo
	s_and_b32 s14, vcc_lo, exec_lo
	s_delay_alu instid0(SALU_CYCLE_1)
	s_or_b32 s13, s13, s14
	s_or_b32 exec_lo, exec_lo, s17
	s_and_saveexec_b32 s14, s13
	s_cbranch_execnz .LBB166_1636
	s_branch .LBB166_1637
.LBB166_1655:
	s_mov_b32 s0, -1
                                        ; implicit-def: $vgpr8
.LBB166_1656:
	s_mov_b32 s13, 0
.LBB166_1657:
	s_delay_alu instid0(SALU_CYCLE_1)
	s_and_b32 vcc_lo, exec_lo, s13
	s_cbranch_vccz .LBB166_1659
; %bb.1658:
	v_cmp_ne_u16_e64 s0, 11, v6
	s_mov_b32 s14, -1
                                        ; implicit-def: $vgpr8
.LBB166_1659:
	s_delay_alu instid0(VALU_DEP_1)
	s_and_b32 vcc_lo, exec_lo, s0
	s_mov_b32 s13, s16
	s_cbranch_vccnz .LBB166_1683
; %bb.1660:
	s_and_not1_b32 vcc_lo, exec_lo, s14
	s_cbranch_vccnz .LBB166_1662
.LBB166_1661:
	global_load_u8 v2, v[0:1], off
	s_mov_b32 s17, -1
	s_waitcnt vmcnt(0)
	v_cmp_ne_u16_e32 vcc_lo, 0, v2
	v_cndmask_b32_e64 v8, 0, 0x3c00, vcc_lo
.LBB166_1662:
.LBB166_1663:
	s_and_not1_b32 vcc_lo, exec_lo, s17
	s_cbranch_vccnz .LBB166_3021
.LBB166_1664:
	v_mul_lo_u32 v5, s10, v7
	v_and_b32_e64 v9, 0xff, s1
	s_delay_alu instid0(VALU_DEP_1) | instskip(NEXT) | instid1(VALU_DEP_3)
	v_cmp_gt_i16_e32 vcc_lo, 11, v9
	v_ashrrev_i32_e32 v0, 31, v5
	v_add_co_u32 v2, s0, s2, v5
	s_delay_alu instid0(VALU_DEP_1)
	v_add_co_ci_u32_e64 v3, s0, s3, v0, s0
	s_cbranch_vccnz .LBB166_1671
; %bb.1665:
	v_cmp_lt_i16_e32 vcc_lo, 25, v9
	s_mov_b32 s1, 0
	s_cbranch_vccz .LBB166_1677
; %bb.1666:
	v_cmp_lt_i16_e32 vcc_lo, 28, v9
	s_cbranch_vccz .LBB166_1679
; %bb.1667:
	v_cmp_lt_i16_e32 vcc_lo, 43, v9
	;; [unrolled: 3-line block ×3, first 2 shown]
	s_cbranch_vccz .LBB166_1685
; %bb.1669:
	v_cmp_eq_u16_e32 vcc_lo, 46, v9
	s_mov_b32 s17, 0
	s_cbranch_vccz .LBB166_1729
; %bb.1670:
	global_load_b32 v0, v[2:3], off
	s_mov_b32 s0, 0
	s_mov_b32 s14, -1
	s_waitcnt vmcnt(0)
	v_lshlrev_b32_e32 v0, 16, v0
	s_delay_alu instid0(VALU_DEP_1) | instskip(NEXT) | instid1(VALU_DEP_1)
	v_trunc_f32_e32 v0, v0
	v_mul_f32_e64 v1, 0x2f800000, |v0|
	s_delay_alu instid0(VALU_DEP_1) | instskip(NEXT) | instid1(VALU_DEP_1)
	v_floor_f32_e32 v1, v1
	v_fma_f32 v1, 0xcf800000, v1, |v0|
	v_ashrrev_i32_e32 v0, 31, v0
	s_delay_alu instid0(VALU_DEP_2) | instskip(NEXT) | instid1(VALU_DEP_1)
	v_cvt_u32_f32_e32 v1, v1
	v_xor_b32_e32 v1, v1, v0
	s_delay_alu instid0(VALU_DEP_1)
	v_sub_nc_u32_e32 v0, v1, v0
	s_branch .LBB166_1731
.LBB166_1671:
	s_mov_b32 s14, 0
                                        ; implicit-def: $vgpr0
	s_cbranch_execz .LBB166_1792
; %bb.1672:
	v_cmp_gt_i16_e32 vcc_lo, 5, v9
	s_cbranch_vccnz .LBB166_1678
; %bb.1673:
	v_cmp_gt_i16_e32 vcc_lo, 8, v9
	s_cbranch_vccnz .LBB166_1680
	;; [unrolled: 3-line block ×3, first 2 shown]
; %bb.1675:
	v_cmp_lt_i16_e32 vcc_lo, 9, v9
	s_cbranch_vccz .LBB166_1688
; %bb.1676:
	global_load_b64 v[0:1], v[2:3], off
	s_mov_b32 s0, 0
	s_waitcnt vmcnt(0)
	v_trunc_f64_e32 v[0:1], v[0:1]
	s_delay_alu instid0(VALU_DEP_1) | instskip(NEXT) | instid1(VALU_DEP_1)
	v_ldexp_f64 v[10:11], v[0:1], 0xffffffe0
	v_floor_f64_e32 v[10:11], v[10:11]
	s_delay_alu instid0(VALU_DEP_1) | instskip(NEXT) | instid1(VALU_DEP_1)
	v_fma_f64 v[0:1], 0xc1f00000, v[10:11], v[0:1]
	v_cvt_u32_f64_e32 v0, v[0:1]
	s_branch .LBB166_1689
.LBB166_1677:
	s_mov_b32 s14, 0
	s_mov_b32 s0, 0
                                        ; implicit-def: $vgpr0
	s_cbranch_execnz .LBB166_1758
	s_branch .LBB166_1788
.LBB166_1678:
                                        ; implicit-def: $vgpr0
	s_branch .LBB166_1707
.LBB166_1679:
	s_mov_b32 s17, -1
	s_mov_b32 s14, 0
	s_mov_b32 s0, 0
                                        ; implicit-def: $vgpr0
	s_branch .LBB166_1741
.LBB166_1680:
	s_mov_b32 s0, -1
                                        ; implicit-def: $vgpr0
	s_branch .LBB166_1695
.LBB166_1681:
	s_mov_b32 s17, -1
	s_mov_b32 s14, 0
	s_mov_b32 s0, 0
                                        ; implicit-def: $vgpr0
	s_branch .LBB166_1736
.LBB166_1682:
	s_mov_b32 s0, -1
                                        ; implicit-def: $vgpr0
	s_branch .LBB166_1692
.LBB166_1683:
	s_cbranch_execnz .LBB166_1727
; %bb.1684:
	s_or_b32 s13, s16, exec_lo
                                        ; implicit-def: $vgpr8
	s_cbranch_execz .LBB166_1661
	s_branch .LBB166_1662
.LBB166_1685:
	s_mov_b32 s17, -1
	s_mov_b32 s14, 0
	s_mov_b32 s0, 0
	s_branch .LBB166_1730
.LBB166_1686:
	s_or_saveexec_b32 s21, s21
                                        ; implicit-def: $sgpr22
	s_delay_alu instid0(SALU_CYCLE_1)
	s_xor_b32 exec_lo, exec_lo, s21
	s_cbranch_execz .LBB166_1447
.LBB166_1687:
	v_add_f32_e64 v4, 0x46000000, |v2|
	s_and_not1_b32 s20, s20, exec_lo
	s_mov_b32 s22, 0
	s_delay_alu instid0(VALU_DEP_1) | instskip(NEXT) | instid1(VALU_DEP_1)
	v_and_b32_e32 v4, 0xff, v4
	v_cmp_ne_u32_e32 vcc_lo, 0, v4
	s_and_b32 s23, vcc_lo, exec_lo
	s_delay_alu instid0(SALU_CYCLE_1)
	s_or_b32 s20, s20, s23
	s_or_b32 exec_lo, exec_lo, s21
	v_mov_b32_e32 v6, s22
	s_and_saveexec_b32 s21, s20
	s_cbranch_execnz .LBB166_1448
	s_branch .LBB166_1449
.LBB166_1688:
	s_mov_b32 s0, -1
                                        ; implicit-def: $vgpr0
.LBB166_1689:
	s_delay_alu instid0(SALU_CYCLE_1)
	s_and_not1_b32 vcc_lo, exec_lo, s0
	s_cbranch_vccnz .LBB166_1691
; %bb.1690:
	global_load_b32 v0, v[2:3], off
	s_waitcnt vmcnt(0)
	v_trunc_f32_e32 v0, v0
	s_delay_alu instid0(VALU_DEP_1) | instskip(NEXT) | instid1(VALU_DEP_1)
	v_mul_f32_e64 v1, 0x2f800000, |v0|
	v_floor_f32_e32 v1, v1
	s_delay_alu instid0(VALU_DEP_1) | instskip(SKIP_1) | instid1(VALU_DEP_2)
	v_fma_f32 v1, 0xcf800000, v1, |v0|
	v_ashrrev_i32_e32 v0, 31, v0
	v_cvt_u32_f32_e32 v1, v1
	s_delay_alu instid0(VALU_DEP_1) | instskip(NEXT) | instid1(VALU_DEP_1)
	v_xor_b32_e32 v1, v1, v0
	v_sub_nc_u32_e32 v0, v1, v0
.LBB166_1691:
	s_mov_b32 s0, 0
.LBB166_1692:
	s_delay_alu instid0(SALU_CYCLE_1)
	s_and_not1_b32 vcc_lo, exec_lo, s0
	s_cbranch_vccnz .LBB166_1694
; %bb.1693:
	global_load_b32 v0, v[2:3], off
	s_waitcnt vmcnt(0)
	v_cvt_f32_f16_e32 v0, v0
	s_delay_alu instid0(VALU_DEP_1)
	v_cvt_i32_f32_e32 v0, v0
.LBB166_1694:
	s_mov_b32 s0, 0
.LBB166_1695:
	s_delay_alu instid0(SALU_CYCLE_1)
	s_and_not1_b32 vcc_lo, exec_lo, s0
	s_cbranch_vccnz .LBB166_1706
; %bb.1696:
	v_cmp_gt_i16_e32 vcc_lo, 6, v9
	s_cbranch_vccnz .LBB166_1699
; %bb.1697:
	v_cmp_lt_i16_e32 vcc_lo, 6, v9
	s_cbranch_vccz .LBB166_1700
; %bb.1698:
	global_load_b64 v[0:1], v[2:3], off
	s_mov_b32 s0, 0
	s_waitcnt vmcnt(0)
	v_trunc_f64_e32 v[0:1], v[0:1]
	s_delay_alu instid0(VALU_DEP_1) | instskip(NEXT) | instid1(VALU_DEP_1)
	v_ldexp_f64 v[10:11], v[0:1], 0xffffffe0
	v_floor_f64_e32 v[10:11], v[10:11]
	s_delay_alu instid0(VALU_DEP_1) | instskip(NEXT) | instid1(VALU_DEP_1)
	v_fma_f64 v[0:1], 0xc1f00000, v[10:11], v[0:1]
	v_cvt_u32_f64_e32 v0, v[0:1]
	s_branch .LBB166_1701
.LBB166_1699:
	s_mov_b32 s0, -1
                                        ; implicit-def: $vgpr0
	s_branch .LBB166_1704
.LBB166_1700:
	s_mov_b32 s0, -1
                                        ; implicit-def: $vgpr0
.LBB166_1701:
	s_delay_alu instid0(SALU_CYCLE_1)
	s_and_not1_b32 vcc_lo, exec_lo, s0
	s_cbranch_vccnz .LBB166_1703
; %bb.1702:
	global_load_b32 v0, v[2:3], off
	s_waitcnt vmcnt(0)
	v_trunc_f32_e32 v0, v0
	s_delay_alu instid0(VALU_DEP_1) | instskip(NEXT) | instid1(VALU_DEP_1)
	v_mul_f32_e64 v1, 0x2f800000, |v0|
	v_floor_f32_e32 v1, v1
	s_delay_alu instid0(VALU_DEP_1) | instskip(SKIP_1) | instid1(VALU_DEP_2)
	v_fma_f32 v1, 0xcf800000, v1, |v0|
	v_ashrrev_i32_e32 v0, 31, v0
	v_cvt_u32_f32_e32 v1, v1
	s_delay_alu instid0(VALU_DEP_1) | instskip(NEXT) | instid1(VALU_DEP_1)
	v_xor_b32_e32 v1, v1, v0
	v_sub_nc_u32_e32 v0, v1, v0
.LBB166_1703:
	s_mov_b32 s0, 0
.LBB166_1704:
	s_delay_alu instid0(SALU_CYCLE_1)
	s_and_not1_b32 vcc_lo, exec_lo, s0
	s_cbranch_vccnz .LBB166_1706
; %bb.1705:
	global_load_u16 v0, v[2:3], off
	s_waitcnt vmcnt(0)
	v_cvt_f32_f16_e32 v0, v0
	s_delay_alu instid0(VALU_DEP_1)
	v_cvt_i32_f32_e32 v0, v0
.LBB166_1706:
	s_cbranch_execnz .LBB166_1726
.LBB166_1707:
	v_cmp_gt_i16_e32 vcc_lo, 2, v9
	s_cbranch_vccnz .LBB166_1711
; %bb.1708:
	v_cmp_gt_i16_e32 vcc_lo, 3, v9
	s_cbranch_vccnz .LBB166_1712
; %bb.1709:
	v_cmp_lt_i16_e32 vcc_lo, 3, v9
	s_cbranch_vccz .LBB166_1713
; %bb.1710:
	global_load_b64 v[0:1], v[2:3], off
	s_mov_b32 s0, 0
	s_branch .LBB166_1714
.LBB166_1711:
	s_mov_b32 s0, -1
                                        ; implicit-def: $vgpr0
	s_branch .LBB166_1720
.LBB166_1712:
	s_mov_b32 s0, -1
                                        ; implicit-def: $vgpr0
	s_branch .LBB166_1717
.LBB166_1713:
	s_mov_b32 s0, -1
                                        ; implicit-def: $vgpr0
.LBB166_1714:
	s_delay_alu instid0(SALU_CYCLE_1)
	s_and_not1_b32 vcc_lo, exec_lo, s0
	s_cbranch_vccnz .LBB166_1716
; %bb.1715:
	global_load_b32 v0, v[2:3], off
.LBB166_1716:
	s_mov_b32 s0, 0
.LBB166_1717:
	s_delay_alu instid0(SALU_CYCLE_1)
	s_and_not1_b32 vcc_lo, exec_lo, s0
	s_cbranch_vccnz .LBB166_1719
; %bb.1718:
	global_load_u16 v0, v[2:3], off
.LBB166_1719:
	s_mov_b32 s0, 0
.LBB166_1720:
	s_delay_alu instid0(SALU_CYCLE_1)
	s_and_not1_b32 vcc_lo, exec_lo, s0
	s_cbranch_vccnz .LBB166_1726
; %bb.1721:
	v_cmp_lt_i16_e32 vcc_lo, 0, v9
	s_mov_b32 s0, 0
	s_cbranch_vccz .LBB166_1723
; %bb.1722:
	global_load_u8 v0, v[2:3], off
	s_branch .LBB166_1724
.LBB166_1723:
	s_mov_b32 s0, -1
                                        ; implicit-def: $vgpr0
.LBB166_1724:
	s_delay_alu instid0(SALU_CYCLE_1)
	s_and_not1_b32 vcc_lo, exec_lo, s0
	s_cbranch_vccnz .LBB166_1726
; %bb.1725:
	global_load_u8 v0, v[2:3], off
.LBB166_1726:
	s_branch .LBB166_1793
.LBB166_1727:
	s_trap 2
	s_sendmsg_rtn_b32 s0, sendmsg(MSG_RTN_GET_DOORBELL)
	s_mov_b32 ttmp2, m0
	s_waitcnt lgkmcnt(0)
	s_and_b32 s0, s0, 0x3ff
	s_delay_alu instid0(SALU_CYCLE_1) | instskip(NEXT) | instid1(SALU_CYCLE_1)
	s_bitset1_b32 s0, 10
	s_mov_b32 m0, s0
	s_sendmsg sendmsg(MSG_INTERRUPT)
	s_mov_b32 m0, ttmp2
.LBB166_1728:                           ; =>This Inner Loop Header: Depth=1
	s_sethalt 5
	s_branch .LBB166_1728
.LBB166_1729:
	s_mov_b32 s0, -1
	s_mov_b32 s14, 0
.LBB166_1730:
                                        ; implicit-def: $vgpr0
.LBB166_1731:
	s_and_b32 vcc_lo, exec_lo, s17
	s_cbranch_vccz .LBB166_1735
; %bb.1732:
	v_cmp_eq_u16_e32 vcc_lo, 44, v9
	s_cbranch_vccz .LBB166_1734
; %bb.1733:
	global_load_u8 v0, v[2:3], off
	s_mov_b32 s0, 0
	s_mov_b32 s14, -1
	s_waitcnt vmcnt(0)
	v_lshlrev_b32_e32 v1, 23, v0
	v_cmp_ne_u32_e32 vcc_lo, 0, v0
	s_delay_alu instid0(VALU_DEP_2) | instskip(NEXT) | instid1(VALU_DEP_1)
	v_trunc_f32_e32 v1, v1
	v_mul_f32_e64 v10, 0x2f800000, |v1|
	s_delay_alu instid0(VALU_DEP_1) | instskip(NEXT) | instid1(VALU_DEP_1)
	v_floor_f32_e32 v10, v10
	v_fma_f32 v10, 0xcf800000, v10, |v1|
	v_ashrrev_i32_e32 v1, 31, v1
	s_delay_alu instid0(VALU_DEP_2) | instskip(NEXT) | instid1(VALU_DEP_1)
	v_cvt_u32_f32_e32 v10, v10
	v_xor_b32_e32 v10, v10, v1
	s_delay_alu instid0(VALU_DEP_1) | instskip(NEXT) | instid1(VALU_DEP_1)
	v_sub_nc_u32_e32 v1, v10, v1
	v_cndmask_b32_e32 v0, 0, v1, vcc_lo
	s_branch .LBB166_1735
.LBB166_1734:
	s_mov_b32 s0, -1
                                        ; implicit-def: $vgpr0
.LBB166_1735:
	s_mov_b32 s17, 0
.LBB166_1736:
	s_delay_alu instid0(SALU_CYCLE_1)
	s_and_b32 vcc_lo, exec_lo, s17
	s_cbranch_vccz .LBB166_1740
; %bb.1737:
	v_cmp_eq_u16_e32 vcc_lo, 29, v9
	s_cbranch_vccz .LBB166_1739
; %bb.1738:
	global_load_b64 v[0:1], v[2:3], off
	s_mov_b32 s0, 0
	s_mov_b32 s14, -1
	s_branch .LBB166_1740
.LBB166_1739:
	s_mov_b32 s0, -1
                                        ; implicit-def: $vgpr0
.LBB166_1740:
	s_mov_b32 s17, 0
.LBB166_1741:
	s_delay_alu instid0(SALU_CYCLE_1)
	s_and_b32 vcc_lo, exec_lo, s17
	s_cbranch_vccz .LBB166_1757
; %bb.1742:
	v_cmp_gt_i16_e32 vcc_lo, 27, v9
	s_cbranch_vccnz .LBB166_1745
; %bb.1743:
	v_cmp_lt_i16_e32 vcc_lo, 27, v9
	s_cbranch_vccz .LBB166_1746
; %bb.1744:
	global_load_b32 v0, v[2:3], off
	s_mov_b32 s14, 0
	s_branch .LBB166_1747
.LBB166_1745:
	s_mov_b32 s14, -1
                                        ; implicit-def: $vgpr0
	s_branch .LBB166_1750
.LBB166_1746:
	s_mov_b32 s14, -1
                                        ; implicit-def: $vgpr0
.LBB166_1747:
	s_delay_alu instid0(SALU_CYCLE_1)
	s_and_not1_b32 vcc_lo, exec_lo, s14
	s_cbranch_vccnz .LBB166_1749
; %bb.1748:
	global_load_u16 v0, v[2:3], off
.LBB166_1749:
	s_mov_b32 s14, 0
.LBB166_1750:
	s_delay_alu instid0(SALU_CYCLE_1)
	s_and_not1_b32 vcc_lo, exec_lo, s14
	s_cbranch_vccnz .LBB166_1756
; %bb.1751:
	global_load_u8 v1, v[2:3], off
	s_mov_b32 s17, 0
	s_mov_b32 s14, exec_lo
                                        ; implicit-def: $sgpr18
	s_waitcnt vmcnt(0)
	v_cmpx_lt_i16_e32 0x7f, v1
	s_xor_b32 s14, exec_lo, s14
	s_cbranch_execz .LBB166_1767
; %bb.1752:
	v_cmp_ne_u16_e32 vcc_lo, 0x80, v1
	s_mov_b32 s18, 0
	s_and_b32 s17, vcc_lo, exec_lo
	s_or_saveexec_b32 s14, s14
	v_mov_b32_e32 v0, s18
	s_xor_b32 exec_lo, exec_lo, s14
	s_cbranch_execnz .LBB166_1768
.LBB166_1753:
	s_or_b32 exec_lo, exec_lo, s14
	s_and_saveexec_b32 s14, s17
	s_cbranch_execz .LBB166_1755
.LBB166_1754:
	v_and_b32_e32 v0, 0xffff, v1
	s_delay_alu instid0(VALU_DEP_1) | instskip(NEXT) | instid1(VALU_DEP_1)
	v_and_b32_e32 v10, 7, v0
	v_clz_i32_u32_e32 v11, v10
	s_delay_alu instid0(VALU_DEP_1) | instskip(NEXT) | instid1(VALU_DEP_1)
	v_min_u32_e32 v11, 32, v11
	v_subrev_nc_u32_e32 v12, 28, v11
	v_sub_nc_u32_e32 v11, 29, v11
	s_delay_alu instid0(VALU_DEP_2) | instskip(SKIP_1) | instid1(VALU_DEP_2)
	v_lshlrev_b32_e32 v12, v12, v0
	v_bfe_u32 v0, v0, 3, 4
	v_and_b32_e32 v12, 7, v12
	s_delay_alu instid0(VALU_DEP_2) | instskip(SKIP_1) | instid1(VALU_DEP_1)
	v_cmp_eq_u32_e32 vcc_lo, 0, v0
	v_dual_cndmask_b32 v0, v0, v11 :: v_dual_lshlrev_b32 v1, 24, v1
	v_dual_cndmask_b32 v10, v10, v12 :: v_dual_and_b32 v1, 0x80000000, v1
	s_delay_alu instid0(VALU_DEP_2) | instskip(NEXT) | instid1(VALU_DEP_2)
	v_lshl_add_u32 v0, v0, 23, 0x3b800000
	v_lshlrev_b32_e32 v10, 20, v10
	s_delay_alu instid0(VALU_DEP_1) | instskip(NEXT) | instid1(VALU_DEP_1)
	v_or3_b32 v0, v1, v0, v10
	v_trunc_f32_e32 v0, v0
	s_delay_alu instid0(VALU_DEP_1) | instskip(NEXT) | instid1(VALU_DEP_1)
	v_mul_f32_e64 v1, 0x2f800000, |v0|
	v_floor_f32_e32 v1, v1
	s_delay_alu instid0(VALU_DEP_1) | instskip(SKIP_1) | instid1(VALU_DEP_2)
	v_fma_f32 v1, 0xcf800000, v1, |v0|
	v_ashrrev_i32_e32 v0, 31, v0
	v_cvt_u32_f32_e32 v1, v1
	s_delay_alu instid0(VALU_DEP_1) | instskip(NEXT) | instid1(VALU_DEP_1)
	v_xor_b32_e32 v1, v1, v0
	v_sub_nc_u32_e32 v0, v1, v0
.LBB166_1755:
	s_or_b32 exec_lo, exec_lo, s14
.LBB166_1756:
	s_mov_b32 s14, -1
.LBB166_1757:
	s_branch .LBB166_1788
.LBB166_1758:
	v_cmp_lt_i16_e32 vcc_lo, 22, v9
	s_cbranch_vccz .LBB166_1766
; %bb.1759:
	v_cmp_gt_i16_e32 vcc_lo, 24, v9
	s_cbranch_vccnz .LBB166_1769
; %bb.1760:
	v_cmp_lt_i16_e32 vcc_lo, 24, v9
	s_cbranch_vccz .LBB166_1770
; %bb.1761:
	global_load_u8 v1, v[2:3], off
	s_mov_b32 s14, 0
	s_mov_b32 s1, exec_lo
                                        ; implicit-def: $sgpr17
	s_waitcnt vmcnt(0)
	v_cmpx_lt_i16_e32 0x7f, v1
	s_xor_b32 s1, exec_lo, s1
	s_cbranch_execz .LBB166_1782
; %bb.1762:
	v_cmp_ne_u16_e32 vcc_lo, 0x80, v1
	s_mov_b32 s17, 0
	s_and_b32 s14, vcc_lo, exec_lo
	s_or_saveexec_b32 s1, s1
	v_mov_b32_e32 v0, s17
	s_xor_b32 exec_lo, exec_lo, s1
	s_cbranch_execnz .LBB166_1783
.LBB166_1763:
	s_or_b32 exec_lo, exec_lo, s1
	s_and_saveexec_b32 s1, s14
	s_cbranch_execz .LBB166_1765
.LBB166_1764:
	v_and_b32_e32 v0, 0xffff, v1
	s_delay_alu instid0(VALU_DEP_1) | instskip(NEXT) | instid1(VALU_DEP_1)
	v_and_b32_e32 v10, 3, v0
	v_clz_i32_u32_e32 v11, v10
	s_delay_alu instid0(VALU_DEP_1) | instskip(NEXT) | instid1(VALU_DEP_1)
	v_min_u32_e32 v11, 32, v11
	v_subrev_nc_u32_e32 v12, 29, v11
	v_sub_nc_u32_e32 v11, 30, v11
	s_delay_alu instid0(VALU_DEP_2) | instskip(SKIP_1) | instid1(VALU_DEP_2)
	v_lshlrev_b32_e32 v12, v12, v0
	v_bfe_u32 v0, v0, 2, 5
	v_and_b32_e32 v12, 3, v12
	s_delay_alu instid0(VALU_DEP_2) | instskip(SKIP_1) | instid1(VALU_DEP_1)
	v_cmp_eq_u32_e32 vcc_lo, 0, v0
	v_dual_cndmask_b32 v0, v0, v11 :: v_dual_lshlrev_b32 v1, 24, v1
	v_dual_cndmask_b32 v10, v10, v12 :: v_dual_and_b32 v1, 0x80000000, v1
	s_delay_alu instid0(VALU_DEP_2) | instskip(NEXT) | instid1(VALU_DEP_2)
	v_lshl_add_u32 v0, v0, 23, 0x37800000
	v_lshlrev_b32_e32 v10, 21, v10
	s_delay_alu instid0(VALU_DEP_1) | instskip(NEXT) | instid1(VALU_DEP_1)
	v_or3_b32 v0, v1, v0, v10
	v_trunc_f32_e32 v0, v0
	s_delay_alu instid0(VALU_DEP_1) | instskip(NEXT) | instid1(VALU_DEP_1)
	v_mul_f32_e64 v1, 0x2f800000, |v0|
	v_floor_f32_e32 v1, v1
	s_delay_alu instid0(VALU_DEP_1) | instskip(SKIP_1) | instid1(VALU_DEP_2)
	v_fma_f32 v1, 0xcf800000, v1, |v0|
	v_ashrrev_i32_e32 v0, 31, v0
	v_cvt_u32_f32_e32 v1, v1
	s_delay_alu instid0(VALU_DEP_1) | instskip(NEXT) | instid1(VALU_DEP_1)
	v_xor_b32_e32 v1, v1, v0
	v_sub_nc_u32_e32 v0, v1, v0
.LBB166_1765:
	s_or_b32 exec_lo, exec_lo, s1
	s_mov_b32 s1, 0
	s_branch .LBB166_1771
.LBB166_1766:
	s_mov_b32 s1, -1
                                        ; implicit-def: $vgpr0
	s_branch .LBB166_1777
.LBB166_1767:
	s_or_saveexec_b32 s14, s14
	v_mov_b32_e32 v0, s18
	s_xor_b32 exec_lo, exec_lo, s14
	s_cbranch_execz .LBB166_1753
.LBB166_1768:
	v_cmp_ne_u16_e32 vcc_lo, 0, v1
	v_mov_b32_e32 v0, 0
	s_and_not1_b32 s17, s17, exec_lo
	s_and_b32 s18, vcc_lo, exec_lo
	s_delay_alu instid0(SALU_CYCLE_1)
	s_or_b32 s17, s17, s18
	s_or_b32 exec_lo, exec_lo, s14
	s_and_saveexec_b32 s14, s17
	s_cbranch_execnz .LBB166_1754
	s_branch .LBB166_1755
.LBB166_1769:
	s_mov_b32 s1, -1
                                        ; implicit-def: $vgpr0
	s_branch .LBB166_1774
.LBB166_1770:
	s_mov_b32 s1, -1
                                        ; implicit-def: $vgpr0
.LBB166_1771:
	s_delay_alu instid0(SALU_CYCLE_1)
	s_and_b32 vcc_lo, exec_lo, s1
	s_cbranch_vccz .LBB166_1773
; %bb.1772:
	global_load_u8 v0, v[2:3], off
	s_waitcnt vmcnt(0)
	v_lshlrev_b32_e32 v0, 24, v0
	s_delay_alu instid0(VALU_DEP_1) | instskip(NEXT) | instid1(VALU_DEP_1)
	v_and_b32_e32 v1, 0x7f000000, v0
	v_clz_i32_u32_e32 v10, v1
	v_add_nc_u32_e32 v12, 0x1000000, v1
	v_cmp_ne_u32_e32 vcc_lo, 0, v1
	s_delay_alu instid0(VALU_DEP_3) | instskip(NEXT) | instid1(VALU_DEP_1)
	v_min_u32_e32 v10, 32, v10
	v_sub_nc_u32_e64 v10, v10, 4 clamp
	s_delay_alu instid0(VALU_DEP_1) | instskip(SKIP_1) | instid1(VALU_DEP_2)
	v_lshlrev_b32_e32 v11, v10, v1
	v_lshlrev_b32_e32 v10, 23, v10
	v_lshrrev_b32_e32 v11, 4, v11
	s_delay_alu instid0(VALU_DEP_1) | instskip(SKIP_1) | instid1(VALU_DEP_2)
	v_sub_nc_u32_e32 v10, v11, v10
	v_ashrrev_i32_e32 v11, 8, v12
	v_add_nc_u32_e32 v10, 0x3c000000, v10
	s_delay_alu instid0(VALU_DEP_1) | instskip(NEXT) | instid1(VALU_DEP_1)
	v_and_or_b32 v10, 0x7f800000, v11, v10
	v_cndmask_b32_e32 v1, 0, v10, vcc_lo
	s_delay_alu instid0(VALU_DEP_1) | instskip(NEXT) | instid1(VALU_DEP_1)
	v_and_or_b32 v0, 0x80000000, v0, v1
	v_trunc_f32_e32 v0, v0
	s_delay_alu instid0(VALU_DEP_1) | instskip(NEXT) | instid1(VALU_DEP_1)
	v_mul_f32_e64 v1, 0x2f800000, |v0|
	v_floor_f32_e32 v1, v1
	s_delay_alu instid0(VALU_DEP_1) | instskip(SKIP_1) | instid1(VALU_DEP_2)
	v_fma_f32 v1, 0xcf800000, v1, |v0|
	v_ashrrev_i32_e32 v0, 31, v0
	v_cvt_u32_f32_e32 v1, v1
	s_delay_alu instid0(VALU_DEP_1) | instskip(NEXT) | instid1(VALU_DEP_1)
	v_xor_b32_e32 v1, v1, v0
	v_sub_nc_u32_e32 v0, v1, v0
.LBB166_1773:
	s_mov_b32 s1, 0
.LBB166_1774:
	s_delay_alu instid0(SALU_CYCLE_1)
	s_and_not1_b32 vcc_lo, exec_lo, s1
	s_cbranch_vccnz .LBB166_1776
; %bb.1775:
	global_load_u8 v0, v[2:3], off
	s_waitcnt vmcnt(0)
	v_lshlrev_b32_e32 v1, 25, v0
	v_lshlrev_b16 v0, 8, v0
	s_delay_alu instid0(VALU_DEP_2) | instskip(NEXT) | instid1(VALU_DEP_2)
	v_lshrrev_b32_e32 v10, 4, v1
	v_and_or_b32 v11, 0x7f00, v0, 0.5
	v_bfe_i32 v0, v0, 0, 16
	s_delay_alu instid0(VALU_DEP_3) | instskip(NEXT) | instid1(VALU_DEP_1)
	v_or_b32_e32 v10, 0x70000000, v10
	v_dual_add_f32 v11, -0.5, v11 :: v_dual_mul_f32 v10, 0x7800000, v10
	v_cmp_gt_u32_e32 vcc_lo, 0x8000000, v1
	s_delay_alu instid0(VALU_DEP_2) | instskip(NEXT) | instid1(VALU_DEP_1)
	v_cndmask_b32_e32 v1, v10, v11, vcc_lo
	v_and_or_b32 v0, 0x80000000, v0, v1
	s_delay_alu instid0(VALU_DEP_1) | instskip(NEXT) | instid1(VALU_DEP_1)
	v_trunc_f32_e32 v0, v0
	v_mul_f32_e64 v1, 0x2f800000, |v0|
	s_delay_alu instid0(VALU_DEP_1) | instskip(NEXT) | instid1(VALU_DEP_1)
	v_floor_f32_e32 v1, v1
	v_fma_f32 v1, 0xcf800000, v1, |v0|
	v_ashrrev_i32_e32 v0, 31, v0
	s_delay_alu instid0(VALU_DEP_2) | instskip(NEXT) | instid1(VALU_DEP_1)
	v_cvt_u32_f32_e32 v1, v1
	v_xor_b32_e32 v1, v1, v0
	s_delay_alu instid0(VALU_DEP_1)
	v_sub_nc_u32_e32 v0, v1, v0
.LBB166_1776:
	s_mov_b32 s1, 0
	s_mov_b32 s14, -1
.LBB166_1777:
	s_and_not1_b32 vcc_lo, exec_lo, s1
	s_mov_b32 s1, 0
	s_cbranch_vccnz .LBB166_1788
; %bb.1778:
	v_cmp_lt_i16_e32 vcc_lo, 14, v9
	s_cbranch_vccz .LBB166_1781
; %bb.1779:
	v_cmp_eq_u16_e32 vcc_lo, 15, v9
	s_cbranch_vccz .LBB166_1784
; %bb.1780:
	global_load_u16 v0, v[2:3], off
	s_mov_b32 s0, 0
	s_mov_b32 s14, -1
	s_waitcnt vmcnt(0)
	v_lshlrev_b32_e32 v0, 16, v0
	s_delay_alu instid0(VALU_DEP_1) | instskip(NEXT) | instid1(VALU_DEP_1)
	v_trunc_f32_e32 v0, v0
	v_mul_f32_e64 v1, 0x2f800000, |v0|
	s_delay_alu instid0(VALU_DEP_1) | instskip(NEXT) | instid1(VALU_DEP_1)
	v_floor_f32_e32 v1, v1
	v_fma_f32 v1, 0xcf800000, v1, |v0|
	v_ashrrev_i32_e32 v0, 31, v0
	s_delay_alu instid0(VALU_DEP_2) | instskip(NEXT) | instid1(VALU_DEP_1)
	v_cvt_u32_f32_e32 v1, v1
	v_xor_b32_e32 v1, v1, v0
	s_delay_alu instid0(VALU_DEP_1)
	v_sub_nc_u32_e32 v0, v1, v0
	s_branch .LBB166_1786
.LBB166_1781:
	s_mov_b32 s1, -1
	s_branch .LBB166_1785
.LBB166_1782:
	s_or_saveexec_b32 s1, s1
	v_mov_b32_e32 v0, s17
	s_xor_b32 exec_lo, exec_lo, s1
	s_cbranch_execz .LBB166_1763
.LBB166_1783:
	v_cmp_ne_u16_e32 vcc_lo, 0, v1
	v_mov_b32_e32 v0, 0
	s_and_not1_b32 s14, s14, exec_lo
	s_and_b32 s17, vcc_lo, exec_lo
	s_delay_alu instid0(SALU_CYCLE_1)
	s_or_b32 s14, s14, s17
	s_or_b32 exec_lo, exec_lo, s1
	s_and_saveexec_b32 s1, s14
	s_cbranch_execnz .LBB166_1764
	s_branch .LBB166_1765
.LBB166_1784:
	s_mov_b32 s0, -1
.LBB166_1785:
                                        ; implicit-def: $vgpr0
.LBB166_1786:
	s_and_b32 vcc_lo, exec_lo, s1
	s_mov_b32 s1, 0
	s_cbranch_vccz .LBB166_1788
; %bb.1787:
	v_cmp_ne_u16_e64 s0, 11, v9
	s_mov_b32 s1, -1
                                        ; implicit-def: $vgpr0
.LBB166_1788:
	s_delay_alu instid0(VALU_DEP_1)
	s_and_b32 vcc_lo, exec_lo, s0
	s_cbranch_vccnz .LBB166_1812
; %bb.1789:
	s_and_not1_b32 vcc_lo, exec_lo, s1
	s_cbranch_vccnz .LBB166_1791
.LBB166_1790:
	global_load_u8 v0, v[2:3], off
	s_mov_b32 s14, -1
	s_waitcnt vmcnt(0)
	v_cmp_ne_u16_e32 vcc_lo, 0, v0
	v_cndmask_b32_e64 v0, 0, 1, vcc_lo
.LBB166_1791:
.LBB166_1792:
	s_and_not1_b32 vcc_lo, exec_lo, s14
	s_cbranch_vccnz .LBB166_3021
.LBB166_1793:
	s_lshl_b32 s1, s9, 7
	v_cmp_gt_i16_e32 vcc_lo, 11, v6
	v_add_nc_u32_e32 v11, s1, v4
	s_and_b32 vcc_lo, exec_lo, vcc_lo
	s_delay_alu instid0(VALU_DEP_1) | instskip(SKIP_2) | instid1(VALU_DEP_1)
	v_ashrrev_i32_e32 v2, 31, v11
	s_waitcnt vmcnt(0)
	v_add_co_u32 v1, s0, s6, v11
	v_add_co_ci_u32_e64 v2, s0, s7, v2, s0
	s_cbranch_vccnz .LBB166_1800
; %bb.1794:
	v_cmp_lt_i16_e32 vcc_lo, 25, v6
	s_mov_b32 s9, 0
	s_cbranch_vccz .LBB166_1806
; %bb.1795:
	v_cmp_lt_i16_e32 vcc_lo, 28, v6
	s_cbranch_vccz .LBB166_1808
; %bb.1796:
	v_cmp_lt_i16_e32 vcc_lo, 43, v6
	;; [unrolled: 3-line block ×3, first 2 shown]
	s_cbranch_vccz .LBB166_1816
; %bb.1798:
	v_cmp_eq_u16_e32 vcc_lo, 46, v6
	s_mov_b32 s17, 0
	s_cbranch_vccz .LBB166_1859
; %bb.1799:
	global_load_b32 v3, v[1:2], off
	s_mov_b32 s0, 0
	s_mov_b32 s14, -1
	s_waitcnt vmcnt(0)
	v_lshlrev_b32_e32 v3, 16, v3
	s_delay_alu instid0(VALU_DEP_1)
	v_cvt_f16_f32_e32 v10, v3
	s_branch .LBB166_1861
.LBB166_1800:
	s_mov_b32 s14, 0
                                        ; implicit-def: $vgpr10
	s_cbranch_execz .LBB166_1927
; %bb.1801:
	v_cmp_gt_i16_e32 vcc_lo, 5, v6
	s_cbranch_vccnz .LBB166_1807
; %bb.1802:
	v_cmp_gt_i16_e32 vcc_lo, 8, v6
	s_cbranch_vccnz .LBB166_1809
	;; [unrolled: 3-line block ×3, first 2 shown]
; %bb.1804:
	v_cmp_lt_i16_e32 vcc_lo, 9, v6
	s_cbranch_vccz .LBB166_1817
; %bb.1805:
	global_load_b64 v[3:4], v[1:2], off
	s_mov_b32 s0, 0
	s_waitcnt vmcnt(0)
	v_cvt_f32_f64_e32 v3, v[3:4]
	s_delay_alu instid0(VALU_DEP_1)
	v_cvt_f16_f32_e32 v10, v3
	s_branch .LBB166_1818
.LBB166_1806:
	s_mov_b32 s17, -1
	s_mov_b32 s14, 0
	s_mov_b32 s0, 0
                                        ; implicit-def: $vgpr10
	s_branch .LBB166_1890
.LBB166_1807:
	s_mov_b32 s0, -1
                                        ; implicit-def: $vgpr10
	s_branch .LBB166_1836
.LBB166_1808:
	s_mov_b32 s17, -1
	s_mov_b32 s14, 0
	s_mov_b32 s0, 0
                                        ; implicit-def: $vgpr10
	s_branch .LBB166_1871
.LBB166_1809:
	s_mov_b32 s0, -1
                                        ; implicit-def: $vgpr10
	s_branch .LBB166_1824
.LBB166_1810:
	s_mov_b32 s17, -1
	s_mov_b32 s14, 0
	s_mov_b32 s0, 0
                                        ; implicit-def: $vgpr10
	s_branch .LBB166_1866
.LBB166_1811:
	s_mov_b32 s0, -1
                                        ; implicit-def: $vgpr10
	s_branch .LBB166_1821
.LBB166_1812:
	s_cbranch_execnz .LBB166_1857
; %bb.1813:
	s_or_b32 s13, s13, exec_lo
                                        ; implicit-def: $vgpr0
	s_cbranch_execz .LBB166_1790
	s_branch .LBB166_1791
.LBB166_1814:
	s_or_saveexec_b32 s22, s22
                                        ; implicit-def: $sgpr23
	s_delay_alu instid0(SALU_CYCLE_1)
	s_xor_b32 exec_lo, exec_lo, s22
	s_cbranch_execz .LBB166_1459
.LBB166_1815:
	v_add_f32_e64 v4, 0x42800000, |v2|
	s_and_not1_b32 s21, s21, exec_lo
	s_mov_b32 s23, 0
	s_delay_alu instid0(VALU_DEP_1) | instskip(NEXT) | instid1(VALU_DEP_1)
	v_and_b32_e32 v4, 0xff, v4
	v_cmp_ne_u32_e32 vcc_lo, 0, v4
	s_and_b32 s24, vcc_lo, exec_lo
	s_delay_alu instid0(SALU_CYCLE_1)
	s_or_b32 s21, s21, s24
	s_or_b32 exec_lo, exec_lo, s22
	v_mov_b32_e32 v6, s23
	s_and_saveexec_b32 s22, s21
	s_cbranch_execnz .LBB166_1460
	s_branch .LBB166_1461
.LBB166_1816:
	s_mov_b32 s17, -1
	s_mov_b32 s14, 0
	s_mov_b32 s0, 0
	s_branch .LBB166_1860
.LBB166_1817:
	s_mov_b32 s0, -1
                                        ; implicit-def: $vgpr10
.LBB166_1818:
	s_delay_alu instid0(SALU_CYCLE_1)
	s_and_not1_b32 vcc_lo, exec_lo, s0
	s_cbranch_vccnz .LBB166_1820
; %bb.1819:
	global_load_b32 v3, v[1:2], off
	s_waitcnt vmcnt(0)
	v_cvt_f16_f32_e32 v10, v3
.LBB166_1820:
	s_mov_b32 s0, 0
.LBB166_1821:
	s_delay_alu instid0(SALU_CYCLE_1)
	s_and_not1_b32 vcc_lo, exec_lo, s0
	s_cbranch_vccnz .LBB166_1823
; %bb.1822:
	global_load_b32 v10, v[1:2], off
.LBB166_1823:
	s_mov_b32 s0, 0
.LBB166_1824:
	s_delay_alu instid0(SALU_CYCLE_1)
	s_and_not1_b32 vcc_lo, exec_lo, s0
	s_cbranch_vccnz .LBB166_1835
; %bb.1825:
	v_cmp_gt_i16_e32 vcc_lo, 6, v6
	s_cbranch_vccnz .LBB166_1828
; %bb.1826:
	v_cmp_lt_i16_e32 vcc_lo, 6, v6
	s_cbranch_vccz .LBB166_1829
; %bb.1827:
	global_load_b64 v[3:4], v[1:2], off
	s_mov_b32 s0, 0
	s_waitcnt vmcnt(0)
	v_cvt_f32_f64_e32 v3, v[3:4]
	s_delay_alu instid0(VALU_DEP_1)
	v_cvt_f16_f32_e32 v10, v3
	s_branch .LBB166_1830
.LBB166_1828:
	s_mov_b32 s0, -1
                                        ; implicit-def: $vgpr10
	s_branch .LBB166_1833
.LBB166_1829:
	s_mov_b32 s0, -1
                                        ; implicit-def: $vgpr10
.LBB166_1830:
	s_delay_alu instid0(SALU_CYCLE_1)
	s_and_not1_b32 vcc_lo, exec_lo, s0
	s_cbranch_vccnz .LBB166_1832
; %bb.1831:
	global_load_b32 v3, v[1:2], off
	s_waitcnt vmcnt(0)
	v_cvt_f16_f32_e32 v10, v3
.LBB166_1832:
	s_mov_b32 s0, 0
.LBB166_1833:
	s_delay_alu instid0(SALU_CYCLE_1)
	s_and_not1_b32 vcc_lo, exec_lo, s0
	s_cbranch_vccnz .LBB166_1835
; %bb.1834:
	global_load_u16 v10, v[1:2], off
.LBB166_1835:
	s_mov_b32 s0, 0
.LBB166_1836:
	s_delay_alu instid0(SALU_CYCLE_1)
	s_and_not1_b32 vcc_lo, exec_lo, s0
	s_cbranch_vccnz .LBB166_1856
; %bb.1837:
	v_cmp_gt_i16_e32 vcc_lo, 2, v6
	s_cbranch_vccnz .LBB166_1841
; %bb.1838:
	v_cmp_gt_i16_e32 vcc_lo, 3, v6
	s_cbranch_vccnz .LBB166_1842
; %bb.1839:
	v_cmp_lt_i16_e32 vcc_lo, 3, v6
	s_cbranch_vccz .LBB166_1843
; %bb.1840:
	global_load_b64 v[3:4], v[1:2], off
	s_mov_b32 s0, 0
	s_waitcnt vmcnt(0)
	v_xor_b32_e32 v10, v3, v4
	v_cls_i32_e32 v12, v4
	s_delay_alu instid0(VALU_DEP_2) | instskip(NEXT) | instid1(VALU_DEP_2)
	v_ashrrev_i32_e32 v10, 31, v10
	v_add_nc_u32_e32 v12, -1, v12
	s_delay_alu instid0(VALU_DEP_2) | instskip(NEXT) | instid1(VALU_DEP_1)
	v_add_nc_u32_e32 v10, 32, v10
	v_min_u32_e32 v10, v12, v10
	s_delay_alu instid0(VALU_DEP_1) | instskip(NEXT) | instid1(VALU_DEP_1)
	v_lshlrev_b64 v[3:4], v10, v[3:4]
	v_min_u32_e32 v3, 1, v3
	s_delay_alu instid0(VALU_DEP_1) | instskip(SKIP_1) | instid1(VALU_DEP_2)
	v_or_b32_e32 v3, v4, v3
	v_sub_nc_u32_e32 v4, 32, v10
	v_cvt_f32_i32_e32 v3, v3
	s_delay_alu instid0(VALU_DEP_1) | instskip(NEXT) | instid1(VALU_DEP_1)
	v_ldexp_f32 v3, v3, v4
	v_cvt_f16_f32_e32 v10, v3
	s_branch .LBB166_1844
.LBB166_1841:
	s_mov_b32 s0, -1
                                        ; implicit-def: $vgpr10
	s_branch .LBB166_1850
.LBB166_1842:
	s_mov_b32 s0, -1
                                        ; implicit-def: $vgpr10
	s_branch .LBB166_1847
.LBB166_1843:
	s_mov_b32 s0, -1
                                        ; implicit-def: $vgpr10
.LBB166_1844:
	s_delay_alu instid0(SALU_CYCLE_1)
	s_and_not1_b32 vcc_lo, exec_lo, s0
	s_cbranch_vccnz .LBB166_1846
; %bb.1845:
	global_load_b32 v3, v[1:2], off
	s_waitcnt vmcnt(0)
	v_cvt_f32_i32_e32 v3, v3
	s_delay_alu instid0(VALU_DEP_1)
	v_cvt_f16_f32_e32 v10, v3
.LBB166_1846:
	s_mov_b32 s0, 0
.LBB166_1847:
	s_delay_alu instid0(SALU_CYCLE_1)
	s_and_not1_b32 vcc_lo, exec_lo, s0
	s_cbranch_vccnz .LBB166_1849
; %bb.1848:
	global_load_u16 v3, v[1:2], off
	s_waitcnt vmcnt(0)
	v_cvt_f16_i16_e32 v10, v3
.LBB166_1849:
	s_mov_b32 s0, 0
.LBB166_1850:
	s_delay_alu instid0(SALU_CYCLE_1)
	s_and_not1_b32 vcc_lo, exec_lo, s0
	s_cbranch_vccnz .LBB166_1856
; %bb.1851:
	v_cmp_lt_i16_e32 vcc_lo, 0, v6
	s_mov_b32 s0, 0
	s_cbranch_vccz .LBB166_1853
; %bb.1852:
	global_load_i8 v3, v[1:2], off
	s_waitcnt vmcnt(0)
	v_cvt_f16_i16_e32 v10, v3
	s_branch .LBB166_1854
.LBB166_1853:
	s_mov_b32 s0, -1
                                        ; implicit-def: $vgpr10
.LBB166_1854:
	s_delay_alu instid0(SALU_CYCLE_1)
	s_and_not1_b32 vcc_lo, exec_lo, s0
	s_cbranch_vccnz .LBB166_1856
; %bb.1855:
	global_load_u8 v1, v[1:2], off
	s_waitcnt vmcnt(0)
	v_cvt_f16_u16_e32 v10, v1
.LBB166_1856:
	s_branch .LBB166_1928
.LBB166_1857:
	s_trap 2
	s_sendmsg_rtn_b32 s0, sendmsg(MSG_RTN_GET_DOORBELL)
	s_mov_b32 ttmp2, m0
	s_waitcnt lgkmcnt(0)
	s_and_b32 s0, s0, 0x3ff
	s_delay_alu instid0(SALU_CYCLE_1) | instskip(NEXT) | instid1(SALU_CYCLE_1)
	s_bitset1_b32 s0, 10
	s_mov_b32 m0, s0
	s_sendmsg sendmsg(MSG_INTERRUPT)
	s_mov_b32 m0, ttmp2
.LBB166_1858:                           ; =>This Inner Loop Header: Depth=1
	s_sethalt 5
	s_branch .LBB166_1858
.LBB166_1859:
	s_mov_b32 s0, -1
	s_mov_b32 s14, 0
.LBB166_1860:
                                        ; implicit-def: $vgpr10
.LBB166_1861:
	s_and_b32 vcc_lo, exec_lo, s17
	s_cbranch_vccz .LBB166_1865
; %bb.1862:
	v_cmp_eq_u16_e32 vcc_lo, 44, v6
	s_cbranch_vccz .LBB166_1864
; %bb.1863:
	global_load_u8 v3, v[1:2], off
	s_mov_b32 s0, 0
	s_mov_b32 s14, -1
	s_waitcnt vmcnt(0)
	v_lshlrev_b32_e32 v4, 23, v3
	v_cmp_ne_u32_e32 vcc_lo, 0xff, v3
	s_delay_alu instid0(VALU_DEP_2) | instskip(NEXT) | instid1(VALU_DEP_1)
	v_cvt_f16_f32_e32 v4, v4
	v_cndmask_b32_e32 v4, 0x7e00, v4, vcc_lo
	v_cmp_ne_u32_e32 vcc_lo, 0, v3
	s_delay_alu instid0(VALU_DEP_2)
	v_cndmask_b32_e32 v10, 0, v4, vcc_lo
	s_branch .LBB166_1865
.LBB166_1864:
	s_mov_b32 s0, -1
                                        ; implicit-def: $vgpr10
.LBB166_1865:
	s_mov_b32 s17, 0
.LBB166_1866:
	s_delay_alu instid0(SALU_CYCLE_1)
	s_and_b32 vcc_lo, exec_lo, s17
	s_cbranch_vccz .LBB166_1870
; %bb.1867:
	v_cmp_eq_u16_e32 vcc_lo, 29, v6
	s_cbranch_vccz .LBB166_1869
; %bb.1868:
	global_load_b64 v[3:4], v[1:2], off
	s_mov_b32 s0, 0
	s_mov_b32 s14, -1
	s_mov_b32 s17, 0
	s_waitcnt vmcnt(0)
	v_clz_i32_u32_e32 v10, v4
	s_delay_alu instid0(VALU_DEP_1) | instskip(NEXT) | instid1(VALU_DEP_1)
	v_min_u32_e32 v10, 32, v10
	v_lshlrev_b64 v[3:4], v10, v[3:4]
	s_delay_alu instid0(VALU_DEP_1) | instskip(NEXT) | instid1(VALU_DEP_1)
	v_min_u32_e32 v3, 1, v3
	v_or_b32_e32 v3, v4, v3
	v_sub_nc_u32_e32 v4, 32, v10
	s_delay_alu instid0(VALU_DEP_2) | instskip(NEXT) | instid1(VALU_DEP_1)
	v_cvt_f32_u32_e32 v3, v3
	v_ldexp_f32 v3, v3, v4
	s_delay_alu instid0(VALU_DEP_1)
	v_cvt_f16_f32_e32 v10, v3
	s_branch .LBB166_1871
.LBB166_1869:
	s_mov_b32 s0, -1
                                        ; implicit-def: $vgpr10
.LBB166_1870:
	s_mov_b32 s17, 0
.LBB166_1871:
	s_delay_alu instid0(SALU_CYCLE_1)
	s_and_b32 vcc_lo, exec_lo, s17
	s_cbranch_vccz .LBB166_1889
; %bb.1872:
	v_cmp_gt_i16_e32 vcc_lo, 27, v6
	s_cbranch_vccnz .LBB166_1875
; %bb.1873:
	v_cmp_lt_i16_e32 vcc_lo, 27, v6
	s_cbranch_vccz .LBB166_1876
; %bb.1874:
	global_load_b32 v3, v[1:2], off
	s_mov_b32 s14, 0
	s_waitcnt vmcnt(0)
	v_cvt_f32_u32_e32 v3, v3
	s_delay_alu instid0(VALU_DEP_1)
	v_cvt_f16_f32_e32 v10, v3
	s_branch .LBB166_1877
.LBB166_1875:
	s_mov_b32 s14, -1
                                        ; implicit-def: $vgpr10
	s_branch .LBB166_1880
.LBB166_1876:
	s_mov_b32 s14, -1
                                        ; implicit-def: $vgpr10
.LBB166_1877:
	s_delay_alu instid0(SALU_CYCLE_1)
	s_and_not1_b32 vcc_lo, exec_lo, s14
	s_cbranch_vccnz .LBB166_1879
; %bb.1878:
	global_load_u16 v3, v[1:2], off
	s_waitcnt vmcnt(0)
	v_cvt_f16_u16_e32 v10, v3
.LBB166_1879:
	s_mov_b32 s14, 0
.LBB166_1880:
	s_delay_alu instid0(SALU_CYCLE_1)
	s_and_not1_b32 vcc_lo, exec_lo, s14
	s_cbranch_vccnz .LBB166_1888
; %bb.1881:
	global_load_u8 v3, v[1:2], off
	s_mov_b32 s14, 0
	s_mov_b32 s18, exec_lo
                                        ; implicit-def: $sgpr17
	s_waitcnt vmcnt(0)
	v_cmpx_lt_i16_e32 0x7f, v3
	s_xor_b32 s18, exec_lo, s18
	s_cbranch_execz .LBB166_1902
; %bb.1882:
	s_mov_b32 s14, -1
	s_mov_b32 s19, exec_lo
                                        ; implicit-def: $sgpr17
	v_cmpx_eq_u16_e32 0x80, v3
; %bb.1883:
	s_movk_i32 s17, 0x7e00
	s_xor_b32 s14, exec_lo, -1
; %bb.1884:
	s_or_b32 exec_lo, exec_lo, s19
	s_delay_alu instid0(SALU_CYCLE_1)
	s_and_b32 s14, s14, exec_lo
	s_or_saveexec_b32 s18, s18
	v_mov_b32_e32 v10, s17
	s_xor_b32 exec_lo, exec_lo, s18
	s_cbranch_execnz .LBB166_1903
.LBB166_1885:
	s_or_b32 exec_lo, exec_lo, s18
	s_and_saveexec_b32 s17, s14
	s_cbranch_execz .LBB166_1887
.LBB166_1886:
	v_and_b32_e32 v4, 0xffff, v3
	s_delay_alu instid0(VALU_DEP_1) | instskip(NEXT) | instid1(VALU_DEP_1)
	v_and_b32_e32 v10, 7, v4
	v_clz_i32_u32_e32 v12, v10
	s_delay_alu instid0(VALU_DEP_1) | instskip(NEXT) | instid1(VALU_DEP_1)
	v_min_u32_e32 v12, 32, v12
	v_subrev_nc_u32_e32 v13, 28, v12
	v_sub_nc_u32_e32 v12, 29, v12
	s_delay_alu instid0(VALU_DEP_2) | instskip(SKIP_1) | instid1(VALU_DEP_1)
	v_lshlrev_b32_e32 v13, v13, v4
	v_bfe_u32 v4, v4, 3, 4
	v_cmp_eq_u32_e32 vcc_lo, 0, v4
	s_delay_alu instid0(VALU_DEP_3) | instskip(NEXT) | instid1(VALU_DEP_1)
	v_dual_cndmask_b32 v4, v4, v12 :: v_dual_and_b32 v13, 7, v13
	v_dual_cndmask_b32 v10, v10, v13 :: v_dual_lshlrev_b32 v3, 24, v3
	s_delay_alu instid0(VALU_DEP_2) | instskip(NEXT) | instid1(VALU_DEP_2)
	v_lshl_add_u32 v4, v4, 23, 0x3b800000
	v_and_b32_e32 v3, 0x80000000, v3
	s_delay_alu instid0(VALU_DEP_3) | instskip(NEXT) | instid1(VALU_DEP_1)
	v_lshlrev_b32_e32 v10, 20, v10
	v_or3_b32 v3, v3, v4, v10
	s_delay_alu instid0(VALU_DEP_1)
	v_cvt_f16_f32_e32 v10, v3
.LBB166_1887:
	s_or_b32 exec_lo, exec_lo, s17
.LBB166_1888:
	s_mov_b32 s14, -1
.LBB166_1889:
	s_mov_b32 s17, 0
.LBB166_1890:
	s_delay_alu instid0(SALU_CYCLE_1)
	s_and_b32 vcc_lo, exec_lo, s17
	s_cbranch_vccz .LBB166_1923
; %bb.1891:
	v_cmp_lt_i16_e32 vcc_lo, 22, v6
	s_cbranch_vccz .LBB166_1901
; %bb.1892:
	v_cmp_gt_i16_e32 vcc_lo, 24, v6
	s_cbranch_vccnz .LBB166_1904
; %bb.1893:
	v_cmp_lt_i16_e32 vcc_lo, 24, v6
	s_cbranch_vccz .LBB166_1905
; %bb.1894:
	global_load_u8 v3, v[1:2], off
	s_mov_b32 s17, exec_lo
                                        ; implicit-def: $sgpr14
	s_waitcnt vmcnt(0)
	v_cmpx_lt_i16_e32 0x7f, v3
	s_xor_b32 s17, exec_lo, s17
	s_cbranch_execz .LBB166_1917
; %bb.1895:
	s_mov_b32 s9, -1
	s_mov_b32 s18, exec_lo
                                        ; implicit-def: $sgpr14
	v_cmpx_eq_u16_e32 0x80, v3
; %bb.1896:
	s_movk_i32 s14, 0x7e00
	s_xor_b32 s9, exec_lo, -1
; %bb.1897:
	s_or_b32 exec_lo, exec_lo, s18
	s_delay_alu instid0(SALU_CYCLE_1)
	s_and_b32 s9, s9, exec_lo
	s_or_saveexec_b32 s17, s17
	v_mov_b32_e32 v10, s14
	s_xor_b32 exec_lo, exec_lo, s17
	s_cbranch_execnz .LBB166_1918
.LBB166_1898:
	s_or_b32 exec_lo, exec_lo, s17
	s_and_saveexec_b32 s14, s9
	s_cbranch_execz .LBB166_1900
.LBB166_1899:
	v_and_b32_e32 v4, 0xffff, v3
	s_delay_alu instid0(VALU_DEP_1) | instskip(NEXT) | instid1(VALU_DEP_1)
	v_and_b32_e32 v10, 3, v4
	v_clz_i32_u32_e32 v12, v10
	s_delay_alu instid0(VALU_DEP_1) | instskip(NEXT) | instid1(VALU_DEP_1)
	v_min_u32_e32 v12, 32, v12
	v_subrev_nc_u32_e32 v13, 29, v12
	v_sub_nc_u32_e32 v12, 30, v12
	s_delay_alu instid0(VALU_DEP_2) | instskip(SKIP_1) | instid1(VALU_DEP_1)
	v_lshlrev_b32_e32 v13, v13, v4
	v_bfe_u32 v4, v4, 2, 5
	v_cmp_eq_u32_e32 vcc_lo, 0, v4
	s_delay_alu instid0(VALU_DEP_3) | instskip(NEXT) | instid1(VALU_DEP_1)
	v_dual_cndmask_b32 v4, v4, v12 :: v_dual_and_b32 v13, 3, v13
	v_dual_cndmask_b32 v10, v10, v13 :: v_dual_lshlrev_b32 v3, 24, v3
	s_delay_alu instid0(VALU_DEP_2) | instskip(NEXT) | instid1(VALU_DEP_2)
	v_lshl_add_u32 v4, v4, 23, 0x37800000
	v_and_b32_e32 v3, 0x80000000, v3
	s_delay_alu instid0(VALU_DEP_3) | instskip(NEXT) | instid1(VALU_DEP_1)
	v_lshlrev_b32_e32 v10, 21, v10
	v_or3_b32 v3, v3, v4, v10
	s_delay_alu instid0(VALU_DEP_1)
	v_cvt_f16_f32_e32 v10, v3
.LBB166_1900:
	s_or_b32 exec_lo, exec_lo, s14
	s_mov_b32 s9, 0
	s_branch .LBB166_1906
.LBB166_1901:
	s_mov_b32 s9, -1
                                        ; implicit-def: $vgpr10
	s_branch .LBB166_1912
.LBB166_1902:
	s_or_saveexec_b32 s18, s18
	v_mov_b32_e32 v10, s17
	s_xor_b32 exec_lo, exec_lo, s18
	s_cbranch_execz .LBB166_1885
.LBB166_1903:
	v_cmp_ne_u16_e32 vcc_lo, 0, v3
	v_mov_b32_e32 v10, v3
	s_and_not1_b32 s14, s14, exec_lo
	s_and_b32 s17, vcc_lo, exec_lo
	s_delay_alu instid0(SALU_CYCLE_1)
	s_or_b32 s14, s14, s17
	s_or_b32 exec_lo, exec_lo, s18
	s_and_saveexec_b32 s17, s14
	s_cbranch_execnz .LBB166_1886
	s_branch .LBB166_1887
.LBB166_1904:
	s_mov_b32 s9, -1
                                        ; implicit-def: $vgpr10
	s_branch .LBB166_1909
.LBB166_1905:
	s_mov_b32 s9, -1
                                        ; implicit-def: $vgpr10
.LBB166_1906:
	s_delay_alu instid0(SALU_CYCLE_1)
	s_and_b32 vcc_lo, exec_lo, s9
	s_cbranch_vccz .LBB166_1908
; %bb.1907:
	global_load_u8 v3, v[1:2], off
	s_waitcnt vmcnt(0)
	v_lshlrev_b32_e32 v3, 24, v3
	s_delay_alu instid0(VALU_DEP_1) | instskip(NEXT) | instid1(VALU_DEP_1)
	v_and_b32_e32 v4, 0x7f000000, v3
	v_clz_i32_u32_e32 v10, v4
	v_add_nc_u32_e32 v13, 0x1000000, v4
	v_cmp_ne_u32_e32 vcc_lo, 0, v4
	s_delay_alu instid0(VALU_DEP_3) | instskip(NEXT) | instid1(VALU_DEP_1)
	v_min_u32_e32 v10, 32, v10
	v_sub_nc_u32_e64 v10, v10, 4 clamp
	s_delay_alu instid0(VALU_DEP_1) | instskip(SKIP_1) | instid1(VALU_DEP_2)
	v_lshlrev_b32_e32 v12, v10, v4
	v_lshlrev_b32_e32 v10, 23, v10
	v_lshrrev_b32_e32 v12, 4, v12
	s_delay_alu instid0(VALU_DEP_1) | instskip(SKIP_1) | instid1(VALU_DEP_2)
	v_sub_nc_u32_e32 v10, v12, v10
	v_ashrrev_i32_e32 v12, 8, v13
	v_add_nc_u32_e32 v10, 0x3c000000, v10
	s_delay_alu instid0(VALU_DEP_1) | instskip(NEXT) | instid1(VALU_DEP_1)
	v_and_or_b32 v10, 0x7f800000, v12, v10
	v_cndmask_b32_e32 v4, 0, v10, vcc_lo
	s_delay_alu instid0(VALU_DEP_1) | instskip(NEXT) | instid1(VALU_DEP_1)
	v_and_or_b32 v3, 0x80000000, v3, v4
	v_cvt_f16_f32_e32 v10, v3
.LBB166_1908:
	s_mov_b32 s9, 0
.LBB166_1909:
	s_delay_alu instid0(SALU_CYCLE_1)
	s_and_not1_b32 vcc_lo, exec_lo, s9
	s_cbranch_vccnz .LBB166_1911
; %bb.1910:
	global_load_u8 v3, v[1:2], off
	s_waitcnt vmcnt(0)
	v_lshlrev_b32_e32 v4, 25, v3
	v_lshlrev_b16 v3, 8, v3
	s_delay_alu instid0(VALU_DEP_2) | instskip(NEXT) | instid1(VALU_DEP_2)
	v_lshrrev_b32_e32 v10, 4, v4
	v_and_or_b32 v12, 0x7f00, v3, 0.5
	v_cmp_gt_u32_e32 vcc_lo, 0x8000000, v4
	v_bfe_i32 v3, v3, 0, 16
	s_delay_alu instid0(VALU_DEP_4) | instskip(NEXT) | instid1(VALU_DEP_4)
	v_or_b32_e32 v10, 0x70000000, v10
	v_add_f32_e32 v12, -0.5, v12
	s_delay_alu instid0(VALU_DEP_2) | instskip(NEXT) | instid1(VALU_DEP_1)
	v_mul_f32_e32 v10, 0x7800000, v10
	v_cndmask_b32_e32 v4, v10, v12, vcc_lo
	s_delay_alu instid0(VALU_DEP_1) | instskip(NEXT) | instid1(VALU_DEP_1)
	v_and_or_b32 v3, 0x80000000, v3, v4
	v_cvt_f16_f32_e32 v10, v3
.LBB166_1911:
	s_mov_b32 s9, 0
	s_mov_b32 s14, -1
.LBB166_1912:
	s_and_not1_b32 vcc_lo, exec_lo, s9
	s_mov_b32 s9, 0
	s_cbranch_vccnz .LBB166_1923
; %bb.1913:
	v_cmp_lt_i16_e32 vcc_lo, 14, v6
	s_cbranch_vccz .LBB166_1916
; %bb.1914:
	v_cmp_eq_u16_e32 vcc_lo, 15, v6
	s_cbranch_vccz .LBB166_1919
; %bb.1915:
	global_load_u16 v3, v[1:2], off
	s_mov_b32 s0, 0
	s_mov_b32 s14, -1
	s_waitcnt vmcnt(0)
	v_lshlrev_b32_e32 v3, 16, v3
	s_delay_alu instid0(VALU_DEP_1)
	v_cvt_f16_f32_e32 v10, v3
	s_branch .LBB166_1921
.LBB166_1916:
	s_mov_b32 s9, -1
	s_branch .LBB166_1920
.LBB166_1917:
	s_or_saveexec_b32 s17, s17
	v_mov_b32_e32 v10, s14
	s_xor_b32 exec_lo, exec_lo, s17
	s_cbranch_execz .LBB166_1898
.LBB166_1918:
	v_cmp_ne_u16_e32 vcc_lo, 0, v3
	v_mov_b32_e32 v10, v3
	s_and_not1_b32 s9, s9, exec_lo
	s_and_b32 s14, vcc_lo, exec_lo
	s_delay_alu instid0(SALU_CYCLE_1)
	s_or_b32 s9, s9, s14
	s_or_b32 exec_lo, exec_lo, s17
	s_and_saveexec_b32 s14, s9
	s_cbranch_execnz .LBB166_1899
	s_branch .LBB166_1900
.LBB166_1919:
	s_mov_b32 s0, -1
.LBB166_1920:
                                        ; implicit-def: $vgpr10
.LBB166_1921:
	s_and_b32 vcc_lo, exec_lo, s9
	s_mov_b32 s9, 0
	s_cbranch_vccz .LBB166_1923
; %bb.1922:
	v_cmp_ne_u16_e64 s0, 11, v6
	s_mov_b32 s9, -1
                                        ; implicit-def: $vgpr10
.LBB166_1923:
	s_delay_alu instid0(VALU_DEP_1)
	s_and_b32 vcc_lo, exec_lo, s0
	s_cbranch_vccnz .LBB166_1939
; %bb.1924:
	s_and_not1_b32 vcc_lo, exec_lo, s9
	s_cbranch_vccnz .LBB166_1926
.LBB166_1925:
	global_load_u8 v3, v[1:2], off
	s_mov_b32 s14, -1
	s_waitcnt vmcnt(0)
	v_cmp_ne_u16_e32 vcc_lo, 0, v3
	v_cndmask_b32_e64 v10, 0, 0x3c00, vcc_lo
.LBB166_1926:
.LBB166_1927:
	s_and_not1_b32 vcc_lo, exec_lo, s14
	s_cbranch_vccnz .LBB166_3021
.LBB166_1928:
	s_lshl_b32 s9, s10, 7
	v_cmp_gt_i16_e32 vcc_lo, 11, v9
	v_add_nc_u32_e32 v5, s9, v5
	s_delay_alu instid0(VALU_DEP_1) | instskip(SKIP_1) | instid1(VALU_DEP_1)
	v_ashrrev_i32_e32 v1, 31, v5
	v_add_co_u32 v3, s0, s2, v5
	v_add_co_ci_u32_e64 v4, s0, s3, v1, s0
	s_cbranch_vccnz .LBB166_1935
; %bb.1929:
	v_cmp_lt_i16_e32 vcc_lo, 25, v9
	s_mov_b32 s10, 0
	s_cbranch_vccz .LBB166_1936
; %bb.1930:
	v_cmp_lt_i16_e32 vcc_lo, 28, v9
	s_cbranch_vccz .LBB166_1937
; %bb.1931:
	v_cmp_lt_i16_e32 vcc_lo, 43, v9
	;; [unrolled: 3-line block ×3, first 2 shown]
	s_cbranch_vccz .LBB166_1941
; %bb.1933:
	v_cmp_eq_u16_e32 vcc_lo, 46, v9
	s_mov_b32 s17, 0
	s_cbranch_vccz .LBB166_1944
; %bb.1934:
	global_load_b32 v1, v[3:4], off
	s_mov_b32 s0, 0
	s_mov_b32 s14, -1
	s_waitcnt vmcnt(0)
	v_lshlrev_b32_e32 v1, 16, v1
	s_delay_alu instid0(VALU_DEP_1) | instskip(NEXT) | instid1(VALU_DEP_1)
	v_trunc_f32_e32 v1, v1
	v_mul_f32_e64 v2, 0x2f800000, |v1|
	s_delay_alu instid0(VALU_DEP_1) | instskip(NEXT) | instid1(VALU_DEP_1)
	v_floor_f32_e32 v2, v2
	v_fma_f32 v2, 0xcf800000, v2, |v1|
	v_ashrrev_i32_e32 v1, 31, v1
	s_delay_alu instid0(VALU_DEP_2) | instskip(NEXT) | instid1(VALU_DEP_1)
	v_cvt_u32_f32_e32 v2, v2
	v_xor_b32_e32 v2, v2, v1
	s_delay_alu instid0(VALU_DEP_1)
	v_sub_nc_u32_e32 v1, v2, v1
	s_branch .LBB166_1946
.LBB166_1935:
	s_mov_b32 s0, -1
	s_mov_b32 s14, 0
                                        ; implicit-def: $vgpr1
	s_branch .LBB166_2008
.LBB166_1936:
	s_mov_b32 s17, -1
	s_mov_b32 s14, 0
	s_mov_b32 s0, 0
                                        ; implicit-def: $vgpr1
	s_branch .LBB166_1973
.LBB166_1937:
	s_mov_b32 s17, -1
	s_mov_b32 s14, 0
	s_mov_b32 s0, 0
                                        ; implicit-def: $vgpr1
	s_branch .LBB166_1956
.LBB166_1938:
	s_mov_b32 s17, -1
	s_mov_b32 s14, 0
	s_mov_b32 s0, 0
                                        ; implicit-def: $vgpr1
	s_branch .LBB166_1951
.LBB166_1939:
	s_cbranch_execnz .LBB166_1942
; %bb.1940:
	s_or_b32 s13, s13, exec_lo
                                        ; implicit-def: $vgpr10
	s_cbranch_execz .LBB166_1925
	s_branch .LBB166_1926
.LBB166_1941:
	s_mov_b32 s17, -1
	s_mov_b32 s14, 0
	s_mov_b32 s0, 0
	s_branch .LBB166_1945
.LBB166_1942:
	s_trap 2
	s_sendmsg_rtn_b32 s0, sendmsg(MSG_RTN_GET_DOORBELL)
	s_mov_b32 ttmp2, m0
	s_waitcnt lgkmcnt(0)
	s_and_b32 s0, s0, 0x3ff
	s_delay_alu instid0(SALU_CYCLE_1) | instskip(NEXT) | instid1(SALU_CYCLE_1)
	s_bitset1_b32 s0, 10
	s_mov_b32 m0, s0
	s_sendmsg sendmsg(MSG_INTERRUPT)
	s_mov_b32 m0, ttmp2
.LBB166_1943:                           ; =>This Inner Loop Header: Depth=1
	s_sethalt 5
	s_branch .LBB166_1943
.LBB166_1944:
	s_mov_b32 s0, -1
	s_mov_b32 s14, 0
.LBB166_1945:
                                        ; implicit-def: $vgpr1
.LBB166_1946:
	s_and_b32 vcc_lo, exec_lo, s17
	s_cbranch_vccz .LBB166_1950
; %bb.1947:
	v_cmp_eq_u16_e32 vcc_lo, 44, v9
	s_cbranch_vccz .LBB166_1949
; %bb.1948:
	global_load_u8 v1, v[3:4], off
	s_mov_b32 s0, 0
	s_mov_b32 s14, -1
	s_waitcnt vmcnt(0)
	v_lshlrev_b32_e32 v2, 23, v1
	v_cmp_ne_u32_e32 vcc_lo, 0, v1
	s_delay_alu instid0(VALU_DEP_2) | instskip(NEXT) | instid1(VALU_DEP_1)
	v_trunc_f32_e32 v2, v2
	v_mul_f32_e64 v12, 0x2f800000, |v2|
	s_delay_alu instid0(VALU_DEP_1) | instskip(NEXT) | instid1(VALU_DEP_1)
	v_floor_f32_e32 v12, v12
	v_fma_f32 v12, 0xcf800000, v12, |v2|
	v_ashrrev_i32_e32 v2, 31, v2
	s_delay_alu instid0(VALU_DEP_2) | instskip(NEXT) | instid1(VALU_DEP_1)
	v_cvt_u32_f32_e32 v12, v12
	v_xor_b32_e32 v12, v12, v2
	s_delay_alu instid0(VALU_DEP_1) | instskip(NEXT) | instid1(VALU_DEP_1)
	v_sub_nc_u32_e32 v2, v12, v2
	v_cndmask_b32_e32 v1, 0, v2, vcc_lo
	s_branch .LBB166_1950
.LBB166_1949:
	s_mov_b32 s0, -1
                                        ; implicit-def: $vgpr1
.LBB166_1950:
	s_mov_b32 s17, 0
.LBB166_1951:
	s_delay_alu instid0(SALU_CYCLE_1)
	s_and_b32 vcc_lo, exec_lo, s17
	s_cbranch_vccz .LBB166_1955
; %bb.1952:
	v_cmp_eq_u16_e32 vcc_lo, 29, v9
	s_cbranch_vccz .LBB166_1954
; %bb.1953:
	global_load_b64 v[1:2], v[3:4], off
	s_mov_b32 s0, 0
	s_mov_b32 s14, -1
	s_branch .LBB166_1955
.LBB166_1954:
	s_mov_b32 s0, -1
                                        ; implicit-def: $vgpr1
.LBB166_1955:
	s_mov_b32 s17, 0
.LBB166_1956:
	s_delay_alu instid0(SALU_CYCLE_1)
	s_and_b32 vcc_lo, exec_lo, s17
	s_cbranch_vccz .LBB166_1972
; %bb.1957:
	v_cmp_gt_i16_e32 vcc_lo, 27, v9
	s_cbranch_vccnz .LBB166_1960
; %bb.1958:
	v_cmp_lt_i16_e32 vcc_lo, 27, v9
	s_cbranch_vccz .LBB166_1961
; %bb.1959:
	global_load_b32 v1, v[3:4], off
	s_mov_b32 s14, 0
	s_branch .LBB166_1962
.LBB166_1960:
	s_mov_b32 s14, -1
                                        ; implicit-def: $vgpr1
	s_branch .LBB166_1965
.LBB166_1961:
	s_mov_b32 s14, -1
                                        ; implicit-def: $vgpr1
.LBB166_1962:
	s_delay_alu instid0(SALU_CYCLE_1)
	s_and_not1_b32 vcc_lo, exec_lo, s14
	s_cbranch_vccnz .LBB166_1964
; %bb.1963:
	global_load_u16 v1, v[3:4], off
.LBB166_1964:
	s_mov_b32 s14, 0
.LBB166_1965:
	s_delay_alu instid0(SALU_CYCLE_1)
	s_and_not1_b32 vcc_lo, exec_lo, s14
	s_cbranch_vccnz .LBB166_1971
; %bb.1966:
	global_load_u8 v2, v[3:4], off
	s_mov_b32 s17, 0
	s_mov_b32 s14, exec_lo
                                        ; implicit-def: $sgpr18
	s_waitcnt vmcnt(0)
	v_cmpx_lt_i16_e32 0x7f, v2
	s_xor_b32 s14, exec_lo, s14
	s_cbranch_execz .LBB166_1983
; %bb.1967:
	v_cmp_ne_u16_e32 vcc_lo, 0x80, v2
	s_mov_b32 s18, 0
	s_and_b32 s17, vcc_lo, exec_lo
	s_or_saveexec_b32 s14, s14
	v_mov_b32_e32 v1, s18
	s_xor_b32 exec_lo, exec_lo, s14
	s_cbranch_execnz .LBB166_1984
.LBB166_1968:
	s_or_b32 exec_lo, exec_lo, s14
	s_and_saveexec_b32 s14, s17
	s_cbranch_execz .LBB166_1970
.LBB166_1969:
	v_and_b32_e32 v1, 0xffff, v2
	v_lshlrev_b32_e32 v2, 24, v2
	s_delay_alu instid0(VALU_DEP_2) | instskip(NEXT) | instid1(VALU_DEP_2)
	v_and_b32_e32 v12, 7, v1
	v_and_b32_e32 v2, 0x80000000, v2
	s_delay_alu instid0(VALU_DEP_2) | instskip(NEXT) | instid1(VALU_DEP_1)
	v_clz_i32_u32_e32 v13, v12
	v_min_u32_e32 v13, 32, v13
	s_delay_alu instid0(VALU_DEP_1) | instskip(SKIP_1) | instid1(VALU_DEP_2)
	v_subrev_nc_u32_e32 v14, 28, v13
	v_sub_nc_u32_e32 v13, 29, v13
	v_lshlrev_b32_e32 v14, v14, v1
	v_bfe_u32 v1, v1, 3, 4
	s_delay_alu instid0(VALU_DEP_1) | instskip(NEXT) | instid1(VALU_DEP_3)
	v_cmp_eq_u32_e32 vcc_lo, 0, v1
	v_dual_cndmask_b32 v1, v1, v13 :: v_dual_and_b32 v14, 7, v14
	s_delay_alu instid0(VALU_DEP_1) | instskip(NEXT) | instid1(VALU_DEP_2)
	v_cndmask_b32_e32 v12, v12, v14, vcc_lo
	v_lshl_add_u32 v1, v1, 23, 0x3b800000
	s_delay_alu instid0(VALU_DEP_2) | instskip(NEXT) | instid1(VALU_DEP_1)
	v_lshlrev_b32_e32 v12, 20, v12
	v_or3_b32 v1, v2, v1, v12
	s_delay_alu instid0(VALU_DEP_1) | instskip(NEXT) | instid1(VALU_DEP_1)
	v_trunc_f32_e32 v1, v1
	v_mul_f32_e64 v2, 0x2f800000, |v1|
	s_delay_alu instid0(VALU_DEP_1) | instskip(NEXT) | instid1(VALU_DEP_1)
	v_floor_f32_e32 v2, v2
	v_fma_f32 v2, 0xcf800000, v2, |v1|
	v_ashrrev_i32_e32 v1, 31, v1
	s_delay_alu instid0(VALU_DEP_2) | instskip(NEXT) | instid1(VALU_DEP_1)
	v_cvt_u32_f32_e32 v2, v2
	v_xor_b32_e32 v2, v2, v1
	s_delay_alu instid0(VALU_DEP_1)
	v_sub_nc_u32_e32 v1, v2, v1
.LBB166_1970:
	s_or_b32 exec_lo, exec_lo, s14
.LBB166_1971:
	s_mov_b32 s14, -1
.LBB166_1972:
	s_mov_b32 s17, 0
.LBB166_1973:
	s_delay_alu instid0(SALU_CYCLE_1)
	s_and_b32 vcc_lo, exec_lo, s17
	s_cbranch_vccz .LBB166_2004
; %bb.1974:
	v_cmp_lt_i16_e32 vcc_lo, 22, v9
	s_cbranch_vccz .LBB166_1982
; %bb.1975:
	v_cmp_gt_i16_e32 vcc_lo, 24, v9
	s_cbranch_vccnz .LBB166_1985
; %bb.1976:
	v_cmp_lt_i16_e32 vcc_lo, 24, v9
	s_cbranch_vccz .LBB166_1986
; %bb.1977:
	global_load_u8 v2, v[3:4], off
	s_mov_b32 s14, 0
	s_mov_b32 s10, exec_lo
                                        ; implicit-def: $sgpr17
	s_waitcnt vmcnt(0)
	v_cmpx_lt_i16_e32 0x7f, v2
	s_xor_b32 s10, exec_lo, s10
	s_cbranch_execz .LBB166_1998
; %bb.1978:
	v_cmp_ne_u16_e32 vcc_lo, 0x80, v2
	s_mov_b32 s17, 0
	s_and_b32 s14, vcc_lo, exec_lo
	s_or_saveexec_b32 s10, s10
	v_mov_b32_e32 v1, s17
	s_xor_b32 exec_lo, exec_lo, s10
	s_cbranch_execnz .LBB166_1999
.LBB166_1979:
	s_or_b32 exec_lo, exec_lo, s10
	s_and_saveexec_b32 s10, s14
	s_cbranch_execz .LBB166_1981
.LBB166_1980:
	v_and_b32_e32 v1, 0xffff, v2
	v_lshlrev_b32_e32 v2, 24, v2
	s_delay_alu instid0(VALU_DEP_2) | instskip(NEXT) | instid1(VALU_DEP_2)
	v_and_b32_e32 v12, 3, v1
	v_and_b32_e32 v2, 0x80000000, v2
	s_delay_alu instid0(VALU_DEP_2) | instskip(NEXT) | instid1(VALU_DEP_1)
	v_clz_i32_u32_e32 v13, v12
	v_min_u32_e32 v13, 32, v13
	s_delay_alu instid0(VALU_DEP_1) | instskip(SKIP_1) | instid1(VALU_DEP_2)
	v_subrev_nc_u32_e32 v14, 29, v13
	v_sub_nc_u32_e32 v13, 30, v13
	v_lshlrev_b32_e32 v14, v14, v1
	v_bfe_u32 v1, v1, 2, 5
	s_delay_alu instid0(VALU_DEP_1) | instskip(NEXT) | instid1(VALU_DEP_3)
	v_cmp_eq_u32_e32 vcc_lo, 0, v1
	v_dual_cndmask_b32 v1, v1, v13 :: v_dual_and_b32 v14, 3, v14
	s_delay_alu instid0(VALU_DEP_1) | instskip(NEXT) | instid1(VALU_DEP_2)
	v_cndmask_b32_e32 v12, v12, v14, vcc_lo
	v_lshl_add_u32 v1, v1, 23, 0x37800000
	s_delay_alu instid0(VALU_DEP_2) | instskip(NEXT) | instid1(VALU_DEP_1)
	v_lshlrev_b32_e32 v12, 21, v12
	v_or3_b32 v1, v2, v1, v12
	s_delay_alu instid0(VALU_DEP_1) | instskip(NEXT) | instid1(VALU_DEP_1)
	v_trunc_f32_e32 v1, v1
	v_mul_f32_e64 v2, 0x2f800000, |v1|
	s_delay_alu instid0(VALU_DEP_1) | instskip(NEXT) | instid1(VALU_DEP_1)
	v_floor_f32_e32 v2, v2
	v_fma_f32 v2, 0xcf800000, v2, |v1|
	v_ashrrev_i32_e32 v1, 31, v1
	s_delay_alu instid0(VALU_DEP_2) | instskip(NEXT) | instid1(VALU_DEP_1)
	v_cvt_u32_f32_e32 v2, v2
	v_xor_b32_e32 v2, v2, v1
	s_delay_alu instid0(VALU_DEP_1)
	v_sub_nc_u32_e32 v1, v2, v1
.LBB166_1981:
	s_or_b32 exec_lo, exec_lo, s10
	s_mov_b32 s10, 0
	s_branch .LBB166_1987
.LBB166_1982:
	s_mov_b32 s10, -1
                                        ; implicit-def: $vgpr1
	s_branch .LBB166_1993
.LBB166_1983:
	s_or_saveexec_b32 s14, s14
	v_mov_b32_e32 v1, s18
	s_xor_b32 exec_lo, exec_lo, s14
	s_cbranch_execz .LBB166_1968
.LBB166_1984:
	v_cmp_ne_u16_e32 vcc_lo, 0, v2
	v_mov_b32_e32 v1, 0
	s_and_not1_b32 s17, s17, exec_lo
	s_and_b32 s18, vcc_lo, exec_lo
	s_delay_alu instid0(SALU_CYCLE_1)
	s_or_b32 s17, s17, s18
	s_or_b32 exec_lo, exec_lo, s14
	s_and_saveexec_b32 s14, s17
	s_cbranch_execnz .LBB166_1969
	s_branch .LBB166_1970
.LBB166_1985:
	s_mov_b32 s10, -1
                                        ; implicit-def: $vgpr1
	s_branch .LBB166_1990
.LBB166_1986:
	s_mov_b32 s10, -1
                                        ; implicit-def: $vgpr1
.LBB166_1987:
	s_delay_alu instid0(SALU_CYCLE_1)
	s_and_b32 vcc_lo, exec_lo, s10
	s_cbranch_vccz .LBB166_1989
; %bb.1988:
	global_load_u8 v1, v[3:4], off
	s_waitcnt vmcnt(0)
	v_lshlrev_b32_e32 v1, 24, v1
	s_delay_alu instid0(VALU_DEP_1) | instskip(NEXT) | instid1(VALU_DEP_1)
	v_and_b32_e32 v2, 0x7f000000, v1
	v_clz_i32_u32_e32 v12, v2
	v_add_nc_u32_e32 v14, 0x1000000, v2
	v_cmp_ne_u32_e32 vcc_lo, 0, v2
	s_delay_alu instid0(VALU_DEP_3) | instskip(NEXT) | instid1(VALU_DEP_1)
	v_min_u32_e32 v12, 32, v12
	v_sub_nc_u32_e64 v12, v12, 4 clamp
	s_delay_alu instid0(VALU_DEP_1) | instskip(SKIP_1) | instid1(VALU_DEP_2)
	v_lshlrev_b32_e32 v13, v12, v2
	v_lshlrev_b32_e32 v12, 23, v12
	v_lshrrev_b32_e32 v13, 4, v13
	s_delay_alu instid0(VALU_DEP_1) | instskip(SKIP_1) | instid1(VALU_DEP_2)
	v_sub_nc_u32_e32 v12, v13, v12
	v_ashrrev_i32_e32 v13, 8, v14
	v_add_nc_u32_e32 v12, 0x3c000000, v12
	s_delay_alu instid0(VALU_DEP_1) | instskip(NEXT) | instid1(VALU_DEP_1)
	v_and_or_b32 v12, 0x7f800000, v13, v12
	v_cndmask_b32_e32 v2, 0, v12, vcc_lo
	s_delay_alu instid0(VALU_DEP_1) | instskip(NEXT) | instid1(VALU_DEP_1)
	v_and_or_b32 v1, 0x80000000, v1, v2
	v_trunc_f32_e32 v1, v1
	s_delay_alu instid0(VALU_DEP_1) | instskip(NEXT) | instid1(VALU_DEP_1)
	v_mul_f32_e64 v2, 0x2f800000, |v1|
	v_floor_f32_e32 v2, v2
	s_delay_alu instid0(VALU_DEP_1) | instskip(SKIP_1) | instid1(VALU_DEP_2)
	v_fma_f32 v2, 0xcf800000, v2, |v1|
	v_ashrrev_i32_e32 v1, 31, v1
	v_cvt_u32_f32_e32 v2, v2
	s_delay_alu instid0(VALU_DEP_1) | instskip(NEXT) | instid1(VALU_DEP_1)
	v_xor_b32_e32 v2, v2, v1
	v_sub_nc_u32_e32 v1, v2, v1
.LBB166_1989:
	s_mov_b32 s10, 0
.LBB166_1990:
	s_delay_alu instid0(SALU_CYCLE_1)
	s_and_not1_b32 vcc_lo, exec_lo, s10
	s_cbranch_vccnz .LBB166_1992
; %bb.1991:
	global_load_u8 v1, v[3:4], off
	s_waitcnt vmcnt(0)
	v_lshlrev_b32_e32 v2, 25, v1
	v_lshlrev_b16 v1, 8, v1
	s_delay_alu instid0(VALU_DEP_2) | instskip(NEXT) | instid1(VALU_DEP_2)
	v_lshrrev_b32_e32 v12, 4, v2
	v_and_or_b32 v13, 0x7f00, v1, 0.5
	v_cmp_gt_u32_e32 vcc_lo, 0x8000000, v2
	v_bfe_i32 v1, v1, 0, 16
	s_delay_alu instid0(VALU_DEP_4) | instskip(NEXT) | instid1(VALU_DEP_1)
	v_or_b32_e32 v12, 0x70000000, v12
	v_dual_add_f32 v13, -0.5, v13 :: v_dual_mul_f32 v12, 0x7800000, v12
	s_delay_alu instid0(VALU_DEP_1) | instskip(NEXT) | instid1(VALU_DEP_1)
	v_cndmask_b32_e32 v2, v12, v13, vcc_lo
	v_and_or_b32 v1, 0x80000000, v1, v2
	s_delay_alu instid0(VALU_DEP_1) | instskip(NEXT) | instid1(VALU_DEP_1)
	v_trunc_f32_e32 v1, v1
	v_mul_f32_e64 v2, 0x2f800000, |v1|
	s_delay_alu instid0(VALU_DEP_1) | instskip(NEXT) | instid1(VALU_DEP_1)
	v_floor_f32_e32 v2, v2
	v_fma_f32 v2, 0xcf800000, v2, |v1|
	v_ashrrev_i32_e32 v1, 31, v1
	s_delay_alu instid0(VALU_DEP_2) | instskip(NEXT) | instid1(VALU_DEP_1)
	v_cvt_u32_f32_e32 v2, v2
	v_xor_b32_e32 v2, v2, v1
	s_delay_alu instid0(VALU_DEP_1)
	v_sub_nc_u32_e32 v1, v2, v1
.LBB166_1992:
	s_mov_b32 s10, 0
	s_mov_b32 s14, -1
.LBB166_1993:
	s_and_not1_b32 vcc_lo, exec_lo, s10
	s_mov_b32 s10, 0
	s_cbranch_vccnz .LBB166_2004
; %bb.1994:
	v_cmp_lt_i16_e32 vcc_lo, 14, v9
	s_cbranch_vccz .LBB166_1997
; %bb.1995:
	v_cmp_eq_u16_e32 vcc_lo, 15, v9
	s_cbranch_vccz .LBB166_2000
; %bb.1996:
	global_load_u16 v1, v[3:4], off
	s_mov_b32 s0, 0
	s_mov_b32 s14, -1
	s_waitcnt vmcnt(0)
	v_lshlrev_b32_e32 v1, 16, v1
	s_delay_alu instid0(VALU_DEP_1) | instskip(NEXT) | instid1(VALU_DEP_1)
	v_trunc_f32_e32 v1, v1
	v_mul_f32_e64 v2, 0x2f800000, |v1|
	s_delay_alu instid0(VALU_DEP_1) | instskip(NEXT) | instid1(VALU_DEP_1)
	v_floor_f32_e32 v2, v2
	v_fma_f32 v2, 0xcf800000, v2, |v1|
	v_ashrrev_i32_e32 v1, 31, v1
	s_delay_alu instid0(VALU_DEP_2) | instskip(NEXT) | instid1(VALU_DEP_1)
	v_cvt_u32_f32_e32 v2, v2
	v_xor_b32_e32 v2, v2, v1
	s_delay_alu instid0(VALU_DEP_1)
	v_sub_nc_u32_e32 v1, v2, v1
	s_branch .LBB166_2002
.LBB166_1997:
	s_mov_b32 s10, -1
	s_branch .LBB166_2001
.LBB166_1998:
	s_or_saveexec_b32 s10, s10
	v_mov_b32_e32 v1, s17
	s_xor_b32 exec_lo, exec_lo, s10
	s_cbranch_execz .LBB166_1979
.LBB166_1999:
	v_cmp_ne_u16_e32 vcc_lo, 0, v2
	v_mov_b32_e32 v1, 0
	s_and_not1_b32 s14, s14, exec_lo
	s_and_b32 s17, vcc_lo, exec_lo
	s_delay_alu instid0(SALU_CYCLE_1)
	s_or_b32 s14, s14, s17
	s_or_b32 exec_lo, exec_lo, s10
	s_and_saveexec_b32 s10, s14
	s_cbranch_execnz .LBB166_1980
	s_branch .LBB166_1981
.LBB166_2000:
	s_mov_b32 s0, -1
.LBB166_2001:
                                        ; implicit-def: $vgpr1
.LBB166_2002:
	s_and_b32 vcc_lo, exec_lo, s10
	s_mov_b32 s10, 0
	s_cbranch_vccz .LBB166_2004
; %bb.2003:
	v_cmp_ne_u16_e64 s0, 11, v9
	s_mov_b32 s10, -1
                                        ; implicit-def: $vgpr1
.LBB166_2004:
	s_delay_alu instid0(VALU_DEP_1)
	s_and_b32 vcc_lo, exec_lo, s0
	s_cbranch_vccnz .LBB166_2069
; %bb.2005:
	s_and_not1_b32 vcc_lo, exec_lo, s10
	s_cbranch_vccnz .LBB166_2007
.LBB166_2006:
	global_load_u8 v1, v[3:4], off
	s_mov_b32 s14, -1
	s_waitcnt vmcnt(0)
	v_cmp_ne_u16_e32 vcc_lo, 0, v1
	v_cndmask_b32_e64 v1, 0, 1, vcc_lo
.LBB166_2007:
	s_mov_b32 s0, 0
.LBB166_2008:
	s_delay_alu instid0(SALU_CYCLE_1)
	s_and_b32 vcc_lo, exec_lo, s0
	s_cbranch_vccz .LBB166_2057
; %bb.2009:
	v_cmp_gt_i16_e32 vcc_lo, 5, v9
	s_cbranch_vccnz .LBB166_2014
; %bb.2010:
	v_cmp_gt_i16_e32 vcc_lo, 8, v9
	s_cbranch_vccnz .LBB166_2015
	;; [unrolled: 3-line block ×3, first 2 shown]
; %bb.2012:
	v_cmp_lt_i16_e32 vcc_lo, 9, v9
	s_cbranch_vccz .LBB166_2017
; %bb.2013:
	global_load_b64 v[1:2], v[3:4], off
	s_mov_b32 s0, 0
	s_waitcnt vmcnt(0)
	v_trunc_f64_e32 v[1:2], v[1:2]
	s_delay_alu instid0(VALU_DEP_1) | instskip(NEXT) | instid1(VALU_DEP_1)
	v_ldexp_f64 v[12:13], v[1:2], 0xffffffe0
	v_floor_f64_e32 v[12:13], v[12:13]
	s_delay_alu instid0(VALU_DEP_1) | instskip(NEXT) | instid1(VALU_DEP_1)
	v_fma_f64 v[1:2], 0xc1f00000, v[12:13], v[1:2]
	v_cvt_u32_f64_e32 v1, v[1:2]
	s_branch .LBB166_2018
.LBB166_2014:
	s_mov_b32 s0, -1
                                        ; implicit-def: $vgpr1
	s_branch .LBB166_2036
.LBB166_2015:
	s_mov_b32 s0, -1
                                        ; implicit-def: $vgpr1
	s_branch .LBB166_2024
.LBB166_2016:
	s_mov_b32 s0, -1
                                        ; implicit-def: $vgpr1
	s_branch .LBB166_2021
.LBB166_2017:
	s_mov_b32 s0, -1
                                        ; implicit-def: $vgpr1
.LBB166_2018:
	s_delay_alu instid0(SALU_CYCLE_1)
	s_and_not1_b32 vcc_lo, exec_lo, s0
	s_cbranch_vccnz .LBB166_2020
; %bb.2019:
	global_load_b32 v1, v[3:4], off
	s_waitcnt vmcnt(0)
	v_trunc_f32_e32 v1, v1
	s_delay_alu instid0(VALU_DEP_1) | instskip(NEXT) | instid1(VALU_DEP_1)
	v_mul_f32_e64 v2, 0x2f800000, |v1|
	v_floor_f32_e32 v2, v2
	s_delay_alu instid0(VALU_DEP_1) | instskip(SKIP_1) | instid1(VALU_DEP_2)
	v_fma_f32 v2, 0xcf800000, v2, |v1|
	v_ashrrev_i32_e32 v1, 31, v1
	v_cvt_u32_f32_e32 v2, v2
	s_delay_alu instid0(VALU_DEP_1) | instskip(NEXT) | instid1(VALU_DEP_1)
	v_xor_b32_e32 v2, v2, v1
	v_sub_nc_u32_e32 v1, v2, v1
.LBB166_2020:
	s_mov_b32 s0, 0
.LBB166_2021:
	s_delay_alu instid0(SALU_CYCLE_1)
	s_and_not1_b32 vcc_lo, exec_lo, s0
	s_cbranch_vccnz .LBB166_2023
; %bb.2022:
	global_load_b32 v1, v[3:4], off
	s_waitcnt vmcnt(0)
	v_cvt_f32_f16_e32 v1, v1
	s_delay_alu instid0(VALU_DEP_1)
	v_cvt_i32_f32_e32 v1, v1
.LBB166_2023:
	s_mov_b32 s0, 0
.LBB166_2024:
	s_delay_alu instid0(SALU_CYCLE_1)
	s_and_not1_b32 vcc_lo, exec_lo, s0
	s_cbranch_vccnz .LBB166_2035
; %bb.2025:
	v_cmp_gt_i16_e32 vcc_lo, 6, v9
	s_cbranch_vccnz .LBB166_2028
; %bb.2026:
	v_cmp_lt_i16_e32 vcc_lo, 6, v9
	s_cbranch_vccz .LBB166_2029
; %bb.2027:
	global_load_b64 v[1:2], v[3:4], off
	s_mov_b32 s0, 0
	s_waitcnt vmcnt(0)
	v_trunc_f64_e32 v[1:2], v[1:2]
	s_delay_alu instid0(VALU_DEP_1) | instskip(NEXT) | instid1(VALU_DEP_1)
	v_ldexp_f64 v[12:13], v[1:2], 0xffffffe0
	v_floor_f64_e32 v[12:13], v[12:13]
	s_delay_alu instid0(VALU_DEP_1) | instskip(NEXT) | instid1(VALU_DEP_1)
	v_fma_f64 v[1:2], 0xc1f00000, v[12:13], v[1:2]
	v_cvt_u32_f64_e32 v1, v[1:2]
	s_branch .LBB166_2030
.LBB166_2028:
	s_mov_b32 s0, -1
                                        ; implicit-def: $vgpr1
	s_branch .LBB166_2033
.LBB166_2029:
	s_mov_b32 s0, -1
                                        ; implicit-def: $vgpr1
.LBB166_2030:
	s_delay_alu instid0(SALU_CYCLE_1)
	s_and_not1_b32 vcc_lo, exec_lo, s0
	s_cbranch_vccnz .LBB166_2032
; %bb.2031:
	global_load_b32 v1, v[3:4], off
	s_waitcnt vmcnt(0)
	v_trunc_f32_e32 v1, v1
	s_delay_alu instid0(VALU_DEP_1) | instskip(NEXT) | instid1(VALU_DEP_1)
	v_mul_f32_e64 v2, 0x2f800000, |v1|
	v_floor_f32_e32 v2, v2
	s_delay_alu instid0(VALU_DEP_1) | instskip(SKIP_1) | instid1(VALU_DEP_2)
	v_fma_f32 v2, 0xcf800000, v2, |v1|
	v_ashrrev_i32_e32 v1, 31, v1
	v_cvt_u32_f32_e32 v2, v2
	s_delay_alu instid0(VALU_DEP_1) | instskip(NEXT) | instid1(VALU_DEP_1)
	v_xor_b32_e32 v2, v2, v1
	v_sub_nc_u32_e32 v1, v2, v1
.LBB166_2032:
	s_mov_b32 s0, 0
.LBB166_2033:
	s_delay_alu instid0(SALU_CYCLE_1)
	s_and_not1_b32 vcc_lo, exec_lo, s0
	s_cbranch_vccnz .LBB166_2035
; %bb.2034:
	global_load_u16 v1, v[3:4], off
	s_waitcnt vmcnt(0)
	v_cvt_f32_f16_e32 v1, v1
	s_delay_alu instid0(VALU_DEP_1)
	v_cvt_i32_f32_e32 v1, v1
.LBB166_2035:
	s_mov_b32 s0, 0
.LBB166_2036:
	s_delay_alu instid0(SALU_CYCLE_1)
	s_and_not1_b32 vcc_lo, exec_lo, s0
	s_cbranch_vccnz .LBB166_2056
; %bb.2037:
	v_cmp_gt_i16_e32 vcc_lo, 2, v9
	s_cbranch_vccnz .LBB166_2041
; %bb.2038:
	v_cmp_gt_i16_e32 vcc_lo, 3, v9
	s_cbranch_vccnz .LBB166_2042
; %bb.2039:
	v_cmp_lt_i16_e32 vcc_lo, 3, v9
	s_cbranch_vccz .LBB166_2043
; %bb.2040:
	global_load_b64 v[1:2], v[3:4], off
	s_mov_b32 s0, 0
	s_branch .LBB166_2044
.LBB166_2041:
	s_mov_b32 s0, -1
                                        ; implicit-def: $vgpr1
	s_branch .LBB166_2050
.LBB166_2042:
	s_mov_b32 s0, -1
                                        ; implicit-def: $vgpr1
	s_branch .LBB166_2047
.LBB166_2043:
	s_mov_b32 s0, -1
                                        ; implicit-def: $vgpr1
.LBB166_2044:
	s_delay_alu instid0(SALU_CYCLE_1)
	s_and_not1_b32 vcc_lo, exec_lo, s0
	s_cbranch_vccnz .LBB166_2046
; %bb.2045:
	global_load_b32 v1, v[3:4], off
.LBB166_2046:
	s_mov_b32 s0, 0
.LBB166_2047:
	s_delay_alu instid0(SALU_CYCLE_1)
	s_and_not1_b32 vcc_lo, exec_lo, s0
	s_cbranch_vccnz .LBB166_2049
; %bb.2048:
	global_load_u16 v1, v[3:4], off
.LBB166_2049:
	s_mov_b32 s0, 0
.LBB166_2050:
	s_delay_alu instid0(SALU_CYCLE_1)
	s_and_not1_b32 vcc_lo, exec_lo, s0
	s_cbranch_vccnz .LBB166_2056
; %bb.2051:
	v_cmp_lt_i16_e32 vcc_lo, 0, v9
	s_mov_b32 s0, 0
	s_cbranch_vccz .LBB166_2053
; %bb.2052:
	global_load_u8 v1, v[3:4], off
	s_branch .LBB166_2054
.LBB166_2053:
	s_mov_b32 s0, -1
                                        ; implicit-def: $vgpr1
.LBB166_2054:
	s_delay_alu instid0(SALU_CYCLE_1)
	s_and_not1_b32 vcc_lo, exec_lo, s0
	s_cbranch_vccnz .LBB166_2056
; %bb.2055:
	global_load_u8 v1, v[3:4], off
.LBB166_2056:
	s_mov_b32 s14, -1
.LBB166_2057:
	s_delay_alu instid0(SALU_CYCLE_1)
	s_and_not1_b32 vcc_lo, exec_lo, s14
	s_cbranch_vccnz .LBB166_3021
; %bb.2058:
	v_add_nc_u32_e32 v12, s1, v11
	v_cmp_gt_i16_e32 vcc_lo, 11, v6
	s_delay_alu instid0(VALU_DEP_2) | instskip(SKIP_2) | instid1(VALU_DEP_1)
	v_ashrrev_i32_e32 v3, 31, v12
	s_waitcnt vmcnt(0)
	v_add_co_u32 v2, s0, s6, v12
	v_add_co_ci_u32_e64 v3, s0, s7, v3, s0
	s_cbranch_vccnz .LBB166_2065
; %bb.2059:
	v_cmp_lt_i16_e32 vcc_lo, 25, v6
	s_mov_b32 s10, 0
	s_cbranch_vccz .LBB166_2066
; %bb.2060:
	v_cmp_lt_i16_e32 vcc_lo, 28, v6
	s_cbranch_vccz .LBB166_2067
; %bb.2061:
	v_cmp_lt_i16_e32 vcc_lo, 43, v6
	s_cbranch_vccz .LBB166_2068
; %bb.2062:
	v_cmp_lt_i16_e32 vcc_lo, 45, v6
	s_cbranch_vccz .LBB166_2071
; %bb.2063:
	v_cmp_eq_u16_e32 vcc_lo, 46, v6
	s_mov_b32 s17, 0
	s_cbranch_vccz .LBB166_2074
; %bb.2064:
	global_load_b32 v4, v[2:3], off
	s_mov_b32 s0, 0
	s_mov_b32 s14, -1
	s_waitcnt vmcnt(0)
	v_lshlrev_b32_e32 v4, 16, v4
	s_delay_alu instid0(VALU_DEP_1)
	v_cvt_f16_f32_e32 v11, v4
	s_branch .LBB166_2076
.LBB166_2065:
	s_mov_b32 s0, -1
	s_mov_b32 s14, 0
                                        ; implicit-def: $vgpr11
	s_branch .LBB166_2142
.LBB166_2066:
	s_mov_b32 s17, -1
	s_mov_b32 s14, 0
	s_mov_b32 s0, 0
                                        ; implicit-def: $vgpr11
	s_branch .LBB166_2105
.LBB166_2067:
	s_mov_b32 s17, -1
	s_mov_b32 s14, 0
	s_mov_b32 s0, 0
                                        ; implicit-def: $vgpr11
	s_branch .LBB166_2086
.LBB166_2068:
	s_mov_b32 s17, -1
	s_mov_b32 s14, 0
	s_mov_b32 s0, 0
                                        ; implicit-def: $vgpr11
	s_branch .LBB166_2081
.LBB166_2069:
	s_cbranch_execnz .LBB166_2072
; %bb.2070:
	s_or_b32 s13, s13, exec_lo
                                        ; implicit-def: $vgpr1
	s_cbranch_execz .LBB166_2006
	s_branch .LBB166_2007
.LBB166_2071:
	s_mov_b32 s17, -1
	s_mov_b32 s14, 0
	s_mov_b32 s0, 0
	s_branch .LBB166_2075
.LBB166_2072:
	s_trap 2
	s_sendmsg_rtn_b32 s0, sendmsg(MSG_RTN_GET_DOORBELL)
	s_mov_b32 ttmp2, m0
	s_waitcnt lgkmcnt(0)
	s_and_b32 s0, s0, 0x3ff
	s_delay_alu instid0(SALU_CYCLE_1) | instskip(NEXT) | instid1(SALU_CYCLE_1)
	s_bitset1_b32 s0, 10
	s_mov_b32 m0, s0
	s_sendmsg sendmsg(MSG_INTERRUPT)
	s_mov_b32 m0, ttmp2
.LBB166_2073:                           ; =>This Inner Loop Header: Depth=1
	s_sethalt 5
	s_branch .LBB166_2073
.LBB166_2074:
	s_mov_b32 s0, -1
	s_mov_b32 s14, 0
.LBB166_2075:
                                        ; implicit-def: $vgpr11
.LBB166_2076:
	s_and_b32 vcc_lo, exec_lo, s17
	s_cbranch_vccz .LBB166_2080
; %bb.2077:
	v_cmp_eq_u16_e32 vcc_lo, 44, v6
	s_cbranch_vccz .LBB166_2079
; %bb.2078:
	global_load_u8 v4, v[2:3], off
	s_mov_b32 s0, 0
	s_mov_b32 s14, -1
	s_waitcnt vmcnt(0)
	v_lshlrev_b32_e32 v11, 23, v4
	v_cmp_ne_u32_e32 vcc_lo, 0xff, v4
	s_delay_alu instid0(VALU_DEP_2) | instskip(NEXT) | instid1(VALU_DEP_1)
	v_cvt_f16_f32_e32 v11, v11
	v_cndmask_b32_e32 v11, 0x7e00, v11, vcc_lo
	v_cmp_ne_u32_e32 vcc_lo, 0, v4
	s_delay_alu instid0(VALU_DEP_2)
	v_cndmask_b32_e32 v11, 0, v11, vcc_lo
	s_branch .LBB166_2080
.LBB166_2079:
	s_mov_b32 s0, -1
                                        ; implicit-def: $vgpr11
.LBB166_2080:
	s_mov_b32 s17, 0
.LBB166_2081:
	s_delay_alu instid0(SALU_CYCLE_1)
	s_and_b32 vcc_lo, exec_lo, s17
	s_cbranch_vccz .LBB166_2085
; %bb.2082:
	v_cmp_eq_u16_e32 vcc_lo, 29, v6
	s_cbranch_vccz .LBB166_2084
; %bb.2083:
	global_load_b64 v[13:14], v[2:3], off
	s_mov_b32 s0, 0
	s_mov_b32 s14, -1
	s_mov_b32 s17, 0
	s_waitcnt vmcnt(0)
	v_clz_i32_u32_e32 v4, v14
	s_delay_alu instid0(VALU_DEP_1) | instskip(NEXT) | instid1(VALU_DEP_1)
	v_min_u32_e32 v4, 32, v4
	v_lshlrev_b64 v[13:14], v4, v[13:14]
	v_sub_nc_u32_e32 v4, 32, v4
	s_delay_alu instid0(VALU_DEP_2) | instskip(NEXT) | instid1(VALU_DEP_1)
	v_min_u32_e32 v11, 1, v13
	v_or_b32_e32 v11, v14, v11
	s_delay_alu instid0(VALU_DEP_1) | instskip(NEXT) | instid1(VALU_DEP_1)
	v_cvt_f32_u32_e32 v11, v11
	v_ldexp_f32 v4, v11, v4
	s_delay_alu instid0(VALU_DEP_1)
	v_cvt_f16_f32_e32 v11, v4
	s_branch .LBB166_2086
.LBB166_2084:
	s_mov_b32 s0, -1
                                        ; implicit-def: $vgpr11
.LBB166_2085:
	s_mov_b32 s17, 0
.LBB166_2086:
	s_delay_alu instid0(SALU_CYCLE_1)
	s_and_b32 vcc_lo, exec_lo, s17
	s_cbranch_vccz .LBB166_2104
; %bb.2087:
	v_cmp_gt_i16_e32 vcc_lo, 27, v6
	s_cbranch_vccnz .LBB166_2090
; %bb.2088:
	v_cmp_lt_i16_e32 vcc_lo, 27, v6
	s_cbranch_vccz .LBB166_2091
; %bb.2089:
	global_load_b32 v4, v[2:3], off
	s_mov_b32 s14, 0
	s_waitcnt vmcnt(0)
	v_cvt_f32_u32_e32 v4, v4
	s_delay_alu instid0(VALU_DEP_1)
	v_cvt_f16_f32_e32 v11, v4
	s_branch .LBB166_2092
.LBB166_2090:
	s_mov_b32 s14, -1
                                        ; implicit-def: $vgpr11
	s_branch .LBB166_2095
.LBB166_2091:
	s_mov_b32 s14, -1
                                        ; implicit-def: $vgpr11
.LBB166_2092:
	s_delay_alu instid0(SALU_CYCLE_1)
	s_and_not1_b32 vcc_lo, exec_lo, s14
	s_cbranch_vccnz .LBB166_2094
; %bb.2093:
	global_load_u16 v4, v[2:3], off
	s_waitcnt vmcnt(0)
	v_cvt_f16_u16_e32 v11, v4
.LBB166_2094:
	s_mov_b32 s14, 0
.LBB166_2095:
	s_delay_alu instid0(SALU_CYCLE_1)
	s_and_not1_b32 vcc_lo, exec_lo, s14
	s_cbranch_vccnz .LBB166_2103
; %bb.2096:
	global_load_u8 v4, v[2:3], off
	s_mov_b32 s14, 0
	s_mov_b32 s18, exec_lo
                                        ; implicit-def: $sgpr17
	s_waitcnt vmcnt(0)
	v_cmpx_lt_i16_e32 0x7f, v4
	s_xor_b32 s18, exec_lo, s18
	s_cbranch_execz .LBB166_2117
; %bb.2097:
	s_mov_b32 s14, -1
	s_mov_b32 s19, exec_lo
                                        ; implicit-def: $sgpr17
	v_cmpx_eq_u16_e32 0x80, v4
; %bb.2098:
	s_movk_i32 s17, 0x7e00
	s_xor_b32 s14, exec_lo, -1
; %bb.2099:
	s_or_b32 exec_lo, exec_lo, s19
	s_delay_alu instid0(SALU_CYCLE_1)
	s_and_b32 s14, s14, exec_lo
	s_or_saveexec_b32 s18, s18
	v_mov_b32_e32 v11, s17
	s_xor_b32 exec_lo, exec_lo, s18
	s_cbranch_execnz .LBB166_2118
.LBB166_2100:
	s_or_b32 exec_lo, exec_lo, s18
	s_and_saveexec_b32 s17, s14
	s_cbranch_execz .LBB166_2102
.LBB166_2101:
	v_and_b32_e32 v11, 0xffff, v4
	s_delay_alu instid0(VALU_DEP_1) | instskip(NEXT) | instid1(VALU_DEP_1)
	v_and_b32_e32 v13, 7, v11
	v_clz_i32_u32_e32 v14, v13
	s_delay_alu instid0(VALU_DEP_1) | instskip(NEXT) | instid1(VALU_DEP_1)
	v_min_u32_e32 v14, 32, v14
	v_subrev_nc_u32_e32 v15, 28, v14
	v_sub_nc_u32_e32 v14, 29, v14
	s_delay_alu instid0(VALU_DEP_2) | instskip(SKIP_1) | instid1(VALU_DEP_2)
	v_lshlrev_b32_e32 v15, v15, v11
	v_bfe_u32 v11, v11, 3, 4
	v_and_b32_e32 v15, 7, v15
	s_delay_alu instid0(VALU_DEP_2) | instskip(SKIP_1) | instid1(VALU_DEP_1)
	v_cmp_eq_u32_e32 vcc_lo, 0, v11
	v_dual_cndmask_b32 v11, v11, v14 :: v_dual_lshlrev_b32 v4, 24, v4
	v_dual_cndmask_b32 v13, v13, v15 :: v_dual_and_b32 v4, 0x80000000, v4
	s_delay_alu instid0(VALU_DEP_2) | instskip(NEXT) | instid1(VALU_DEP_2)
	v_lshl_add_u32 v11, v11, 23, 0x3b800000
	v_lshlrev_b32_e32 v13, 20, v13
	s_delay_alu instid0(VALU_DEP_1) | instskip(NEXT) | instid1(VALU_DEP_1)
	v_or3_b32 v4, v4, v11, v13
	v_cvt_f16_f32_e32 v11, v4
.LBB166_2102:
	s_or_b32 exec_lo, exec_lo, s17
.LBB166_2103:
	s_mov_b32 s14, -1
.LBB166_2104:
	s_mov_b32 s17, 0
.LBB166_2105:
	s_delay_alu instid0(SALU_CYCLE_1)
	s_and_b32 vcc_lo, exec_lo, s17
	s_cbranch_vccz .LBB166_2138
; %bb.2106:
	v_cmp_lt_i16_e32 vcc_lo, 22, v6
	s_cbranch_vccz .LBB166_2116
; %bb.2107:
	v_cmp_gt_i16_e32 vcc_lo, 24, v6
	s_cbranch_vccnz .LBB166_2119
; %bb.2108:
	v_cmp_lt_i16_e32 vcc_lo, 24, v6
	s_cbranch_vccz .LBB166_2120
; %bb.2109:
	global_load_u8 v4, v[2:3], off
	s_mov_b32 s17, exec_lo
                                        ; implicit-def: $sgpr14
	s_waitcnt vmcnt(0)
	v_cmpx_lt_i16_e32 0x7f, v4
	s_xor_b32 s17, exec_lo, s17
	s_cbranch_execz .LBB166_2132
; %bb.2110:
	s_mov_b32 s10, -1
	s_mov_b32 s18, exec_lo
                                        ; implicit-def: $sgpr14
	v_cmpx_eq_u16_e32 0x80, v4
; %bb.2111:
	s_movk_i32 s14, 0x7e00
	s_xor_b32 s10, exec_lo, -1
; %bb.2112:
	s_or_b32 exec_lo, exec_lo, s18
	s_delay_alu instid0(SALU_CYCLE_1)
	s_and_b32 s10, s10, exec_lo
	s_or_saveexec_b32 s17, s17
	v_mov_b32_e32 v11, s14
	s_xor_b32 exec_lo, exec_lo, s17
	s_cbranch_execnz .LBB166_2133
.LBB166_2113:
	s_or_b32 exec_lo, exec_lo, s17
	s_and_saveexec_b32 s14, s10
	s_cbranch_execz .LBB166_2115
.LBB166_2114:
	v_and_b32_e32 v11, 0xffff, v4
	s_delay_alu instid0(VALU_DEP_1) | instskip(NEXT) | instid1(VALU_DEP_1)
	v_and_b32_e32 v13, 3, v11
	v_clz_i32_u32_e32 v14, v13
	s_delay_alu instid0(VALU_DEP_1) | instskip(NEXT) | instid1(VALU_DEP_1)
	v_min_u32_e32 v14, 32, v14
	v_subrev_nc_u32_e32 v15, 29, v14
	v_sub_nc_u32_e32 v14, 30, v14
	s_delay_alu instid0(VALU_DEP_2) | instskip(SKIP_1) | instid1(VALU_DEP_2)
	v_lshlrev_b32_e32 v15, v15, v11
	v_bfe_u32 v11, v11, 2, 5
	v_and_b32_e32 v15, 3, v15
	s_delay_alu instid0(VALU_DEP_2) | instskip(SKIP_1) | instid1(VALU_DEP_1)
	v_cmp_eq_u32_e32 vcc_lo, 0, v11
	v_dual_cndmask_b32 v11, v11, v14 :: v_dual_lshlrev_b32 v4, 24, v4
	v_dual_cndmask_b32 v13, v13, v15 :: v_dual_and_b32 v4, 0x80000000, v4
	s_delay_alu instid0(VALU_DEP_2) | instskip(NEXT) | instid1(VALU_DEP_2)
	v_lshl_add_u32 v11, v11, 23, 0x37800000
	v_lshlrev_b32_e32 v13, 21, v13
	s_delay_alu instid0(VALU_DEP_1) | instskip(NEXT) | instid1(VALU_DEP_1)
	v_or3_b32 v4, v4, v11, v13
	v_cvt_f16_f32_e32 v11, v4
.LBB166_2115:
	s_or_b32 exec_lo, exec_lo, s14
	s_mov_b32 s10, 0
	s_branch .LBB166_2121
.LBB166_2116:
	s_mov_b32 s10, -1
                                        ; implicit-def: $vgpr11
	s_branch .LBB166_2127
.LBB166_2117:
	s_or_saveexec_b32 s18, s18
	v_mov_b32_e32 v11, s17
	s_xor_b32 exec_lo, exec_lo, s18
	s_cbranch_execz .LBB166_2100
.LBB166_2118:
	v_cmp_ne_u16_e32 vcc_lo, 0, v4
	v_mov_b32_e32 v11, v4
	s_and_not1_b32 s14, s14, exec_lo
	s_and_b32 s17, vcc_lo, exec_lo
	s_delay_alu instid0(SALU_CYCLE_1)
	s_or_b32 s14, s14, s17
	s_or_b32 exec_lo, exec_lo, s18
	s_and_saveexec_b32 s17, s14
	s_cbranch_execnz .LBB166_2101
	s_branch .LBB166_2102
.LBB166_2119:
	s_mov_b32 s10, -1
                                        ; implicit-def: $vgpr11
	s_branch .LBB166_2124
.LBB166_2120:
	s_mov_b32 s10, -1
                                        ; implicit-def: $vgpr11
.LBB166_2121:
	s_delay_alu instid0(SALU_CYCLE_1)
	s_and_b32 vcc_lo, exec_lo, s10
	s_cbranch_vccz .LBB166_2123
; %bb.2122:
	global_load_u8 v4, v[2:3], off
	s_waitcnt vmcnt(0)
	v_lshlrev_b32_e32 v4, 24, v4
	s_delay_alu instid0(VALU_DEP_1) | instskip(NEXT) | instid1(VALU_DEP_1)
	v_and_b32_e32 v11, 0x7f000000, v4
	v_clz_i32_u32_e32 v13, v11
	v_add_nc_u32_e32 v15, 0x1000000, v11
	v_cmp_ne_u32_e32 vcc_lo, 0, v11
	s_delay_alu instid0(VALU_DEP_3) | instskip(NEXT) | instid1(VALU_DEP_1)
	v_min_u32_e32 v13, 32, v13
	v_sub_nc_u32_e64 v13, v13, 4 clamp
	s_delay_alu instid0(VALU_DEP_1) | instskip(SKIP_1) | instid1(VALU_DEP_2)
	v_lshlrev_b32_e32 v14, v13, v11
	v_lshlrev_b32_e32 v13, 23, v13
	v_lshrrev_b32_e32 v14, 4, v14
	s_delay_alu instid0(VALU_DEP_1) | instskip(SKIP_1) | instid1(VALU_DEP_2)
	v_sub_nc_u32_e32 v13, v14, v13
	v_ashrrev_i32_e32 v14, 8, v15
	v_add_nc_u32_e32 v13, 0x3c000000, v13
	s_delay_alu instid0(VALU_DEP_1) | instskip(NEXT) | instid1(VALU_DEP_1)
	v_and_or_b32 v13, 0x7f800000, v14, v13
	v_cndmask_b32_e32 v11, 0, v13, vcc_lo
	s_delay_alu instid0(VALU_DEP_1) | instskip(NEXT) | instid1(VALU_DEP_1)
	v_and_or_b32 v4, 0x80000000, v4, v11
	v_cvt_f16_f32_e32 v11, v4
.LBB166_2123:
	s_mov_b32 s10, 0
.LBB166_2124:
	s_delay_alu instid0(SALU_CYCLE_1)
	s_and_not1_b32 vcc_lo, exec_lo, s10
	s_cbranch_vccnz .LBB166_2126
; %bb.2125:
	global_load_u8 v4, v[2:3], off
	s_waitcnt vmcnt(0)
	v_lshlrev_b32_e32 v11, 25, v4
	v_lshlrev_b16 v4, 8, v4
	s_delay_alu instid0(VALU_DEP_1) | instskip(SKIP_1) | instid1(VALU_DEP_2)
	v_and_or_b32 v14, 0x7f00, v4, 0.5
	v_bfe_i32 v4, v4, 0, 16
	v_add_f32_e32 v14, -0.5, v14
	v_lshrrev_b32_e32 v13, 4, v11
	v_cmp_gt_u32_e32 vcc_lo, 0x8000000, v11
	s_delay_alu instid0(VALU_DEP_2) | instskip(NEXT) | instid1(VALU_DEP_1)
	v_or_b32_e32 v13, 0x70000000, v13
	v_mul_f32_e32 v13, 0x7800000, v13
	s_delay_alu instid0(VALU_DEP_1) | instskip(NEXT) | instid1(VALU_DEP_1)
	v_cndmask_b32_e32 v11, v13, v14, vcc_lo
	v_and_or_b32 v4, 0x80000000, v4, v11
	s_delay_alu instid0(VALU_DEP_1)
	v_cvt_f16_f32_e32 v11, v4
.LBB166_2126:
	s_mov_b32 s10, 0
	s_mov_b32 s14, -1
.LBB166_2127:
	s_and_not1_b32 vcc_lo, exec_lo, s10
	s_mov_b32 s10, 0
	s_cbranch_vccnz .LBB166_2138
; %bb.2128:
	v_cmp_lt_i16_e32 vcc_lo, 14, v6
	s_cbranch_vccz .LBB166_2131
; %bb.2129:
	v_cmp_eq_u16_e32 vcc_lo, 15, v6
	s_cbranch_vccz .LBB166_2134
; %bb.2130:
	global_load_u16 v4, v[2:3], off
	s_mov_b32 s0, 0
	s_mov_b32 s14, -1
	s_waitcnt vmcnt(0)
	v_lshlrev_b32_e32 v4, 16, v4
	s_delay_alu instid0(VALU_DEP_1)
	v_cvt_f16_f32_e32 v11, v4
	s_branch .LBB166_2136
.LBB166_2131:
	s_mov_b32 s10, -1
	s_branch .LBB166_2135
.LBB166_2132:
	s_or_saveexec_b32 s17, s17
	v_mov_b32_e32 v11, s14
	s_xor_b32 exec_lo, exec_lo, s17
	s_cbranch_execz .LBB166_2113
.LBB166_2133:
	v_cmp_ne_u16_e32 vcc_lo, 0, v4
	v_mov_b32_e32 v11, v4
	s_and_not1_b32 s10, s10, exec_lo
	s_and_b32 s14, vcc_lo, exec_lo
	s_delay_alu instid0(SALU_CYCLE_1)
	s_or_b32 s10, s10, s14
	s_or_b32 exec_lo, exec_lo, s17
	s_and_saveexec_b32 s14, s10
	s_cbranch_execnz .LBB166_2114
	s_branch .LBB166_2115
.LBB166_2134:
	s_mov_b32 s0, -1
.LBB166_2135:
                                        ; implicit-def: $vgpr11
.LBB166_2136:
	s_and_b32 vcc_lo, exec_lo, s10
	s_mov_b32 s10, 0
	s_cbranch_vccz .LBB166_2138
; %bb.2137:
	v_cmp_ne_u16_e64 s0, 11, v6
	s_mov_b32 s10, -1
                                        ; implicit-def: $vgpr11
.LBB166_2138:
	s_delay_alu instid0(VALU_DEP_1)
	s_and_b32 vcc_lo, exec_lo, s0
	s_cbranch_vccnz .LBB166_2203
; %bb.2139:
	s_and_not1_b32 vcc_lo, exec_lo, s10
	s_cbranch_vccnz .LBB166_2141
.LBB166_2140:
	global_load_u8 v4, v[2:3], off
	s_mov_b32 s14, -1
	s_waitcnt vmcnt(0)
	v_cmp_ne_u16_e32 vcc_lo, 0, v4
	v_cndmask_b32_e64 v11, 0, 0x3c00, vcc_lo
.LBB166_2141:
	s_mov_b32 s0, 0
.LBB166_2142:
	s_delay_alu instid0(SALU_CYCLE_1)
	s_and_b32 vcc_lo, exec_lo, s0
	s_cbranch_vccz .LBB166_2191
; %bb.2143:
	v_cmp_gt_i16_e32 vcc_lo, 5, v6
	s_cbranch_vccnz .LBB166_2148
; %bb.2144:
	v_cmp_gt_i16_e32 vcc_lo, 8, v6
	s_cbranch_vccnz .LBB166_2149
	;; [unrolled: 3-line block ×3, first 2 shown]
; %bb.2146:
	v_cmp_lt_i16_e32 vcc_lo, 9, v6
	s_cbranch_vccz .LBB166_2151
; %bb.2147:
	global_load_b64 v[13:14], v[2:3], off
	s_mov_b32 s0, 0
	s_waitcnt vmcnt(0)
	v_cvt_f32_f64_e32 v4, v[13:14]
	s_delay_alu instid0(VALU_DEP_1)
	v_cvt_f16_f32_e32 v11, v4
	s_branch .LBB166_2152
.LBB166_2148:
	s_mov_b32 s0, -1
                                        ; implicit-def: $vgpr11
	s_branch .LBB166_2170
.LBB166_2149:
	s_mov_b32 s0, -1
                                        ; implicit-def: $vgpr11
	s_branch .LBB166_2158
.LBB166_2150:
	s_mov_b32 s0, -1
                                        ; implicit-def: $vgpr11
	s_branch .LBB166_2155
.LBB166_2151:
	s_mov_b32 s0, -1
                                        ; implicit-def: $vgpr11
.LBB166_2152:
	s_delay_alu instid0(SALU_CYCLE_1)
	s_and_not1_b32 vcc_lo, exec_lo, s0
	s_cbranch_vccnz .LBB166_2154
; %bb.2153:
	global_load_b32 v4, v[2:3], off
	s_waitcnt vmcnt(0)
	v_cvt_f16_f32_e32 v11, v4
.LBB166_2154:
	s_mov_b32 s0, 0
.LBB166_2155:
	s_delay_alu instid0(SALU_CYCLE_1)
	s_and_not1_b32 vcc_lo, exec_lo, s0
	s_cbranch_vccnz .LBB166_2157
; %bb.2156:
	global_load_b32 v11, v[2:3], off
.LBB166_2157:
	s_mov_b32 s0, 0
.LBB166_2158:
	s_delay_alu instid0(SALU_CYCLE_1)
	s_and_not1_b32 vcc_lo, exec_lo, s0
	s_cbranch_vccnz .LBB166_2169
; %bb.2159:
	v_cmp_gt_i16_e32 vcc_lo, 6, v6
	s_cbranch_vccnz .LBB166_2162
; %bb.2160:
	v_cmp_lt_i16_e32 vcc_lo, 6, v6
	s_cbranch_vccz .LBB166_2163
; %bb.2161:
	global_load_b64 v[13:14], v[2:3], off
	s_mov_b32 s0, 0
	s_waitcnt vmcnt(0)
	v_cvt_f32_f64_e32 v4, v[13:14]
	s_delay_alu instid0(VALU_DEP_1)
	v_cvt_f16_f32_e32 v11, v4
	s_branch .LBB166_2164
.LBB166_2162:
	s_mov_b32 s0, -1
                                        ; implicit-def: $vgpr11
	s_branch .LBB166_2167
.LBB166_2163:
	s_mov_b32 s0, -1
                                        ; implicit-def: $vgpr11
.LBB166_2164:
	s_delay_alu instid0(SALU_CYCLE_1)
	s_and_not1_b32 vcc_lo, exec_lo, s0
	s_cbranch_vccnz .LBB166_2166
; %bb.2165:
	global_load_b32 v4, v[2:3], off
	s_waitcnt vmcnt(0)
	v_cvt_f16_f32_e32 v11, v4
.LBB166_2166:
	s_mov_b32 s0, 0
.LBB166_2167:
	s_delay_alu instid0(SALU_CYCLE_1)
	s_and_not1_b32 vcc_lo, exec_lo, s0
	s_cbranch_vccnz .LBB166_2169
; %bb.2168:
	global_load_u16 v11, v[2:3], off
.LBB166_2169:
	s_mov_b32 s0, 0
.LBB166_2170:
	s_delay_alu instid0(SALU_CYCLE_1)
	s_and_not1_b32 vcc_lo, exec_lo, s0
	s_cbranch_vccnz .LBB166_2190
; %bb.2171:
	v_cmp_gt_i16_e32 vcc_lo, 2, v6
	s_cbranch_vccnz .LBB166_2175
; %bb.2172:
	v_cmp_gt_i16_e32 vcc_lo, 3, v6
	s_cbranch_vccnz .LBB166_2176
; %bb.2173:
	v_cmp_lt_i16_e32 vcc_lo, 3, v6
	s_cbranch_vccz .LBB166_2177
; %bb.2174:
	global_load_b64 v[13:14], v[2:3], off
	s_mov_b32 s0, 0
	s_waitcnt vmcnt(0)
	v_xor_b32_e32 v4, v13, v14
	v_cls_i32_e32 v11, v14
	s_delay_alu instid0(VALU_DEP_2) | instskip(NEXT) | instid1(VALU_DEP_2)
	v_ashrrev_i32_e32 v4, 31, v4
	v_add_nc_u32_e32 v11, -1, v11
	s_delay_alu instid0(VALU_DEP_2) | instskip(NEXT) | instid1(VALU_DEP_1)
	v_add_nc_u32_e32 v4, 32, v4
	v_min_u32_e32 v4, v11, v4
	s_delay_alu instid0(VALU_DEP_1) | instskip(SKIP_1) | instid1(VALU_DEP_2)
	v_lshlrev_b64 v[13:14], v4, v[13:14]
	v_sub_nc_u32_e32 v4, 32, v4
	v_min_u32_e32 v11, 1, v13
	s_delay_alu instid0(VALU_DEP_1) | instskip(NEXT) | instid1(VALU_DEP_1)
	v_or_b32_e32 v11, v14, v11
	v_cvt_f32_i32_e32 v11, v11
	s_delay_alu instid0(VALU_DEP_1) | instskip(NEXT) | instid1(VALU_DEP_1)
	v_ldexp_f32 v4, v11, v4
	v_cvt_f16_f32_e32 v11, v4
	s_branch .LBB166_2178
.LBB166_2175:
	s_mov_b32 s0, -1
                                        ; implicit-def: $vgpr11
	s_branch .LBB166_2184
.LBB166_2176:
	s_mov_b32 s0, -1
                                        ; implicit-def: $vgpr11
	s_branch .LBB166_2181
.LBB166_2177:
	s_mov_b32 s0, -1
                                        ; implicit-def: $vgpr11
.LBB166_2178:
	s_delay_alu instid0(SALU_CYCLE_1)
	s_and_not1_b32 vcc_lo, exec_lo, s0
	s_cbranch_vccnz .LBB166_2180
; %bb.2179:
	global_load_b32 v4, v[2:3], off
	s_waitcnt vmcnt(0)
	v_cvt_f32_i32_e32 v4, v4
	s_delay_alu instid0(VALU_DEP_1)
	v_cvt_f16_f32_e32 v11, v4
.LBB166_2180:
	s_mov_b32 s0, 0
.LBB166_2181:
	s_delay_alu instid0(SALU_CYCLE_1)
	s_and_not1_b32 vcc_lo, exec_lo, s0
	s_cbranch_vccnz .LBB166_2183
; %bb.2182:
	global_load_u16 v4, v[2:3], off
	s_waitcnt vmcnt(0)
	v_cvt_f16_i16_e32 v11, v4
.LBB166_2183:
	s_mov_b32 s0, 0
.LBB166_2184:
	s_delay_alu instid0(SALU_CYCLE_1)
	s_and_not1_b32 vcc_lo, exec_lo, s0
	s_cbranch_vccnz .LBB166_2190
; %bb.2185:
	v_cmp_lt_i16_e32 vcc_lo, 0, v6
	s_mov_b32 s0, 0
	s_cbranch_vccz .LBB166_2187
; %bb.2186:
	global_load_i8 v4, v[2:3], off
	s_waitcnt vmcnt(0)
	v_cvt_f16_i16_e32 v11, v4
	s_branch .LBB166_2188
.LBB166_2187:
	s_mov_b32 s0, -1
                                        ; implicit-def: $vgpr11
.LBB166_2188:
	s_delay_alu instid0(SALU_CYCLE_1)
	s_and_not1_b32 vcc_lo, exec_lo, s0
	s_cbranch_vccnz .LBB166_2190
; %bb.2189:
	global_load_u8 v2, v[2:3], off
	s_waitcnt vmcnt(0)
	v_cvt_f16_u16_e32 v11, v2
.LBB166_2190:
	s_mov_b32 s14, -1
.LBB166_2191:
	s_delay_alu instid0(SALU_CYCLE_1)
	s_and_not1_b32 vcc_lo, exec_lo, s14
	s_cbranch_vccnz .LBB166_3021
; %bb.2192:
	v_add_nc_u32_e32 v13, s9, v5
	v_cmp_gt_i16_e32 vcc_lo, 11, v9
	s_delay_alu instid0(VALU_DEP_2) | instskip(SKIP_1) | instid1(VALU_DEP_1)
	v_ashrrev_i32_e32 v2, 31, v13
	v_add_co_u32 v4, s0, s2, v13
	v_add_co_ci_u32_e64 v5, s0, s3, v2, s0
	s_cbranch_vccnz .LBB166_2199
; %bb.2193:
	v_cmp_lt_i16_e32 vcc_lo, 25, v9
	s_mov_b32 s10, 0
	s_cbranch_vccz .LBB166_2200
; %bb.2194:
	v_cmp_lt_i16_e32 vcc_lo, 28, v9
	s_cbranch_vccz .LBB166_2201
; %bb.2195:
	v_cmp_lt_i16_e32 vcc_lo, 43, v9
	;; [unrolled: 3-line block ×3, first 2 shown]
	s_cbranch_vccz .LBB166_2205
; %bb.2197:
	v_cmp_eq_u16_e32 vcc_lo, 46, v9
	s_mov_b32 s17, 0
	s_cbranch_vccz .LBB166_2210
; %bb.2198:
	global_load_b32 v2, v[4:5], off
	s_mov_b32 s0, 0
	s_mov_b32 s14, -1
	s_waitcnt vmcnt(0)
	v_lshlrev_b32_e32 v2, 16, v2
	s_delay_alu instid0(VALU_DEP_1) | instskip(NEXT) | instid1(VALU_DEP_1)
	v_trunc_f32_e32 v2, v2
	v_mul_f32_e64 v3, 0x2f800000, |v2|
	s_delay_alu instid0(VALU_DEP_1) | instskip(NEXT) | instid1(VALU_DEP_1)
	v_floor_f32_e32 v3, v3
	v_fma_f32 v3, 0xcf800000, v3, |v2|
	v_ashrrev_i32_e32 v2, 31, v2
	s_delay_alu instid0(VALU_DEP_2) | instskip(NEXT) | instid1(VALU_DEP_1)
	v_cvt_u32_f32_e32 v3, v3
	v_xor_b32_e32 v3, v3, v2
	s_delay_alu instid0(VALU_DEP_1)
	v_sub_nc_u32_e32 v2, v3, v2
	s_branch .LBB166_2212
.LBB166_2199:
	s_mov_b32 s0, -1
	s_mov_b32 s14, 0
                                        ; implicit-def: $vgpr2
	s_branch .LBB166_2274
.LBB166_2200:
	s_mov_b32 s17, -1
	s_mov_b32 s14, 0
	s_mov_b32 s0, 0
                                        ; implicit-def: $vgpr2
	s_branch .LBB166_2239
.LBB166_2201:
	s_mov_b32 s17, -1
	s_mov_b32 s14, 0
	s_mov_b32 s0, 0
                                        ; implicit-def: $vgpr2
	s_branch .LBB166_2222
.LBB166_2202:
	s_mov_b32 s17, -1
	s_mov_b32 s14, 0
	s_mov_b32 s0, 0
                                        ; implicit-def: $vgpr2
	s_branch .LBB166_2217
.LBB166_2203:
	s_cbranch_execnz .LBB166_2206
; %bb.2204:
	s_or_b32 s13, s13, exec_lo
                                        ; implicit-def: $vgpr11
	s_cbranch_execz .LBB166_2140
	s_branch .LBB166_2141
.LBB166_2205:
	s_mov_b32 s17, -1
	s_mov_b32 s14, 0
	s_mov_b32 s0, 0
	s_branch .LBB166_2211
.LBB166_2206:
	s_trap 2
	s_sendmsg_rtn_b32 s0, sendmsg(MSG_RTN_GET_DOORBELL)
	s_mov_b32 ttmp2, m0
	s_waitcnt lgkmcnt(0)
	s_and_b32 s0, s0, 0x3ff
	s_delay_alu instid0(SALU_CYCLE_1) | instskip(NEXT) | instid1(SALU_CYCLE_1)
	s_bitset1_b32 s0, 10
	s_mov_b32 m0, s0
	s_sendmsg sendmsg(MSG_INTERRUPT)
	s_mov_b32 m0, ttmp2
.LBB166_2207:                           ; =>This Inner Loop Header: Depth=1
	s_sethalt 5
	s_branch .LBB166_2207
.LBB166_2208:
	s_or_saveexec_b32 s30, s30
                                        ; implicit-def: $sgpr31
	s_delay_alu instid0(SALU_CYCLE_1)
	s_xor_b32 exec_lo, exec_lo, s30
	s_cbranch_execz .LBB166_1072
.LBB166_2209:
	v_add_f32_e64 v5, 0x42800000, |v4|
	s_and_not1_b32 s29, s29, exec_lo
	s_mov_b32 s31, 0
	s_delay_alu instid0(VALU_DEP_1) | instskip(NEXT) | instid1(VALU_DEP_1)
	v_and_b32_e32 v5, 0xff, v5
	v_cmp_ne_u32_e32 vcc_lo, 0, v5
	s_and_b32 s33, vcc_lo, exec_lo
	s_delay_alu instid0(SALU_CYCLE_1)
	s_or_b32 s29, s29, s33
	s_or_b32 exec_lo, exec_lo, s30
	v_mov_b32_e32 v6, s31
	s_and_saveexec_b32 s30, s29
	s_cbranch_execnz .LBB166_1073
	s_branch .LBB166_1074
.LBB166_2210:
	s_mov_b32 s0, -1
	s_mov_b32 s14, 0
.LBB166_2211:
                                        ; implicit-def: $vgpr2
.LBB166_2212:
	s_and_b32 vcc_lo, exec_lo, s17
	s_cbranch_vccz .LBB166_2216
; %bb.2213:
	v_cmp_eq_u16_e32 vcc_lo, 44, v9
	s_cbranch_vccz .LBB166_2215
; %bb.2214:
	global_load_u8 v2, v[4:5], off
	s_mov_b32 s0, 0
	s_mov_b32 s14, -1
	s_waitcnt vmcnt(0)
	v_lshlrev_b32_e32 v3, 23, v2
	v_cmp_ne_u32_e32 vcc_lo, 0, v2
	s_delay_alu instid0(VALU_DEP_2) | instskip(NEXT) | instid1(VALU_DEP_1)
	v_trunc_f32_e32 v3, v3
	v_mul_f32_e64 v14, 0x2f800000, |v3|
	s_delay_alu instid0(VALU_DEP_1) | instskip(NEXT) | instid1(VALU_DEP_1)
	v_floor_f32_e32 v14, v14
	v_fma_f32 v14, 0xcf800000, v14, |v3|
	v_ashrrev_i32_e32 v3, 31, v3
	s_delay_alu instid0(VALU_DEP_2) | instskip(NEXT) | instid1(VALU_DEP_1)
	v_cvt_u32_f32_e32 v14, v14
	v_xor_b32_e32 v14, v14, v3
	s_delay_alu instid0(VALU_DEP_1) | instskip(NEXT) | instid1(VALU_DEP_1)
	v_sub_nc_u32_e32 v3, v14, v3
	v_cndmask_b32_e32 v2, 0, v3, vcc_lo
	s_branch .LBB166_2216
.LBB166_2215:
	s_mov_b32 s0, -1
                                        ; implicit-def: $vgpr2
.LBB166_2216:
	s_mov_b32 s17, 0
.LBB166_2217:
	s_delay_alu instid0(SALU_CYCLE_1)
	s_and_b32 vcc_lo, exec_lo, s17
	s_cbranch_vccz .LBB166_2221
; %bb.2218:
	v_cmp_eq_u16_e32 vcc_lo, 29, v9
	s_cbranch_vccz .LBB166_2220
; %bb.2219:
	global_load_b64 v[2:3], v[4:5], off
	s_mov_b32 s0, 0
	s_mov_b32 s14, -1
	s_branch .LBB166_2221
.LBB166_2220:
	s_mov_b32 s0, -1
                                        ; implicit-def: $vgpr2
.LBB166_2221:
	s_mov_b32 s17, 0
.LBB166_2222:
	s_delay_alu instid0(SALU_CYCLE_1)
	s_and_b32 vcc_lo, exec_lo, s17
	s_cbranch_vccz .LBB166_2238
; %bb.2223:
	v_cmp_gt_i16_e32 vcc_lo, 27, v9
	s_cbranch_vccnz .LBB166_2226
; %bb.2224:
	v_cmp_lt_i16_e32 vcc_lo, 27, v9
	s_cbranch_vccz .LBB166_2227
; %bb.2225:
	global_load_b32 v2, v[4:5], off
	s_mov_b32 s14, 0
	s_branch .LBB166_2228
.LBB166_2226:
	s_mov_b32 s14, -1
                                        ; implicit-def: $vgpr2
	s_branch .LBB166_2231
.LBB166_2227:
	s_mov_b32 s14, -1
                                        ; implicit-def: $vgpr2
.LBB166_2228:
	s_delay_alu instid0(SALU_CYCLE_1)
	s_and_not1_b32 vcc_lo, exec_lo, s14
	s_cbranch_vccnz .LBB166_2230
; %bb.2229:
	global_load_u16 v2, v[4:5], off
.LBB166_2230:
	s_mov_b32 s14, 0
.LBB166_2231:
	s_delay_alu instid0(SALU_CYCLE_1)
	s_and_not1_b32 vcc_lo, exec_lo, s14
	s_cbranch_vccnz .LBB166_2237
; %bb.2232:
	global_load_u8 v3, v[4:5], off
	s_mov_b32 s17, 0
	s_mov_b32 s14, exec_lo
                                        ; implicit-def: $sgpr18
	s_waitcnt vmcnt(0)
	v_cmpx_lt_i16_e32 0x7f, v3
	s_xor_b32 s14, exec_lo, s14
	s_cbranch_execz .LBB166_2249
; %bb.2233:
	v_cmp_ne_u16_e32 vcc_lo, 0x80, v3
	s_mov_b32 s18, 0
	s_and_b32 s17, vcc_lo, exec_lo
	s_or_saveexec_b32 s14, s14
	v_mov_b32_e32 v2, s18
	s_xor_b32 exec_lo, exec_lo, s14
	s_cbranch_execnz .LBB166_2250
.LBB166_2234:
	s_or_b32 exec_lo, exec_lo, s14
	s_and_saveexec_b32 s14, s17
	s_cbranch_execz .LBB166_2236
.LBB166_2235:
	v_and_b32_e32 v2, 0xffff, v3
	s_delay_alu instid0(VALU_DEP_1) | instskip(NEXT) | instid1(VALU_DEP_1)
	v_and_b32_e32 v14, 7, v2
	v_clz_i32_u32_e32 v15, v14
	s_delay_alu instid0(VALU_DEP_1) | instskip(NEXT) | instid1(VALU_DEP_1)
	v_min_u32_e32 v15, 32, v15
	v_subrev_nc_u32_e32 v16, 28, v15
	v_sub_nc_u32_e32 v15, 29, v15
	s_delay_alu instid0(VALU_DEP_2) | instskip(SKIP_1) | instid1(VALU_DEP_2)
	v_lshlrev_b32_e32 v16, v16, v2
	v_bfe_u32 v2, v2, 3, 4
	v_and_b32_e32 v16, 7, v16
	s_delay_alu instid0(VALU_DEP_2) | instskip(NEXT) | instid1(VALU_DEP_2)
	v_cmp_eq_u32_e32 vcc_lo, 0, v2
	v_dual_cndmask_b32 v14, v14, v16 :: v_dual_lshlrev_b32 v3, 24, v3
	v_cndmask_b32_e32 v2, v2, v15, vcc_lo
	s_delay_alu instid0(VALU_DEP_2) | instskip(NEXT) | instid1(VALU_DEP_3)
	v_and_b32_e32 v3, 0x80000000, v3
	v_lshlrev_b32_e32 v14, 20, v14
	s_delay_alu instid0(VALU_DEP_3) | instskip(NEXT) | instid1(VALU_DEP_1)
	v_lshl_add_u32 v2, v2, 23, 0x3b800000
	v_or3_b32 v2, v3, v2, v14
	s_delay_alu instid0(VALU_DEP_1) | instskip(NEXT) | instid1(VALU_DEP_1)
	v_trunc_f32_e32 v2, v2
	v_mul_f32_e64 v3, 0x2f800000, |v2|
	s_delay_alu instid0(VALU_DEP_1) | instskip(NEXT) | instid1(VALU_DEP_1)
	v_floor_f32_e32 v3, v3
	v_fma_f32 v3, 0xcf800000, v3, |v2|
	v_ashrrev_i32_e32 v2, 31, v2
	s_delay_alu instid0(VALU_DEP_2) | instskip(NEXT) | instid1(VALU_DEP_1)
	v_cvt_u32_f32_e32 v3, v3
	v_xor_b32_e32 v3, v3, v2
	s_delay_alu instid0(VALU_DEP_1)
	v_sub_nc_u32_e32 v2, v3, v2
.LBB166_2236:
	s_or_b32 exec_lo, exec_lo, s14
.LBB166_2237:
	s_mov_b32 s14, -1
.LBB166_2238:
	s_mov_b32 s17, 0
.LBB166_2239:
	s_delay_alu instid0(SALU_CYCLE_1)
	s_and_b32 vcc_lo, exec_lo, s17
	s_cbranch_vccz .LBB166_2270
; %bb.2240:
	v_cmp_lt_i16_e32 vcc_lo, 22, v9
	s_cbranch_vccz .LBB166_2248
; %bb.2241:
	v_cmp_gt_i16_e32 vcc_lo, 24, v9
	s_cbranch_vccnz .LBB166_2251
; %bb.2242:
	v_cmp_lt_i16_e32 vcc_lo, 24, v9
	s_cbranch_vccz .LBB166_2252
; %bb.2243:
	global_load_u8 v3, v[4:5], off
	s_mov_b32 s14, 0
	s_mov_b32 s10, exec_lo
                                        ; implicit-def: $sgpr17
	s_waitcnt vmcnt(0)
	v_cmpx_lt_i16_e32 0x7f, v3
	s_xor_b32 s10, exec_lo, s10
	s_cbranch_execz .LBB166_2264
; %bb.2244:
	v_cmp_ne_u16_e32 vcc_lo, 0x80, v3
	s_mov_b32 s17, 0
	s_and_b32 s14, vcc_lo, exec_lo
	s_or_saveexec_b32 s10, s10
	v_mov_b32_e32 v2, s17
	s_xor_b32 exec_lo, exec_lo, s10
	s_cbranch_execnz .LBB166_2265
.LBB166_2245:
	s_or_b32 exec_lo, exec_lo, s10
	s_and_saveexec_b32 s10, s14
	s_cbranch_execz .LBB166_2247
.LBB166_2246:
	v_and_b32_e32 v2, 0xffff, v3
	s_delay_alu instid0(VALU_DEP_1) | instskip(NEXT) | instid1(VALU_DEP_1)
	v_and_b32_e32 v14, 3, v2
	v_clz_i32_u32_e32 v15, v14
	s_delay_alu instid0(VALU_DEP_1) | instskip(NEXT) | instid1(VALU_DEP_1)
	v_min_u32_e32 v15, 32, v15
	v_subrev_nc_u32_e32 v16, 29, v15
	v_sub_nc_u32_e32 v15, 30, v15
	s_delay_alu instid0(VALU_DEP_2) | instskip(SKIP_1) | instid1(VALU_DEP_2)
	v_lshlrev_b32_e32 v16, v16, v2
	v_bfe_u32 v2, v2, 2, 5
	v_and_b32_e32 v16, 3, v16
	s_delay_alu instid0(VALU_DEP_2) | instskip(NEXT) | instid1(VALU_DEP_2)
	v_cmp_eq_u32_e32 vcc_lo, 0, v2
	v_dual_cndmask_b32 v14, v14, v16 :: v_dual_lshlrev_b32 v3, 24, v3
	v_cndmask_b32_e32 v2, v2, v15, vcc_lo
	s_delay_alu instid0(VALU_DEP_2) | instskip(NEXT) | instid1(VALU_DEP_3)
	v_and_b32_e32 v3, 0x80000000, v3
	v_lshlrev_b32_e32 v14, 21, v14
	s_delay_alu instid0(VALU_DEP_3) | instskip(NEXT) | instid1(VALU_DEP_1)
	v_lshl_add_u32 v2, v2, 23, 0x37800000
	v_or3_b32 v2, v3, v2, v14
	s_delay_alu instid0(VALU_DEP_1) | instskip(NEXT) | instid1(VALU_DEP_1)
	v_trunc_f32_e32 v2, v2
	v_mul_f32_e64 v3, 0x2f800000, |v2|
	s_delay_alu instid0(VALU_DEP_1) | instskip(NEXT) | instid1(VALU_DEP_1)
	v_floor_f32_e32 v3, v3
	v_fma_f32 v3, 0xcf800000, v3, |v2|
	v_ashrrev_i32_e32 v2, 31, v2
	s_delay_alu instid0(VALU_DEP_2) | instskip(NEXT) | instid1(VALU_DEP_1)
	v_cvt_u32_f32_e32 v3, v3
	v_xor_b32_e32 v3, v3, v2
	s_delay_alu instid0(VALU_DEP_1)
	v_sub_nc_u32_e32 v2, v3, v2
.LBB166_2247:
	s_or_b32 exec_lo, exec_lo, s10
	s_mov_b32 s10, 0
	s_branch .LBB166_2253
.LBB166_2248:
	s_mov_b32 s10, -1
                                        ; implicit-def: $vgpr2
	s_branch .LBB166_2259
.LBB166_2249:
	s_or_saveexec_b32 s14, s14
	v_mov_b32_e32 v2, s18
	s_xor_b32 exec_lo, exec_lo, s14
	s_cbranch_execz .LBB166_2234
.LBB166_2250:
	v_cmp_ne_u16_e32 vcc_lo, 0, v3
	v_mov_b32_e32 v2, 0
	s_and_not1_b32 s17, s17, exec_lo
	s_and_b32 s18, vcc_lo, exec_lo
	s_delay_alu instid0(SALU_CYCLE_1)
	s_or_b32 s17, s17, s18
	s_or_b32 exec_lo, exec_lo, s14
	s_and_saveexec_b32 s14, s17
	s_cbranch_execnz .LBB166_2235
	s_branch .LBB166_2236
.LBB166_2251:
	s_mov_b32 s10, -1
                                        ; implicit-def: $vgpr2
	s_branch .LBB166_2256
.LBB166_2252:
	s_mov_b32 s10, -1
                                        ; implicit-def: $vgpr2
.LBB166_2253:
	s_delay_alu instid0(SALU_CYCLE_1)
	s_and_b32 vcc_lo, exec_lo, s10
	s_cbranch_vccz .LBB166_2255
; %bb.2254:
	global_load_u8 v2, v[4:5], off
	s_waitcnt vmcnt(0)
	v_lshlrev_b32_e32 v2, 24, v2
	s_delay_alu instid0(VALU_DEP_1) | instskip(NEXT) | instid1(VALU_DEP_1)
	v_and_b32_e32 v3, 0x7f000000, v2
	v_clz_i32_u32_e32 v14, v3
	v_cmp_ne_u32_e32 vcc_lo, 0, v3
	v_add_nc_u32_e32 v16, 0x1000000, v3
	s_delay_alu instid0(VALU_DEP_3) | instskip(NEXT) | instid1(VALU_DEP_1)
	v_min_u32_e32 v14, 32, v14
	v_sub_nc_u32_e64 v14, v14, 4 clamp
	s_delay_alu instid0(VALU_DEP_1) | instskip(SKIP_1) | instid1(VALU_DEP_2)
	v_lshlrev_b32_e32 v15, v14, v3
	v_lshlrev_b32_e32 v14, 23, v14
	v_lshrrev_b32_e32 v15, 4, v15
	s_delay_alu instid0(VALU_DEP_1) | instskip(SKIP_1) | instid1(VALU_DEP_2)
	v_sub_nc_u32_e32 v14, v15, v14
	v_ashrrev_i32_e32 v15, 8, v16
	v_add_nc_u32_e32 v14, 0x3c000000, v14
	s_delay_alu instid0(VALU_DEP_1) | instskip(NEXT) | instid1(VALU_DEP_1)
	v_and_or_b32 v14, 0x7f800000, v15, v14
	v_cndmask_b32_e32 v3, 0, v14, vcc_lo
	s_delay_alu instid0(VALU_DEP_1) | instskip(NEXT) | instid1(VALU_DEP_1)
	v_and_or_b32 v2, 0x80000000, v2, v3
	v_trunc_f32_e32 v2, v2
	s_delay_alu instid0(VALU_DEP_1) | instskip(NEXT) | instid1(VALU_DEP_1)
	v_mul_f32_e64 v3, 0x2f800000, |v2|
	v_floor_f32_e32 v3, v3
	s_delay_alu instid0(VALU_DEP_1) | instskip(SKIP_1) | instid1(VALU_DEP_2)
	v_fma_f32 v3, 0xcf800000, v3, |v2|
	v_ashrrev_i32_e32 v2, 31, v2
	v_cvt_u32_f32_e32 v3, v3
	s_delay_alu instid0(VALU_DEP_1) | instskip(NEXT) | instid1(VALU_DEP_1)
	v_xor_b32_e32 v3, v3, v2
	v_sub_nc_u32_e32 v2, v3, v2
.LBB166_2255:
	s_mov_b32 s10, 0
.LBB166_2256:
	s_delay_alu instid0(SALU_CYCLE_1)
	s_and_not1_b32 vcc_lo, exec_lo, s10
	s_cbranch_vccnz .LBB166_2258
; %bb.2257:
	global_load_u8 v2, v[4:5], off
	s_waitcnt vmcnt(0)
	v_lshlrev_b32_e32 v3, 25, v2
	v_lshlrev_b16 v2, 8, v2
	s_delay_alu instid0(VALU_DEP_2) | instskip(NEXT) | instid1(VALU_DEP_2)
	v_lshrrev_b32_e32 v14, 4, v3
	v_and_or_b32 v15, 0x7f00, v2, 0.5
	v_cmp_gt_u32_e32 vcc_lo, 0x8000000, v3
	v_bfe_i32 v2, v2, 0, 16
	s_delay_alu instid0(VALU_DEP_4) | instskip(NEXT) | instid1(VALU_DEP_1)
	v_or_b32_e32 v14, 0x70000000, v14
	v_dual_add_f32 v15, -0.5, v15 :: v_dual_mul_f32 v14, 0x7800000, v14
	s_delay_alu instid0(VALU_DEP_1) | instskip(NEXT) | instid1(VALU_DEP_1)
	v_cndmask_b32_e32 v3, v14, v15, vcc_lo
	v_and_or_b32 v2, 0x80000000, v2, v3
	s_delay_alu instid0(VALU_DEP_1) | instskip(NEXT) | instid1(VALU_DEP_1)
	v_trunc_f32_e32 v2, v2
	v_mul_f32_e64 v3, 0x2f800000, |v2|
	s_delay_alu instid0(VALU_DEP_1) | instskip(NEXT) | instid1(VALU_DEP_1)
	v_floor_f32_e32 v3, v3
	v_fma_f32 v3, 0xcf800000, v3, |v2|
	v_ashrrev_i32_e32 v2, 31, v2
	s_delay_alu instid0(VALU_DEP_2) | instskip(NEXT) | instid1(VALU_DEP_1)
	v_cvt_u32_f32_e32 v3, v3
	v_xor_b32_e32 v3, v3, v2
	s_delay_alu instid0(VALU_DEP_1)
	v_sub_nc_u32_e32 v2, v3, v2
.LBB166_2258:
	s_mov_b32 s10, 0
	s_mov_b32 s14, -1
.LBB166_2259:
	s_and_not1_b32 vcc_lo, exec_lo, s10
	s_mov_b32 s10, 0
	s_cbranch_vccnz .LBB166_2270
; %bb.2260:
	v_cmp_lt_i16_e32 vcc_lo, 14, v9
	s_cbranch_vccz .LBB166_2263
; %bb.2261:
	v_cmp_eq_u16_e32 vcc_lo, 15, v9
	s_cbranch_vccz .LBB166_2266
; %bb.2262:
	global_load_u16 v2, v[4:5], off
	s_mov_b32 s0, 0
	s_mov_b32 s14, -1
	s_waitcnt vmcnt(0)
	v_lshlrev_b32_e32 v2, 16, v2
	s_delay_alu instid0(VALU_DEP_1) | instskip(NEXT) | instid1(VALU_DEP_1)
	v_trunc_f32_e32 v2, v2
	v_mul_f32_e64 v3, 0x2f800000, |v2|
	s_delay_alu instid0(VALU_DEP_1) | instskip(NEXT) | instid1(VALU_DEP_1)
	v_floor_f32_e32 v3, v3
	v_fma_f32 v3, 0xcf800000, v3, |v2|
	v_ashrrev_i32_e32 v2, 31, v2
	s_delay_alu instid0(VALU_DEP_2) | instskip(NEXT) | instid1(VALU_DEP_1)
	v_cvt_u32_f32_e32 v3, v3
	v_xor_b32_e32 v3, v3, v2
	s_delay_alu instid0(VALU_DEP_1)
	v_sub_nc_u32_e32 v2, v3, v2
	s_branch .LBB166_2268
.LBB166_2263:
	s_mov_b32 s10, -1
	s_branch .LBB166_2267
.LBB166_2264:
	s_or_saveexec_b32 s10, s10
	v_mov_b32_e32 v2, s17
	s_xor_b32 exec_lo, exec_lo, s10
	s_cbranch_execz .LBB166_2245
.LBB166_2265:
	v_cmp_ne_u16_e32 vcc_lo, 0, v3
	v_mov_b32_e32 v2, 0
	s_and_not1_b32 s14, s14, exec_lo
	s_and_b32 s17, vcc_lo, exec_lo
	s_delay_alu instid0(SALU_CYCLE_1)
	s_or_b32 s14, s14, s17
	s_or_b32 exec_lo, exec_lo, s10
	s_and_saveexec_b32 s10, s14
	s_cbranch_execnz .LBB166_2246
	s_branch .LBB166_2247
.LBB166_2266:
	s_mov_b32 s0, -1
.LBB166_2267:
                                        ; implicit-def: $vgpr2
.LBB166_2268:
	s_and_b32 vcc_lo, exec_lo, s10
	s_mov_b32 s10, 0
	s_cbranch_vccz .LBB166_2270
; %bb.2269:
	v_cmp_ne_u16_e64 s0, 11, v9
	s_mov_b32 s10, -1
                                        ; implicit-def: $vgpr2
.LBB166_2270:
	s_delay_alu instid0(VALU_DEP_1)
	s_and_b32 vcc_lo, exec_lo, s0
	s_cbranch_vccnz .LBB166_2335
; %bb.2271:
	s_and_not1_b32 vcc_lo, exec_lo, s10
	s_cbranch_vccnz .LBB166_2273
.LBB166_2272:
	global_load_u8 v2, v[4:5], off
	s_mov_b32 s14, -1
	s_waitcnt vmcnt(0)
	v_cmp_ne_u16_e32 vcc_lo, 0, v2
	v_cndmask_b32_e64 v2, 0, 1, vcc_lo
.LBB166_2273:
	s_mov_b32 s0, 0
.LBB166_2274:
	s_delay_alu instid0(SALU_CYCLE_1)
	s_and_b32 vcc_lo, exec_lo, s0
	s_cbranch_vccz .LBB166_2323
; %bb.2275:
	v_cmp_gt_i16_e32 vcc_lo, 5, v9
	s_cbranch_vccnz .LBB166_2280
; %bb.2276:
	v_cmp_gt_i16_e32 vcc_lo, 8, v9
	s_cbranch_vccnz .LBB166_2281
	;; [unrolled: 3-line block ×3, first 2 shown]
; %bb.2278:
	v_cmp_lt_i16_e32 vcc_lo, 9, v9
	s_cbranch_vccz .LBB166_2283
; %bb.2279:
	global_load_b64 v[2:3], v[4:5], off
	s_mov_b32 s0, 0
	s_waitcnt vmcnt(0)
	v_trunc_f64_e32 v[2:3], v[2:3]
	s_delay_alu instid0(VALU_DEP_1) | instskip(NEXT) | instid1(VALU_DEP_1)
	v_ldexp_f64 v[14:15], v[2:3], 0xffffffe0
	v_floor_f64_e32 v[14:15], v[14:15]
	s_delay_alu instid0(VALU_DEP_1) | instskip(NEXT) | instid1(VALU_DEP_1)
	v_fma_f64 v[2:3], 0xc1f00000, v[14:15], v[2:3]
	v_cvt_u32_f64_e32 v2, v[2:3]
	s_branch .LBB166_2284
.LBB166_2280:
	s_mov_b32 s0, -1
                                        ; implicit-def: $vgpr2
	s_branch .LBB166_2302
.LBB166_2281:
	s_mov_b32 s0, -1
                                        ; implicit-def: $vgpr2
	s_branch .LBB166_2290
.LBB166_2282:
	s_mov_b32 s0, -1
                                        ; implicit-def: $vgpr2
	s_branch .LBB166_2287
.LBB166_2283:
	s_mov_b32 s0, -1
                                        ; implicit-def: $vgpr2
.LBB166_2284:
	s_delay_alu instid0(SALU_CYCLE_1)
	s_and_not1_b32 vcc_lo, exec_lo, s0
	s_cbranch_vccnz .LBB166_2286
; %bb.2285:
	global_load_b32 v2, v[4:5], off
	s_waitcnt vmcnt(0)
	v_trunc_f32_e32 v2, v2
	s_delay_alu instid0(VALU_DEP_1) | instskip(NEXT) | instid1(VALU_DEP_1)
	v_mul_f32_e64 v3, 0x2f800000, |v2|
	v_floor_f32_e32 v3, v3
	s_delay_alu instid0(VALU_DEP_1) | instskip(SKIP_1) | instid1(VALU_DEP_2)
	v_fma_f32 v3, 0xcf800000, v3, |v2|
	v_ashrrev_i32_e32 v2, 31, v2
	v_cvt_u32_f32_e32 v3, v3
	s_delay_alu instid0(VALU_DEP_1) | instskip(NEXT) | instid1(VALU_DEP_1)
	v_xor_b32_e32 v3, v3, v2
	v_sub_nc_u32_e32 v2, v3, v2
.LBB166_2286:
	s_mov_b32 s0, 0
.LBB166_2287:
	s_delay_alu instid0(SALU_CYCLE_1)
	s_and_not1_b32 vcc_lo, exec_lo, s0
	s_cbranch_vccnz .LBB166_2289
; %bb.2288:
	global_load_b32 v2, v[4:5], off
	s_waitcnt vmcnt(0)
	v_cvt_f32_f16_e32 v2, v2
	s_delay_alu instid0(VALU_DEP_1)
	v_cvt_i32_f32_e32 v2, v2
.LBB166_2289:
	s_mov_b32 s0, 0
.LBB166_2290:
	s_delay_alu instid0(SALU_CYCLE_1)
	s_and_not1_b32 vcc_lo, exec_lo, s0
	s_cbranch_vccnz .LBB166_2301
; %bb.2291:
	v_cmp_gt_i16_e32 vcc_lo, 6, v9
	s_cbranch_vccnz .LBB166_2294
; %bb.2292:
	v_cmp_lt_i16_e32 vcc_lo, 6, v9
	s_cbranch_vccz .LBB166_2295
; %bb.2293:
	global_load_b64 v[2:3], v[4:5], off
	s_mov_b32 s0, 0
	s_waitcnt vmcnt(0)
	v_trunc_f64_e32 v[2:3], v[2:3]
	s_delay_alu instid0(VALU_DEP_1) | instskip(NEXT) | instid1(VALU_DEP_1)
	v_ldexp_f64 v[14:15], v[2:3], 0xffffffe0
	v_floor_f64_e32 v[14:15], v[14:15]
	s_delay_alu instid0(VALU_DEP_1) | instskip(NEXT) | instid1(VALU_DEP_1)
	v_fma_f64 v[2:3], 0xc1f00000, v[14:15], v[2:3]
	v_cvt_u32_f64_e32 v2, v[2:3]
	s_branch .LBB166_2296
.LBB166_2294:
	s_mov_b32 s0, -1
                                        ; implicit-def: $vgpr2
	s_branch .LBB166_2299
.LBB166_2295:
	s_mov_b32 s0, -1
                                        ; implicit-def: $vgpr2
.LBB166_2296:
	s_delay_alu instid0(SALU_CYCLE_1)
	s_and_not1_b32 vcc_lo, exec_lo, s0
	s_cbranch_vccnz .LBB166_2298
; %bb.2297:
	global_load_b32 v2, v[4:5], off
	s_waitcnt vmcnt(0)
	v_trunc_f32_e32 v2, v2
	s_delay_alu instid0(VALU_DEP_1) | instskip(NEXT) | instid1(VALU_DEP_1)
	v_mul_f32_e64 v3, 0x2f800000, |v2|
	v_floor_f32_e32 v3, v3
	s_delay_alu instid0(VALU_DEP_1) | instskip(SKIP_1) | instid1(VALU_DEP_2)
	v_fma_f32 v3, 0xcf800000, v3, |v2|
	v_ashrrev_i32_e32 v2, 31, v2
	v_cvt_u32_f32_e32 v3, v3
	s_delay_alu instid0(VALU_DEP_1) | instskip(NEXT) | instid1(VALU_DEP_1)
	v_xor_b32_e32 v3, v3, v2
	v_sub_nc_u32_e32 v2, v3, v2
.LBB166_2298:
	s_mov_b32 s0, 0
.LBB166_2299:
	s_delay_alu instid0(SALU_CYCLE_1)
	s_and_not1_b32 vcc_lo, exec_lo, s0
	s_cbranch_vccnz .LBB166_2301
; %bb.2300:
	global_load_u16 v2, v[4:5], off
	s_waitcnt vmcnt(0)
	v_cvt_f32_f16_e32 v2, v2
	s_delay_alu instid0(VALU_DEP_1)
	v_cvt_i32_f32_e32 v2, v2
.LBB166_2301:
	s_mov_b32 s0, 0
.LBB166_2302:
	s_delay_alu instid0(SALU_CYCLE_1)
	s_and_not1_b32 vcc_lo, exec_lo, s0
	s_cbranch_vccnz .LBB166_2322
; %bb.2303:
	v_cmp_gt_i16_e32 vcc_lo, 2, v9
	s_cbranch_vccnz .LBB166_2307
; %bb.2304:
	v_cmp_gt_i16_e32 vcc_lo, 3, v9
	s_cbranch_vccnz .LBB166_2308
; %bb.2305:
	v_cmp_lt_i16_e32 vcc_lo, 3, v9
	s_cbranch_vccz .LBB166_2309
; %bb.2306:
	global_load_b64 v[2:3], v[4:5], off
	s_mov_b32 s0, 0
	s_branch .LBB166_2310
.LBB166_2307:
	s_mov_b32 s0, -1
                                        ; implicit-def: $vgpr2
	s_branch .LBB166_2316
.LBB166_2308:
	s_mov_b32 s0, -1
                                        ; implicit-def: $vgpr2
	s_branch .LBB166_2313
.LBB166_2309:
	s_mov_b32 s0, -1
                                        ; implicit-def: $vgpr2
.LBB166_2310:
	s_delay_alu instid0(SALU_CYCLE_1)
	s_and_not1_b32 vcc_lo, exec_lo, s0
	s_cbranch_vccnz .LBB166_2312
; %bb.2311:
	global_load_b32 v2, v[4:5], off
.LBB166_2312:
	s_mov_b32 s0, 0
.LBB166_2313:
	s_delay_alu instid0(SALU_CYCLE_1)
	s_and_not1_b32 vcc_lo, exec_lo, s0
	s_cbranch_vccnz .LBB166_2315
; %bb.2314:
	global_load_u16 v2, v[4:5], off
.LBB166_2315:
	s_mov_b32 s0, 0
.LBB166_2316:
	s_delay_alu instid0(SALU_CYCLE_1)
	s_and_not1_b32 vcc_lo, exec_lo, s0
	s_cbranch_vccnz .LBB166_2322
; %bb.2317:
	v_cmp_lt_i16_e32 vcc_lo, 0, v9
	s_mov_b32 s0, 0
	s_cbranch_vccz .LBB166_2319
; %bb.2318:
	global_load_u8 v2, v[4:5], off
	s_branch .LBB166_2320
.LBB166_2319:
	s_mov_b32 s0, -1
                                        ; implicit-def: $vgpr2
.LBB166_2320:
	s_delay_alu instid0(SALU_CYCLE_1)
	s_and_not1_b32 vcc_lo, exec_lo, s0
	s_cbranch_vccnz .LBB166_2322
; %bb.2321:
	global_load_u8 v2, v[4:5], off
.LBB166_2322:
	s_mov_b32 s14, -1
.LBB166_2323:
	s_delay_alu instid0(SALU_CYCLE_1)
	s_and_not1_b32 vcc_lo, exec_lo, s14
	s_cbranch_vccnz .LBB166_3021
; %bb.2324:
	s_waitcnt vmcnt(0)
	v_add_nc_u32_e32 v3, s1, v12
	v_cmp_gt_i16_e32 vcc_lo, 11, v6
	s_delay_alu instid0(VALU_DEP_2) | instskip(SKIP_1) | instid1(VALU_DEP_1)
	v_ashrrev_i32_e32 v4, 31, v3
	v_add_co_u32 v3, s0, s6, v3
	v_add_co_ci_u32_e64 v4, s0, s7, v4, s0
	s_cbranch_vccnz .LBB166_2331
; %bb.2325:
	v_cmp_lt_i16_e32 vcc_lo, 25, v6
	s_mov_b32 s1, 0
	s_cbranch_vccz .LBB166_2332
; %bb.2326:
	v_cmp_lt_i16_e32 vcc_lo, 28, v6
	s_cbranch_vccz .LBB166_2333
; %bb.2327:
	v_cmp_lt_i16_e32 vcc_lo, 43, v6
	s_cbranch_vccz .LBB166_2334
; %bb.2328:
	v_cmp_lt_i16_e32 vcc_lo, 45, v6
	s_cbranch_vccz .LBB166_2337
; %bb.2329:
	v_cmp_eq_u16_e32 vcc_lo, 46, v6
	s_mov_b32 s7, 0
	s_cbranch_vccz .LBB166_2340
; %bb.2330:
	global_load_b32 v5, v[3:4], off
	s_mov_b32 s0, 0
	s_mov_b32 s6, -1
	s_waitcnt vmcnt(0)
	v_lshlrev_b32_e32 v5, 16, v5
	s_delay_alu instid0(VALU_DEP_1)
	v_cvt_f16_f32_e32 v12, v5
	s_branch .LBB166_2342
.LBB166_2331:
	s_mov_b32 s0, -1
	s_mov_b32 s6, 0
                                        ; implicit-def: $vgpr12
	s_branch .LBB166_2408
.LBB166_2332:
	s_mov_b32 s7, -1
	s_mov_b32 s6, 0
	s_mov_b32 s0, 0
                                        ; implicit-def: $vgpr12
	s_branch .LBB166_2371
.LBB166_2333:
	s_mov_b32 s7, -1
	s_mov_b32 s6, 0
	s_mov_b32 s0, 0
                                        ; implicit-def: $vgpr12
	s_branch .LBB166_2352
.LBB166_2334:
	s_mov_b32 s7, -1
	s_mov_b32 s6, 0
	s_mov_b32 s0, 0
                                        ; implicit-def: $vgpr12
	s_branch .LBB166_2347
.LBB166_2335:
	s_cbranch_execnz .LBB166_2338
; %bb.2336:
	s_or_b32 s13, s13, exec_lo
                                        ; implicit-def: $vgpr2
	s_cbranch_execz .LBB166_2272
	s_branch .LBB166_2273
.LBB166_2337:
	s_mov_b32 s7, -1
	s_mov_b32 s6, 0
	s_mov_b32 s0, 0
	s_branch .LBB166_2341
.LBB166_2338:
	s_trap 2
	s_sendmsg_rtn_b32 s0, sendmsg(MSG_RTN_GET_DOORBELL)
	s_mov_b32 ttmp2, m0
	s_waitcnt lgkmcnt(0)
	s_and_b32 s0, s0, 0x3ff
	s_delay_alu instid0(SALU_CYCLE_1) | instskip(NEXT) | instid1(SALU_CYCLE_1)
	s_bitset1_b32 s0, 10
	s_mov_b32 m0, s0
	s_sendmsg sendmsg(MSG_INTERRUPT)
	s_mov_b32 m0, ttmp2
.LBB166_2339:                           ; =>This Inner Loop Header: Depth=1
	s_sethalt 5
	s_branch .LBB166_2339
.LBB166_2340:
	s_mov_b32 s0, -1
	s_mov_b32 s6, 0
.LBB166_2341:
                                        ; implicit-def: $vgpr12
.LBB166_2342:
	s_and_b32 vcc_lo, exec_lo, s7
	s_cbranch_vccz .LBB166_2346
; %bb.2343:
	v_cmp_eq_u16_e32 vcc_lo, 44, v6
	s_cbranch_vccz .LBB166_2345
; %bb.2344:
	global_load_u8 v5, v[3:4], off
	s_mov_b32 s0, 0
	s_mov_b32 s6, -1
	s_waitcnt vmcnt(0)
	v_lshlrev_b32_e32 v12, 23, v5
	v_cmp_ne_u32_e32 vcc_lo, 0xff, v5
	s_delay_alu instid0(VALU_DEP_2) | instskip(NEXT) | instid1(VALU_DEP_1)
	v_cvt_f16_f32_e32 v12, v12
	v_cndmask_b32_e32 v12, 0x7e00, v12, vcc_lo
	v_cmp_ne_u32_e32 vcc_lo, 0, v5
	s_delay_alu instid0(VALU_DEP_2)
	v_cndmask_b32_e32 v12, 0, v12, vcc_lo
	s_branch .LBB166_2346
.LBB166_2345:
	s_mov_b32 s0, -1
                                        ; implicit-def: $vgpr12
.LBB166_2346:
	s_mov_b32 s7, 0
.LBB166_2347:
	s_delay_alu instid0(SALU_CYCLE_1)
	s_and_b32 vcc_lo, exec_lo, s7
	s_cbranch_vccz .LBB166_2351
; %bb.2348:
	v_cmp_eq_u16_e32 vcc_lo, 29, v6
	s_cbranch_vccz .LBB166_2350
; %bb.2349:
	global_load_b64 v[14:15], v[3:4], off
	s_mov_b32 s0, 0
	s_mov_b32 s6, -1
	s_mov_b32 s7, 0
	s_waitcnt vmcnt(0)
	v_clz_i32_u32_e32 v5, v15
	s_delay_alu instid0(VALU_DEP_1) | instskip(NEXT) | instid1(VALU_DEP_1)
	v_min_u32_e32 v5, 32, v5
	v_lshlrev_b64 v[14:15], v5, v[14:15]
	v_sub_nc_u32_e32 v5, 32, v5
	s_delay_alu instid0(VALU_DEP_2) | instskip(NEXT) | instid1(VALU_DEP_1)
	v_min_u32_e32 v12, 1, v14
	v_or_b32_e32 v12, v15, v12
	s_delay_alu instid0(VALU_DEP_1) | instskip(NEXT) | instid1(VALU_DEP_1)
	v_cvt_f32_u32_e32 v12, v12
	v_ldexp_f32 v5, v12, v5
	s_delay_alu instid0(VALU_DEP_1)
	v_cvt_f16_f32_e32 v12, v5
	s_branch .LBB166_2352
.LBB166_2350:
	s_mov_b32 s0, -1
                                        ; implicit-def: $vgpr12
.LBB166_2351:
	s_mov_b32 s7, 0
.LBB166_2352:
	s_delay_alu instid0(SALU_CYCLE_1)
	s_and_b32 vcc_lo, exec_lo, s7
	s_cbranch_vccz .LBB166_2370
; %bb.2353:
	v_cmp_gt_i16_e32 vcc_lo, 27, v6
	s_cbranch_vccnz .LBB166_2356
; %bb.2354:
	v_cmp_lt_i16_e32 vcc_lo, 27, v6
	s_cbranch_vccz .LBB166_2357
; %bb.2355:
	global_load_b32 v5, v[3:4], off
	s_mov_b32 s6, 0
	s_waitcnt vmcnt(0)
	v_cvt_f32_u32_e32 v5, v5
	s_delay_alu instid0(VALU_DEP_1)
	v_cvt_f16_f32_e32 v12, v5
	s_branch .LBB166_2358
.LBB166_2356:
	s_mov_b32 s6, -1
                                        ; implicit-def: $vgpr12
	s_branch .LBB166_2361
.LBB166_2357:
	s_mov_b32 s6, -1
                                        ; implicit-def: $vgpr12
.LBB166_2358:
	s_delay_alu instid0(SALU_CYCLE_1)
	s_and_not1_b32 vcc_lo, exec_lo, s6
	s_cbranch_vccnz .LBB166_2360
; %bb.2359:
	global_load_u16 v5, v[3:4], off
	s_waitcnt vmcnt(0)
	v_cvt_f16_u16_e32 v12, v5
.LBB166_2360:
	s_mov_b32 s6, 0
.LBB166_2361:
	s_delay_alu instid0(SALU_CYCLE_1)
	s_and_not1_b32 vcc_lo, exec_lo, s6
	s_cbranch_vccnz .LBB166_2369
; %bb.2362:
	global_load_u8 v5, v[3:4], off
	s_mov_b32 s6, 0
	s_mov_b32 s10, exec_lo
                                        ; implicit-def: $sgpr7
	s_waitcnt vmcnt(0)
	v_cmpx_lt_i16_e32 0x7f, v5
	s_xor_b32 s10, exec_lo, s10
	s_cbranch_execz .LBB166_2383
; %bb.2363:
	s_mov_b32 s6, -1
	s_mov_b32 s14, exec_lo
                                        ; implicit-def: $sgpr7
	v_cmpx_eq_u16_e32 0x80, v5
; %bb.2364:
	s_movk_i32 s7, 0x7e00
	s_xor_b32 s6, exec_lo, -1
; %bb.2365:
	s_or_b32 exec_lo, exec_lo, s14
	s_delay_alu instid0(SALU_CYCLE_1)
	s_and_b32 s6, s6, exec_lo
	s_or_saveexec_b32 s10, s10
	v_mov_b32_e32 v12, s7
	s_xor_b32 exec_lo, exec_lo, s10
	s_cbranch_execnz .LBB166_2384
.LBB166_2366:
	s_or_b32 exec_lo, exec_lo, s10
	s_and_saveexec_b32 s7, s6
	s_cbranch_execz .LBB166_2368
.LBB166_2367:
	v_and_b32_e32 v12, 0xffff, v5
	s_delay_alu instid0(VALU_DEP_1) | instskip(NEXT) | instid1(VALU_DEP_1)
	v_and_b32_e32 v14, 7, v12
	v_clz_i32_u32_e32 v15, v14
	s_delay_alu instid0(VALU_DEP_1) | instskip(NEXT) | instid1(VALU_DEP_1)
	v_min_u32_e32 v15, 32, v15
	v_subrev_nc_u32_e32 v16, 28, v15
	v_sub_nc_u32_e32 v15, 29, v15
	s_delay_alu instid0(VALU_DEP_2) | instskip(SKIP_1) | instid1(VALU_DEP_2)
	v_lshlrev_b32_e32 v16, v16, v12
	v_bfe_u32 v12, v12, 3, 4
	v_and_b32_e32 v16, 7, v16
	s_delay_alu instid0(VALU_DEP_2) | instskip(SKIP_1) | instid1(VALU_DEP_1)
	v_cmp_eq_u32_e32 vcc_lo, 0, v12
	v_dual_cndmask_b32 v12, v12, v15 :: v_dual_lshlrev_b32 v5, 24, v5
	v_dual_cndmask_b32 v14, v14, v16 :: v_dual_and_b32 v5, 0x80000000, v5
	s_delay_alu instid0(VALU_DEP_2) | instskip(NEXT) | instid1(VALU_DEP_2)
	v_lshl_add_u32 v12, v12, 23, 0x3b800000
	v_lshlrev_b32_e32 v14, 20, v14
	s_delay_alu instid0(VALU_DEP_1) | instskip(NEXT) | instid1(VALU_DEP_1)
	v_or3_b32 v5, v5, v12, v14
	v_cvt_f16_f32_e32 v12, v5
.LBB166_2368:
	s_or_b32 exec_lo, exec_lo, s7
.LBB166_2369:
	s_mov_b32 s6, -1
.LBB166_2370:
	s_mov_b32 s7, 0
.LBB166_2371:
	s_delay_alu instid0(SALU_CYCLE_1)
	s_and_b32 vcc_lo, exec_lo, s7
	s_cbranch_vccz .LBB166_2404
; %bb.2372:
	v_cmp_lt_i16_e32 vcc_lo, 22, v6
	s_cbranch_vccz .LBB166_2382
; %bb.2373:
	v_cmp_gt_i16_e32 vcc_lo, 24, v6
	s_cbranch_vccnz .LBB166_2385
; %bb.2374:
	v_cmp_lt_i16_e32 vcc_lo, 24, v6
	s_cbranch_vccz .LBB166_2386
; %bb.2375:
	global_load_u8 v5, v[3:4], off
	s_mov_b32 s7, exec_lo
                                        ; implicit-def: $sgpr6
	s_waitcnt vmcnt(0)
	v_cmpx_lt_i16_e32 0x7f, v5
	s_xor_b32 s7, exec_lo, s7
	s_cbranch_execz .LBB166_2398
; %bb.2376:
	s_mov_b32 s1, -1
	s_mov_b32 s10, exec_lo
                                        ; implicit-def: $sgpr6
	v_cmpx_eq_u16_e32 0x80, v5
; %bb.2377:
	s_movk_i32 s6, 0x7e00
	s_xor_b32 s1, exec_lo, -1
; %bb.2378:
	s_or_b32 exec_lo, exec_lo, s10
	s_delay_alu instid0(SALU_CYCLE_1)
	s_and_b32 s1, s1, exec_lo
	s_or_saveexec_b32 s7, s7
	v_mov_b32_e32 v12, s6
	s_xor_b32 exec_lo, exec_lo, s7
	s_cbranch_execnz .LBB166_2399
.LBB166_2379:
	s_or_b32 exec_lo, exec_lo, s7
	s_and_saveexec_b32 s6, s1
	s_cbranch_execz .LBB166_2381
.LBB166_2380:
	v_and_b32_e32 v12, 0xffff, v5
	s_delay_alu instid0(VALU_DEP_1) | instskip(NEXT) | instid1(VALU_DEP_1)
	v_and_b32_e32 v14, 3, v12
	v_clz_i32_u32_e32 v15, v14
	s_delay_alu instid0(VALU_DEP_1) | instskip(NEXT) | instid1(VALU_DEP_1)
	v_min_u32_e32 v15, 32, v15
	v_subrev_nc_u32_e32 v16, 29, v15
	v_sub_nc_u32_e32 v15, 30, v15
	s_delay_alu instid0(VALU_DEP_2) | instskip(SKIP_1) | instid1(VALU_DEP_2)
	v_lshlrev_b32_e32 v16, v16, v12
	v_bfe_u32 v12, v12, 2, 5
	v_and_b32_e32 v16, 3, v16
	s_delay_alu instid0(VALU_DEP_2) | instskip(SKIP_1) | instid1(VALU_DEP_1)
	v_cmp_eq_u32_e32 vcc_lo, 0, v12
	v_dual_cndmask_b32 v12, v12, v15 :: v_dual_lshlrev_b32 v5, 24, v5
	v_dual_cndmask_b32 v14, v14, v16 :: v_dual_and_b32 v5, 0x80000000, v5
	s_delay_alu instid0(VALU_DEP_2) | instskip(NEXT) | instid1(VALU_DEP_2)
	v_lshl_add_u32 v12, v12, 23, 0x37800000
	v_lshlrev_b32_e32 v14, 21, v14
	s_delay_alu instid0(VALU_DEP_1) | instskip(NEXT) | instid1(VALU_DEP_1)
	v_or3_b32 v5, v5, v12, v14
	v_cvt_f16_f32_e32 v12, v5
.LBB166_2381:
	s_or_b32 exec_lo, exec_lo, s6
	s_mov_b32 s1, 0
	s_branch .LBB166_2387
.LBB166_2382:
	s_mov_b32 s1, -1
                                        ; implicit-def: $vgpr12
	s_branch .LBB166_2393
.LBB166_2383:
	s_or_saveexec_b32 s10, s10
	v_mov_b32_e32 v12, s7
	s_xor_b32 exec_lo, exec_lo, s10
	s_cbranch_execz .LBB166_2366
.LBB166_2384:
	v_cmp_ne_u16_e32 vcc_lo, 0, v5
	v_mov_b32_e32 v12, v5
	s_and_not1_b32 s6, s6, exec_lo
	s_and_b32 s7, vcc_lo, exec_lo
	s_delay_alu instid0(SALU_CYCLE_1)
	s_or_b32 s6, s6, s7
	s_or_b32 exec_lo, exec_lo, s10
	s_and_saveexec_b32 s7, s6
	s_cbranch_execnz .LBB166_2367
	s_branch .LBB166_2368
.LBB166_2385:
	s_mov_b32 s1, -1
                                        ; implicit-def: $vgpr12
	s_branch .LBB166_2390
.LBB166_2386:
	s_mov_b32 s1, -1
                                        ; implicit-def: $vgpr12
.LBB166_2387:
	s_delay_alu instid0(SALU_CYCLE_1)
	s_and_b32 vcc_lo, exec_lo, s1
	s_cbranch_vccz .LBB166_2389
; %bb.2388:
	global_load_u8 v5, v[3:4], off
	s_waitcnt vmcnt(0)
	v_lshlrev_b32_e32 v5, 24, v5
	s_delay_alu instid0(VALU_DEP_1) | instskip(NEXT) | instid1(VALU_DEP_1)
	v_and_b32_e32 v12, 0x7f000000, v5
	v_clz_i32_u32_e32 v14, v12
	v_add_nc_u32_e32 v16, 0x1000000, v12
	v_cmp_ne_u32_e32 vcc_lo, 0, v12
	s_delay_alu instid0(VALU_DEP_3) | instskip(NEXT) | instid1(VALU_DEP_1)
	v_min_u32_e32 v14, 32, v14
	v_sub_nc_u32_e64 v14, v14, 4 clamp
	s_delay_alu instid0(VALU_DEP_1) | instskip(SKIP_1) | instid1(VALU_DEP_2)
	v_lshlrev_b32_e32 v15, v14, v12
	v_lshlrev_b32_e32 v14, 23, v14
	v_lshrrev_b32_e32 v15, 4, v15
	s_delay_alu instid0(VALU_DEP_1) | instskip(SKIP_1) | instid1(VALU_DEP_2)
	v_sub_nc_u32_e32 v14, v15, v14
	v_ashrrev_i32_e32 v15, 8, v16
	v_add_nc_u32_e32 v14, 0x3c000000, v14
	s_delay_alu instid0(VALU_DEP_1) | instskip(NEXT) | instid1(VALU_DEP_1)
	v_and_or_b32 v14, 0x7f800000, v15, v14
	v_cndmask_b32_e32 v12, 0, v14, vcc_lo
	s_delay_alu instid0(VALU_DEP_1) | instskip(NEXT) | instid1(VALU_DEP_1)
	v_and_or_b32 v5, 0x80000000, v5, v12
	v_cvt_f16_f32_e32 v12, v5
.LBB166_2389:
	s_mov_b32 s1, 0
.LBB166_2390:
	s_delay_alu instid0(SALU_CYCLE_1)
	s_and_not1_b32 vcc_lo, exec_lo, s1
	s_cbranch_vccnz .LBB166_2392
; %bb.2391:
	global_load_u8 v5, v[3:4], off
	s_waitcnt vmcnt(0)
	v_lshlrev_b32_e32 v12, 25, v5
	v_lshlrev_b16 v5, 8, v5
	s_delay_alu instid0(VALU_DEP_1) | instskip(SKIP_1) | instid1(VALU_DEP_2)
	v_and_or_b32 v15, 0x7f00, v5, 0.5
	v_bfe_i32 v5, v5, 0, 16
	v_add_f32_e32 v15, -0.5, v15
	v_lshrrev_b32_e32 v14, 4, v12
	v_cmp_gt_u32_e32 vcc_lo, 0x8000000, v12
	s_delay_alu instid0(VALU_DEP_2) | instskip(NEXT) | instid1(VALU_DEP_1)
	v_or_b32_e32 v14, 0x70000000, v14
	v_mul_f32_e32 v14, 0x7800000, v14
	s_delay_alu instid0(VALU_DEP_1) | instskip(NEXT) | instid1(VALU_DEP_1)
	v_cndmask_b32_e32 v12, v14, v15, vcc_lo
	v_and_or_b32 v5, 0x80000000, v5, v12
	s_delay_alu instid0(VALU_DEP_1)
	v_cvt_f16_f32_e32 v12, v5
.LBB166_2392:
	s_mov_b32 s1, 0
	s_mov_b32 s6, -1
.LBB166_2393:
	s_and_not1_b32 vcc_lo, exec_lo, s1
	s_mov_b32 s1, 0
	s_cbranch_vccnz .LBB166_2404
; %bb.2394:
	v_cmp_lt_i16_e32 vcc_lo, 14, v6
	s_cbranch_vccz .LBB166_2397
; %bb.2395:
	v_cmp_eq_u16_e32 vcc_lo, 15, v6
	s_cbranch_vccz .LBB166_2400
; %bb.2396:
	global_load_u16 v5, v[3:4], off
	s_mov_b32 s0, 0
	s_mov_b32 s6, -1
	s_waitcnt vmcnt(0)
	v_lshlrev_b32_e32 v5, 16, v5
	s_delay_alu instid0(VALU_DEP_1)
	v_cvt_f16_f32_e32 v12, v5
	s_branch .LBB166_2402
.LBB166_2397:
	s_mov_b32 s1, -1
	s_branch .LBB166_2401
.LBB166_2398:
	s_or_saveexec_b32 s7, s7
	v_mov_b32_e32 v12, s6
	s_xor_b32 exec_lo, exec_lo, s7
	s_cbranch_execz .LBB166_2379
.LBB166_2399:
	v_cmp_ne_u16_e32 vcc_lo, 0, v5
	v_mov_b32_e32 v12, v5
	s_and_not1_b32 s1, s1, exec_lo
	s_and_b32 s6, vcc_lo, exec_lo
	s_delay_alu instid0(SALU_CYCLE_1)
	s_or_b32 s1, s1, s6
	s_or_b32 exec_lo, exec_lo, s7
	s_and_saveexec_b32 s6, s1
	s_cbranch_execnz .LBB166_2380
	s_branch .LBB166_2381
.LBB166_2400:
	s_mov_b32 s0, -1
.LBB166_2401:
                                        ; implicit-def: $vgpr12
.LBB166_2402:
	s_and_b32 vcc_lo, exec_lo, s1
	s_mov_b32 s1, 0
	s_cbranch_vccz .LBB166_2404
; %bb.2403:
	v_cmp_ne_u16_e64 s0, 11, v6
	s_mov_b32 s1, -1
                                        ; implicit-def: $vgpr12
.LBB166_2404:
	s_delay_alu instid0(VALU_DEP_1)
	s_and_b32 vcc_lo, exec_lo, s0
	s_cbranch_vccnz .LBB166_2469
; %bb.2405:
	s_and_not1_b32 vcc_lo, exec_lo, s1
	s_cbranch_vccnz .LBB166_2407
.LBB166_2406:
	global_load_u8 v5, v[3:4], off
	s_mov_b32 s6, -1
	s_waitcnt vmcnt(0)
	v_cmp_ne_u16_e32 vcc_lo, 0, v5
	v_cndmask_b32_e64 v12, 0, 0x3c00, vcc_lo
.LBB166_2407:
	s_mov_b32 s0, 0
.LBB166_2408:
	s_delay_alu instid0(SALU_CYCLE_1)
	s_and_b32 vcc_lo, exec_lo, s0
	s_cbranch_vccz .LBB166_2457
; %bb.2409:
	v_cmp_gt_i16_e32 vcc_lo, 5, v6
	s_cbranch_vccnz .LBB166_2414
; %bb.2410:
	v_cmp_gt_i16_e32 vcc_lo, 8, v6
	s_cbranch_vccnz .LBB166_2415
; %bb.2411:
	v_cmp_gt_i16_e32 vcc_lo, 9, v6
	s_cbranch_vccnz .LBB166_2416
; %bb.2412:
	v_cmp_lt_i16_e32 vcc_lo, 9, v6
	s_cbranch_vccz .LBB166_2417
; %bb.2413:
	global_load_b64 v[14:15], v[3:4], off
	s_mov_b32 s0, 0
	s_waitcnt vmcnt(0)
	v_cvt_f32_f64_e32 v5, v[14:15]
	s_delay_alu instid0(VALU_DEP_1)
	v_cvt_f16_f32_e32 v12, v5
	s_branch .LBB166_2418
.LBB166_2414:
	s_mov_b32 s0, -1
                                        ; implicit-def: $vgpr12
	s_branch .LBB166_2436
.LBB166_2415:
	s_mov_b32 s0, -1
                                        ; implicit-def: $vgpr12
	s_branch .LBB166_2424
.LBB166_2416:
	s_mov_b32 s0, -1
                                        ; implicit-def: $vgpr12
	s_branch .LBB166_2421
.LBB166_2417:
	s_mov_b32 s0, -1
                                        ; implicit-def: $vgpr12
.LBB166_2418:
	s_delay_alu instid0(SALU_CYCLE_1)
	s_and_not1_b32 vcc_lo, exec_lo, s0
	s_cbranch_vccnz .LBB166_2420
; %bb.2419:
	global_load_b32 v5, v[3:4], off
	s_waitcnt vmcnt(0)
	v_cvt_f16_f32_e32 v12, v5
.LBB166_2420:
	s_mov_b32 s0, 0
.LBB166_2421:
	s_delay_alu instid0(SALU_CYCLE_1)
	s_and_not1_b32 vcc_lo, exec_lo, s0
	s_cbranch_vccnz .LBB166_2423
; %bb.2422:
	global_load_b32 v12, v[3:4], off
.LBB166_2423:
	s_mov_b32 s0, 0
.LBB166_2424:
	s_delay_alu instid0(SALU_CYCLE_1)
	s_and_not1_b32 vcc_lo, exec_lo, s0
	s_cbranch_vccnz .LBB166_2435
; %bb.2425:
	v_cmp_gt_i16_e32 vcc_lo, 6, v6
	s_cbranch_vccnz .LBB166_2428
; %bb.2426:
	v_cmp_lt_i16_e32 vcc_lo, 6, v6
	s_cbranch_vccz .LBB166_2429
; %bb.2427:
	global_load_b64 v[14:15], v[3:4], off
	s_mov_b32 s0, 0
	s_waitcnt vmcnt(0)
	v_cvt_f32_f64_e32 v5, v[14:15]
	s_delay_alu instid0(VALU_DEP_1)
	v_cvt_f16_f32_e32 v12, v5
	s_branch .LBB166_2430
.LBB166_2428:
	s_mov_b32 s0, -1
                                        ; implicit-def: $vgpr12
	s_branch .LBB166_2433
.LBB166_2429:
	s_mov_b32 s0, -1
                                        ; implicit-def: $vgpr12
.LBB166_2430:
	s_delay_alu instid0(SALU_CYCLE_1)
	s_and_not1_b32 vcc_lo, exec_lo, s0
	s_cbranch_vccnz .LBB166_2432
; %bb.2431:
	global_load_b32 v5, v[3:4], off
	s_waitcnt vmcnt(0)
	v_cvt_f16_f32_e32 v12, v5
.LBB166_2432:
	s_mov_b32 s0, 0
.LBB166_2433:
	s_delay_alu instid0(SALU_CYCLE_1)
	s_and_not1_b32 vcc_lo, exec_lo, s0
	s_cbranch_vccnz .LBB166_2435
; %bb.2434:
	global_load_u16 v12, v[3:4], off
.LBB166_2435:
	s_mov_b32 s0, 0
.LBB166_2436:
	s_delay_alu instid0(SALU_CYCLE_1)
	s_and_not1_b32 vcc_lo, exec_lo, s0
	s_cbranch_vccnz .LBB166_2456
; %bb.2437:
	v_cmp_gt_i16_e32 vcc_lo, 2, v6
	s_cbranch_vccnz .LBB166_2441
; %bb.2438:
	v_cmp_gt_i16_e32 vcc_lo, 3, v6
	s_cbranch_vccnz .LBB166_2442
; %bb.2439:
	v_cmp_lt_i16_e32 vcc_lo, 3, v6
	s_cbranch_vccz .LBB166_2443
; %bb.2440:
	global_load_b64 v[14:15], v[3:4], off
	s_mov_b32 s0, 0
	s_waitcnt vmcnt(0)
	v_xor_b32_e32 v5, v14, v15
	v_cls_i32_e32 v12, v15
	s_delay_alu instid0(VALU_DEP_2) | instskip(NEXT) | instid1(VALU_DEP_2)
	v_ashrrev_i32_e32 v5, 31, v5
	v_add_nc_u32_e32 v12, -1, v12
	s_delay_alu instid0(VALU_DEP_2) | instskip(NEXT) | instid1(VALU_DEP_1)
	v_add_nc_u32_e32 v5, 32, v5
	v_min_u32_e32 v5, v12, v5
	s_delay_alu instid0(VALU_DEP_1) | instskip(SKIP_1) | instid1(VALU_DEP_2)
	v_lshlrev_b64 v[14:15], v5, v[14:15]
	v_sub_nc_u32_e32 v5, 32, v5
	v_min_u32_e32 v12, 1, v14
	s_delay_alu instid0(VALU_DEP_1) | instskip(NEXT) | instid1(VALU_DEP_1)
	v_or_b32_e32 v12, v15, v12
	v_cvt_f32_i32_e32 v12, v12
	s_delay_alu instid0(VALU_DEP_1) | instskip(NEXT) | instid1(VALU_DEP_1)
	v_ldexp_f32 v5, v12, v5
	v_cvt_f16_f32_e32 v12, v5
	s_branch .LBB166_2444
.LBB166_2441:
	s_mov_b32 s0, -1
                                        ; implicit-def: $vgpr12
	s_branch .LBB166_2450
.LBB166_2442:
	s_mov_b32 s0, -1
                                        ; implicit-def: $vgpr12
	s_branch .LBB166_2447
.LBB166_2443:
	s_mov_b32 s0, -1
                                        ; implicit-def: $vgpr12
.LBB166_2444:
	s_delay_alu instid0(SALU_CYCLE_1)
	s_and_not1_b32 vcc_lo, exec_lo, s0
	s_cbranch_vccnz .LBB166_2446
; %bb.2445:
	global_load_b32 v5, v[3:4], off
	s_waitcnt vmcnt(0)
	v_cvt_f32_i32_e32 v5, v5
	s_delay_alu instid0(VALU_DEP_1)
	v_cvt_f16_f32_e32 v12, v5
.LBB166_2446:
	s_mov_b32 s0, 0
.LBB166_2447:
	s_delay_alu instid0(SALU_CYCLE_1)
	s_and_not1_b32 vcc_lo, exec_lo, s0
	s_cbranch_vccnz .LBB166_2449
; %bb.2448:
	global_load_u16 v5, v[3:4], off
	s_waitcnt vmcnt(0)
	v_cvt_f16_i16_e32 v12, v5
.LBB166_2449:
	s_mov_b32 s0, 0
.LBB166_2450:
	s_delay_alu instid0(SALU_CYCLE_1)
	s_and_not1_b32 vcc_lo, exec_lo, s0
	s_cbranch_vccnz .LBB166_2456
; %bb.2451:
	v_cmp_lt_i16_e32 vcc_lo, 0, v6
	s_mov_b32 s0, 0
	s_cbranch_vccz .LBB166_2453
; %bb.2452:
	global_load_i8 v5, v[3:4], off
	s_waitcnt vmcnt(0)
	v_cvt_f16_i16_e32 v12, v5
	s_branch .LBB166_2454
.LBB166_2453:
	s_mov_b32 s0, -1
                                        ; implicit-def: $vgpr12
.LBB166_2454:
	s_delay_alu instid0(SALU_CYCLE_1)
	s_and_not1_b32 vcc_lo, exec_lo, s0
	s_cbranch_vccnz .LBB166_2456
; %bb.2455:
	global_load_u8 v3, v[3:4], off
	s_waitcnt vmcnt(0)
	v_cvt_f16_u16_e32 v12, v3
.LBB166_2456:
	s_mov_b32 s6, -1
.LBB166_2457:
	s_delay_alu instid0(SALU_CYCLE_1)
	s_and_not1_b32 vcc_lo, exec_lo, s6
	s_cbranch_vccnz .LBB166_3021
; %bb.2458:
	v_add_nc_u32_e32 v3, s9, v13
	v_cmp_gt_i16_e32 vcc_lo, 11, v9
	s_delay_alu instid0(VALU_DEP_2) | instskip(SKIP_1) | instid1(VALU_DEP_1)
	v_ashrrev_i32_e32 v4, 31, v3
	v_add_co_u32 v5, s0, s2, v3
	v_add_co_ci_u32_e64 v6, s0, s3, v4, s0
	s_cbranch_vccnz .LBB166_2465
; %bb.2459:
	v_cmp_lt_i16_e32 vcc_lo, 25, v9
	s_mov_b32 s1, 0
	s_cbranch_vccz .LBB166_2466
; %bb.2460:
	v_cmp_lt_i16_e32 vcc_lo, 28, v9
	s_cbranch_vccz .LBB166_2467
; %bb.2461:
	v_cmp_lt_i16_e32 vcc_lo, 43, v9
	;; [unrolled: 3-line block ×3, first 2 shown]
	s_cbranch_vccz .LBB166_2471
; %bb.2463:
	v_cmp_eq_u16_e32 vcc_lo, 46, v9
	s_mov_b32 s3, 0
	s_cbranch_vccz .LBB166_2474
; %bb.2464:
	global_load_b32 v3, v[5:6], off
	s_mov_b32 s0, 0
	s_mov_b32 s2, -1
	s_waitcnt vmcnt(0)
	v_lshlrev_b32_e32 v3, 16, v3
	s_delay_alu instid0(VALU_DEP_1) | instskip(NEXT) | instid1(VALU_DEP_1)
	v_trunc_f32_e32 v3, v3
	v_mul_f32_e64 v4, 0x2f800000, |v3|
	s_delay_alu instid0(VALU_DEP_1) | instskip(NEXT) | instid1(VALU_DEP_1)
	v_floor_f32_e32 v4, v4
	v_fma_f32 v4, 0xcf800000, v4, |v3|
	v_ashrrev_i32_e32 v3, 31, v3
	s_delay_alu instid0(VALU_DEP_2) | instskip(NEXT) | instid1(VALU_DEP_1)
	v_cvt_u32_f32_e32 v4, v4
	v_xor_b32_e32 v4, v4, v3
	s_delay_alu instid0(VALU_DEP_1)
	v_sub_nc_u32_e32 v3, v4, v3
	s_branch .LBB166_2476
.LBB166_2465:
	s_mov_b32 s0, -1
	s_mov_b32 s2, 0
                                        ; implicit-def: $vgpr3
	s_branch .LBB166_2538
.LBB166_2466:
	s_mov_b32 s3, -1
	s_mov_b32 s2, 0
	s_mov_b32 s0, 0
                                        ; implicit-def: $vgpr3
	s_branch .LBB166_2503
.LBB166_2467:
	s_mov_b32 s3, -1
	s_mov_b32 s2, 0
	s_mov_b32 s0, 0
                                        ; implicit-def: $vgpr3
	s_branch .LBB166_2486
.LBB166_2468:
	s_mov_b32 s3, -1
	s_mov_b32 s2, 0
	s_mov_b32 s0, 0
                                        ; implicit-def: $vgpr3
	s_branch .LBB166_2481
.LBB166_2469:
	s_cbranch_execnz .LBB166_2472
; %bb.2470:
	s_or_b32 s13, s13, exec_lo
                                        ; implicit-def: $vgpr12
	s_cbranch_execz .LBB166_2406
	s_branch .LBB166_2407
.LBB166_2471:
	s_mov_b32 s3, -1
	s_mov_b32 s2, 0
	s_mov_b32 s0, 0
	s_branch .LBB166_2475
.LBB166_2472:
	s_trap 2
	s_sendmsg_rtn_b32 s0, sendmsg(MSG_RTN_GET_DOORBELL)
	s_mov_b32 ttmp2, m0
	s_waitcnt lgkmcnt(0)
	s_and_b32 s0, s0, 0x3ff
	s_delay_alu instid0(SALU_CYCLE_1) | instskip(NEXT) | instid1(SALU_CYCLE_1)
	s_bitset1_b32 s0, 10
	s_mov_b32 m0, s0
	s_sendmsg sendmsg(MSG_INTERRUPT)
	s_mov_b32 m0, ttmp2
.LBB166_2473:                           ; =>This Inner Loop Header: Depth=1
	s_sethalt 5
	s_branch .LBB166_2473
.LBB166_2474:
	s_mov_b32 s0, -1
	s_mov_b32 s2, 0
.LBB166_2475:
                                        ; implicit-def: $vgpr3
.LBB166_2476:
	s_and_b32 vcc_lo, exec_lo, s3
	s_cbranch_vccz .LBB166_2480
; %bb.2477:
	v_cmp_eq_u16_e32 vcc_lo, 44, v9
	s_cbranch_vccz .LBB166_2479
; %bb.2478:
	global_load_u8 v3, v[5:6], off
	s_mov_b32 s0, 0
	s_mov_b32 s2, -1
	s_waitcnt vmcnt(0)
	v_lshlrev_b32_e32 v4, 23, v3
	v_cmp_ne_u32_e32 vcc_lo, 0, v3
	s_delay_alu instid0(VALU_DEP_2) | instskip(NEXT) | instid1(VALU_DEP_1)
	v_trunc_f32_e32 v4, v4
	v_mul_f32_e64 v13, 0x2f800000, |v4|
	s_delay_alu instid0(VALU_DEP_1) | instskip(NEXT) | instid1(VALU_DEP_1)
	v_floor_f32_e32 v13, v13
	v_fma_f32 v13, 0xcf800000, v13, |v4|
	v_ashrrev_i32_e32 v4, 31, v4
	s_delay_alu instid0(VALU_DEP_2) | instskip(NEXT) | instid1(VALU_DEP_1)
	v_cvt_u32_f32_e32 v13, v13
	v_xor_b32_e32 v13, v13, v4
	s_delay_alu instid0(VALU_DEP_1) | instskip(NEXT) | instid1(VALU_DEP_1)
	v_sub_nc_u32_e32 v4, v13, v4
	v_cndmask_b32_e32 v3, 0, v4, vcc_lo
	s_branch .LBB166_2480
.LBB166_2479:
	s_mov_b32 s0, -1
                                        ; implicit-def: $vgpr3
.LBB166_2480:
	s_mov_b32 s3, 0
.LBB166_2481:
	s_delay_alu instid0(SALU_CYCLE_1)
	s_and_b32 vcc_lo, exec_lo, s3
	s_cbranch_vccz .LBB166_2485
; %bb.2482:
	v_cmp_eq_u16_e32 vcc_lo, 29, v9
	s_cbranch_vccz .LBB166_2484
; %bb.2483:
	global_load_b64 v[3:4], v[5:6], off
	s_mov_b32 s0, 0
	s_mov_b32 s2, -1
	s_branch .LBB166_2485
.LBB166_2484:
	s_mov_b32 s0, -1
                                        ; implicit-def: $vgpr3
.LBB166_2485:
	s_mov_b32 s3, 0
.LBB166_2486:
	s_delay_alu instid0(SALU_CYCLE_1)
	s_and_b32 vcc_lo, exec_lo, s3
	s_cbranch_vccz .LBB166_2502
; %bb.2487:
	v_cmp_gt_i16_e32 vcc_lo, 27, v9
	s_cbranch_vccnz .LBB166_2490
; %bb.2488:
	v_cmp_lt_i16_e32 vcc_lo, 27, v9
	s_cbranch_vccz .LBB166_2491
; %bb.2489:
	global_load_b32 v3, v[5:6], off
	s_mov_b32 s2, 0
	s_branch .LBB166_2492
.LBB166_2490:
	s_mov_b32 s2, -1
                                        ; implicit-def: $vgpr3
	s_branch .LBB166_2495
.LBB166_2491:
	s_mov_b32 s2, -1
                                        ; implicit-def: $vgpr3
.LBB166_2492:
	s_delay_alu instid0(SALU_CYCLE_1)
	s_and_not1_b32 vcc_lo, exec_lo, s2
	s_cbranch_vccnz .LBB166_2494
; %bb.2493:
	global_load_u16 v3, v[5:6], off
.LBB166_2494:
	s_mov_b32 s2, 0
.LBB166_2495:
	s_delay_alu instid0(SALU_CYCLE_1)
	s_and_not1_b32 vcc_lo, exec_lo, s2
	s_cbranch_vccnz .LBB166_2501
; %bb.2496:
	global_load_u8 v4, v[5:6], off
	s_mov_b32 s3, 0
	s_mov_b32 s2, exec_lo
                                        ; implicit-def: $sgpr6
	s_waitcnt vmcnt(0)
	v_cmpx_lt_i16_e32 0x7f, v4
	s_xor_b32 s2, exec_lo, s2
	s_cbranch_execz .LBB166_2513
; %bb.2497:
	v_cmp_ne_u16_e32 vcc_lo, 0x80, v4
	s_mov_b32 s6, 0
	s_and_b32 s3, vcc_lo, exec_lo
	s_or_saveexec_b32 s2, s2
	v_mov_b32_e32 v3, s6
	s_xor_b32 exec_lo, exec_lo, s2
	s_cbranch_execnz .LBB166_2514
.LBB166_2498:
	s_or_b32 exec_lo, exec_lo, s2
	s_and_saveexec_b32 s2, s3
	s_cbranch_execz .LBB166_2500
.LBB166_2499:
	v_and_b32_e32 v3, 0xffff, v4
	s_delay_alu instid0(VALU_DEP_1) | instskip(NEXT) | instid1(VALU_DEP_1)
	v_and_b32_e32 v13, 7, v3
	v_clz_i32_u32_e32 v14, v13
	s_delay_alu instid0(VALU_DEP_1) | instskip(NEXT) | instid1(VALU_DEP_1)
	v_min_u32_e32 v14, 32, v14
	v_subrev_nc_u32_e32 v15, 28, v14
	v_sub_nc_u32_e32 v14, 29, v14
	s_delay_alu instid0(VALU_DEP_2) | instskip(SKIP_1) | instid1(VALU_DEP_2)
	v_lshlrev_b32_e32 v15, v15, v3
	v_bfe_u32 v3, v3, 3, 4
	v_and_b32_e32 v15, 7, v15
	s_delay_alu instid0(VALU_DEP_2) | instskip(SKIP_1) | instid1(VALU_DEP_1)
	v_cmp_eq_u32_e32 vcc_lo, 0, v3
	v_dual_cndmask_b32 v3, v3, v14 :: v_dual_lshlrev_b32 v4, 24, v4
	v_dual_cndmask_b32 v13, v13, v15 :: v_dual_and_b32 v4, 0x80000000, v4
	s_delay_alu instid0(VALU_DEP_2) | instskip(NEXT) | instid1(VALU_DEP_2)
	v_lshl_add_u32 v3, v3, 23, 0x3b800000
	v_lshlrev_b32_e32 v13, 20, v13
	s_delay_alu instid0(VALU_DEP_1) | instskip(NEXT) | instid1(VALU_DEP_1)
	v_or3_b32 v3, v4, v3, v13
	v_trunc_f32_e32 v3, v3
	s_delay_alu instid0(VALU_DEP_1) | instskip(NEXT) | instid1(VALU_DEP_1)
	v_mul_f32_e64 v4, 0x2f800000, |v3|
	v_floor_f32_e32 v4, v4
	s_delay_alu instid0(VALU_DEP_1) | instskip(SKIP_1) | instid1(VALU_DEP_2)
	v_fma_f32 v4, 0xcf800000, v4, |v3|
	v_ashrrev_i32_e32 v3, 31, v3
	v_cvt_u32_f32_e32 v4, v4
	s_delay_alu instid0(VALU_DEP_1) | instskip(NEXT) | instid1(VALU_DEP_1)
	v_xor_b32_e32 v4, v4, v3
	v_sub_nc_u32_e32 v3, v4, v3
.LBB166_2500:
	s_or_b32 exec_lo, exec_lo, s2
.LBB166_2501:
	s_mov_b32 s2, -1
.LBB166_2502:
	s_mov_b32 s3, 0
.LBB166_2503:
	s_delay_alu instid0(SALU_CYCLE_1)
	s_and_b32 vcc_lo, exec_lo, s3
	s_cbranch_vccz .LBB166_2534
; %bb.2504:
	v_cmp_lt_i16_e32 vcc_lo, 22, v9
	s_cbranch_vccz .LBB166_2512
; %bb.2505:
	v_cmp_gt_i16_e32 vcc_lo, 24, v9
	s_cbranch_vccnz .LBB166_2515
; %bb.2506:
	v_cmp_lt_i16_e32 vcc_lo, 24, v9
	s_cbranch_vccz .LBB166_2516
; %bb.2507:
	global_load_u8 v4, v[5:6], off
	s_mov_b32 s2, 0
	s_mov_b32 s1, exec_lo
                                        ; implicit-def: $sgpr3
	s_waitcnt vmcnt(0)
	v_cmpx_lt_i16_e32 0x7f, v4
	s_xor_b32 s1, exec_lo, s1
	s_cbranch_execz .LBB166_2528
; %bb.2508:
	v_cmp_ne_u16_e32 vcc_lo, 0x80, v4
	s_mov_b32 s3, 0
	s_and_b32 s2, vcc_lo, exec_lo
	s_or_saveexec_b32 s1, s1
	v_mov_b32_e32 v3, s3
	s_xor_b32 exec_lo, exec_lo, s1
	s_cbranch_execnz .LBB166_2529
.LBB166_2509:
	s_or_b32 exec_lo, exec_lo, s1
	s_and_saveexec_b32 s1, s2
	s_cbranch_execz .LBB166_2511
.LBB166_2510:
	v_and_b32_e32 v3, 0xffff, v4
	s_delay_alu instid0(VALU_DEP_1) | instskip(NEXT) | instid1(VALU_DEP_1)
	v_and_b32_e32 v13, 3, v3
	v_clz_i32_u32_e32 v14, v13
	s_delay_alu instid0(VALU_DEP_1) | instskip(NEXT) | instid1(VALU_DEP_1)
	v_min_u32_e32 v14, 32, v14
	v_subrev_nc_u32_e32 v15, 29, v14
	v_sub_nc_u32_e32 v14, 30, v14
	s_delay_alu instid0(VALU_DEP_2) | instskip(SKIP_1) | instid1(VALU_DEP_2)
	v_lshlrev_b32_e32 v15, v15, v3
	v_bfe_u32 v3, v3, 2, 5
	v_and_b32_e32 v15, 3, v15
	s_delay_alu instid0(VALU_DEP_2) | instskip(SKIP_1) | instid1(VALU_DEP_1)
	v_cmp_eq_u32_e32 vcc_lo, 0, v3
	v_dual_cndmask_b32 v3, v3, v14 :: v_dual_lshlrev_b32 v4, 24, v4
	v_dual_cndmask_b32 v13, v13, v15 :: v_dual_and_b32 v4, 0x80000000, v4
	s_delay_alu instid0(VALU_DEP_2) | instskip(NEXT) | instid1(VALU_DEP_2)
	v_lshl_add_u32 v3, v3, 23, 0x37800000
	v_lshlrev_b32_e32 v13, 21, v13
	s_delay_alu instid0(VALU_DEP_1) | instskip(NEXT) | instid1(VALU_DEP_1)
	v_or3_b32 v3, v4, v3, v13
	v_trunc_f32_e32 v3, v3
	s_delay_alu instid0(VALU_DEP_1) | instskip(NEXT) | instid1(VALU_DEP_1)
	v_mul_f32_e64 v4, 0x2f800000, |v3|
	v_floor_f32_e32 v4, v4
	s_delay_alu instid0(VALU_DEP_1) | instskip(SKIP_1) | instid1(VALU_DEP_2)
	v_fma_f32 v4, 0xcf800000, v4, |v3|
	v_ashrrev_i32_e32 v3, 31, v3
	v_cvt_u32_f32_e32 v4, v4
	s_delay_alu instid0(VALU_DEP_1) | instskip(NEXT) | instid1(VALU_DEP_1)
	v_xor_b32_e32 v4, v4, v3
	v_sub_nc_u32_e32 v3, v4, v3
.LBB166_2511:
	s_or_b32 exec_lo, exec_lo, s1
	s_mov_b32 s1, 0
	s_branch .LBB166_2517
.LBB166_2512:
	s_mov_b32 s1, -1
                                        ; implicit-def: $vgpr3
	s_branch .LBB166_2523
.LBB166_2513:
	s_or_saveexec_b32 s2, s2
	v_mov_b32_e32 v3, s6
	s_xor_b32 exec_lo, exec_lo, s2
	s_cbranch_execz .LBB166_2498
.LBB166_2514:
	v_cmp_ne_u16_e32 vcc_lo, 0, v4
	v_mov_b32_e32 v3, 0
	s_and_not1_b32 s3, s3, exec_lo
	s_and_b32 s6, vcc_lo, exec_lo
	s_delay_alu instid0(SALU_CYCLE_1)
	s_or_b32 s3, s3, s6
	s_or_b32 exec_lo, exec_lo, s2
	s_and_saveexec_b32 s2, s3
	s_cbranch_execnz .LBB166_2499
	s_branch .LBB166_2500
.LBB166_2515:
	s_mov_b32 s1, -1
                                        ; implicit-def: $vgpr3
	s_branch .LBB166_2520
.LBB166_2516:
	s_mov_b32 s1, -1
                                        ; implicit-def: $vgpr3
.LBB166_2517:
	s_delay_alu instid0(SALU_CYCLE_1)
	s_and_b32 vcc_lo, exec_lo, s1
	s_cbranch_vccz .LBB166_2519
; %bb.2518:
	global_load_u8 v3, v[5:6], off
	s_waitcnt vmcnt(0)
	v_lshlrev_b32_e32 v3, 24, v3
	s_delay_alu instid0(VALU_DEP_1) | instskip(NEXT) | instid1(VALU_DEP_1)
	v_and_b32_e32 v4, 0x7f000000, v3
	v_clz_i32_u32_e32 v13, v4
	v_add_nc_u32_e32 v15, 0x1000000, v4
	v_cmp_ne_u32_e32 vcc_lo, 0, v4
	s_delay_alu instid0(VALU_DEP_3) | instskip(NEXT) | instid1(VALU_DEP_1)
	v_min_u32_e32 v13, 32, v13
	v_sub_nc_u32_e64 v13, v13, 4 clamp
	s_delay_alu instid0(VALU_DEP_1) | instskip(SKIP_1) | instid1(VALU_DEP_2)
	v_lshlrev_b32_e32 v14, v13, v4
	v_lshlrev_b32_e32 v13, 23, v13
	v_lshrrev_b32_e32 v14, 4, v14
	s_delay_alu instid0(VALU_DEP_1) | instskip(SKIP_1) | instid1(VALU_DEP_2)
	v_sub_nc_u32_e32 v13, v14, v13
	v_ashrrev_i32_e32 v14, 8, v15
	v_add_nc_u32_e32 v13, 0x3c000000, v13
	s_delay_alu instid0(VALU_DEP_1) | instskip(NEXT) | instid1(VALU_DEP_1)
	v_and_or_b32 v13, 0x7f800000, v14, v13
	v_cndmask_b32_e32 v4, 0, v13, vcc_lo
	s_delay_alu instid0(VALU_DEP_1) | instskip(NEXT) | instid1(VALU_DEP_1)
	v_and_or_b32 v3, 0x80000000, v3, v4
	v_trunc_f32_e32 v3, v3
	s_delay_alu instid0(VALU_DEP_1) | instskip(NEXT) | instid1(VALU_DEP_1)
	v_mul_f32_e64 v4, 0x2f800000, |v3|
	v_floor_f32_e32 v4, v4
	s_delay_alu instid0(VALU_DEP_1) | instskip(SKIP_1) | instid1(VALU_DEP_2)
	v_fma_f32 v4, 0xcf800000, v4, |v3|
	v_ashrrev_i32_e32 v3, 31, v3
	v_cvt_u32_f32_e32 v4, v4
	s_delay_alu instid0(VALU_DEP_1) | instskip(NEXT) | instid1(VALU_DEP_1)
	v_xor_b32_e32 v4, v4, v3
	v_sub_nc_u32_e32 v3, v4, v3
.LBB166_2519:
	s_mov_b32 s1, 0
.LBB166_2520:
	s_delay_alu instid0(SALU_CYCLE_1)
	s_and_not1_b32 vcc_lo, exec_lo, s1
	s_cbranch_vccnz .LBB166_2522
; %bb.2521:
	global_load_u8 v3, v[5:6], off
	s_waitcnt vmcnt(0)
	v_lshlrev_b32_e32 v4, 25, v3
	v_lshlrev_b16 v3, 8, v3
	s_delay_alu instid0(VALU_DEP_2) | instskip(NEXT) | instid1(VALU_DEP_2)
	v_lshrrev_b32_e32 v13, 4, v4
	v_and_or_b32 v14, 0x7f00, v3, 0.5
	v_bfe_i32 v3, v3, 0, 16
	s_delay_alu instid0(VALU_DEP_3) | instskip(NEXT) | instid1(VALU_DEP_1)
	v_or_b32_e32 v13, 0x70000000, v13
	v_dual_add_f32 v14, -0.5, v14 :: v_dual_mul_f32 v13, 0x7800000, v13
	v_cmp_gt_u32_e32 vcc_lo, 0x8000000, v4
	s_delay_alu instid0(VALU_DEP_2) | instskip(NEXT) | instid1(VALU_DEP_1)
	v_cndmask_b32_e32 v4, v13, v14, vcc_lo
	v_and_or_b32 v3, 0x80000000, v3, v4
	s_delay_alu instid0(VALU_DEP_1) | instskip(NEXT) | instid1(VALU_DEP_1)
	v_trunc_f32_e32 v3, v3
	v_mul_f32_e64 v4, 0x2f800000, |v3|
	s_delay_alu instid0(VALU_DEP_1) | instskip(NEXT) | instid1(VALU_DEP_1)
	v_floor_f32_e32 v4, v4
	v_fma_f32 v4, 0xcf800000, v4, |v3|
	v_ashrrev_i32_e32 v3, 31, v3
	s_delay_alu instid0(VALU_DEP_2) | instskip(NEXT) | instid1(VALU_DEP_1)
	v_cvt_u32_f32_e32 v4, v4
	v_xor_b32_e32 v4, v4, v3
	s_delay_alu instid0(VALU_DEP_1)
	v_sub_nc_u32_e32 v3, v4, v3
.LBB166_2522:
	s_mov_b32 s1, 0
	s_mov_b32 s2, -1
.LBB166_2523:
	s_and_not1_b32 vcc_lo, exec_lo, s1
	s_mov_b32 s1, 0
	s_cbranch_vccnz .LBB166_2534
; %bb.2524:
	v_cmp_lt_i16_e32 vcc_lo, 14, v9
	s_cbranch_vccz .LBB166_2527
; %bb.2525:
	v_cmp_eq_u16_e32 vcc_lo, 15, v9
	s_cbranch_vccz .LBB166_2530
; %bb.2526:
	global_load_u16 v3, v[5:6], off
	s_mov_b32 s0, 0
	s_mov_b32 s2, -1
	s_waitcnt vmcnt(0)
	v_lshlrev_b32_e32 v3, 16, v3
	s_delay_alu instid0(VALU_DEP_1) | instskip(NEXT) | instid1(VALU_DEP_1)
	v_trunc_f32_e32 v3, v3
	v_mul_f32_e64 v4, 0x2f800000, |v3|
	s_delay_alu instid0(VALU_DEP_1) | instskip(NEXT) | instid1(VALU_DEP_1)
	v_floor_f32_e32 v4, v4
	v_fma_f32 v4, 0xcf800000, v4, |v3|
	v_ashrrev_i32_e32 v3, 31, v3
	s_delay_alu instid0(VALU_DEP_2) | instskip(NEXT) | instid1(VALU_DEP_1)
	v_cvt_u32_f32_e32 v4, v4
	v_xor_b32_e32 v4, v4, v3
	s_delay_alu instid0(VALU_DEP_1)
	v_sub_nc_u32_e32 v3, v4, v3
	s_branch .LBB166_2532
.LBB166_2527:
	s_mov_b32 s1, -1
	s_branch .LBB166_2531
.LBB166_2528:
	s_or_saveexec_b32 s1, s1
	v_mov_b32_e32 v3, s3
	s_xor_b32 exec_lo, exec_lo, s1
	s_cbranch_execz .LBB166_2509
.LBB166_2529:
	v_cmp_ne_u16_e32 vcc_lo, 0, v4
	v_mov_b32_e32 v3, 0
	s_and_not1_b32 s2, s2, exec_lo
	s_and_b32 s3, vcc_lo, exec_lo
	s_delay_alu instid0(SALU_CYCLE_1)
	s_or_b32 s2, s2, s3
	s_or_b32 exec_lo, exec_lo, s1
	s_and_saveexec_b32 s1, s2
	s_cbranch_execnz .LBB166_2510
	s_branch .LBB166_2511
.LBB166_2530:
	s_mov_b32 s0, -1
.LBB166_2531:
                                        ; implicit-def: $vgpr3
.LBB166_2532:
	s_and_b32 vcc_lo, exec_lo, s1
	s_mov_b32 s1, 0
	s_cbranch_vccz .LBB166_2534
; %bb.2533:
	v_cmp_ne_u16_e64 s0, 11, v9
	s_mov_b32 s1, -1
                                        ; implicit-def: $vgpr3
.LBB166_2534:
	s_delay_alu instid0(VALU_DEP_1)
	s_and_b32 vcc_lo, exec_lo, s0
	s_cbranch_vccnz .LBB166_3067
; %bb.2535:
	s_and_not1_b32 vcc_lo, exec_lo, s1
	s_cbranch_vccnz .LBB166_2537
.LBB166_2536:
	global_load_u8 v3, v[5:6], off
	s_mov_b32 s2, -1
	s_waitcnt vmcnt(0)
	v_cmp_ne_u16_e32 vcc_lo, 0, v3
	v_cndmask_b32_e64 v3, 0, 1, vcc_lo
.LBB166_2537:
	s_mov_b32 s0, 0
.LBB166_2538:
	s_delay_alu instid0(SALU_CYCLE_1)
	s_and_b32 vcc_lo, exec_lo, s0
	s_cbranch_vccz .LBB166_2587
; %bb.2539:
	v_cmp_gt_i16_e32 vcc_lo, 5, v9
	s_cbranch_vccnz .LBB166_2544
; %bb.2540:
	v_cmp_gt_i16_e32 vcc_lo, 8, v9
	s_cbranch_vccnz .LBB166_2545
; %bb.2541:
	v_cmp_gt_i16_e32 vcc_lo, 9, v9
	s_cbranch_vccnz .LBB166_2546
; %bb.2542:
	v_cmp_lt_i16_e32 vcc_lo, 9, v9
	s_cbranch_vccz .LBB166_2547
; %bb.2543:
	global_load_b64 v[3:4], v[5:6], off
	s_mov_b32 s0, 0
	s_waitcnt vmcnt(0)
	v_trunc_f64_e32 v[3:4], v[3:4]
	s_delay_alu instid0(VALU_DEP_1) | instskip(NEXT) | instid1(VALU_DEP_1)
	v_ldexp_f64 v[13:14], v[3:4], 0xffffffe0
	v_floor_f64_e32 v[13:14], v[13:14]
	s_delay_alu instid0(VALU_DEP_1) | instskip(NEXT) | instid1(VALU_DEP_1)
	v_fma_f64 v[3:4], 0xc1f00000, v[13:14], v[3:4]
	v_cvt_u32_f64_e32 v3, v[3:4]
	s_branch .LBB166_2548
.LBB166_2544:
	s_mov_b32 s0, -1
                                        ; implicit-def: $vgpr3
	s_branch .LBB166_2566
.LBB166_2545:
	s_mov_b32 s0, -1
                                        ; implicit-def: $vgpr3
	s_branch .LBB166_2554
.LBB166_2546:
	s_mov_b32 s0, -1
                                        ; implicit-def: $vgpr3
	s_branch .LBB166_2551
.LBB166_2547:
	s_mov_b32 s0, -1
                                        ; implicit-def: $vgpr3
.LBB166_2548:
	s_delay_alu instid0(SALU_CYCLE_1)
	s_and_not1_b32 vcc_lo, exec_lo, s0
	s_cbranch_vccnz .LBB166_2550
; %bb.2549:
	global_load_b32 v3, v[5:6], off
	s_waitcnt vmcnt(0)
	v_trunc_f32_e32 v3, v3
	s_delay_alu instid0(VALU_DEP_1) | instskip(NEXT) | instid1(VALU_DEP_1)
	v_mul_f32_e64 v4, 0x2f800000, |v3|
	v_floor_f32_e32 v4, v4
	s_delay_alu instid0(VALU_DEP_1) | instskip(SKIP_1) | instid1(VALU_DEP_2)
	v_fma_f32 v4, 0xcf800000, v4, |v3|
	v_ashrrev_i32_e32 v3, 31, v3
	v_cvt_u32_f32_e32 v4, v4
	s_delay_alu instid0(VALU_DEP_1) | instskip(NEXT) | instid1(VALU_DEP_1)
	v_xor_b32_e32 v4, v4, v3
	v_sub_nc_u32_e32 v3, v4, v3
.LBB166_2550:
	s_mov_b32 s0, 0
.LBB166_2551:
	s_delay_alu instid0(SALU_CYCLE_1)
	s_and_not1_b32 vcc_lo, exec_lo, s0
	s_cbranch_vccnz .LBB166_2553
; %bb.2552:
	global_load_b32 v3, v[5:6], off
	s_waitcnt vmcnt(0)
	v_cvt_f32_f16_e32 v3, v3
	s_delay_alu instid0(VALU_DEP_1)
	v_cvt_i32_f32_e32 v3, v3
.LBB166_2553:
	s_mov_b32 s0, 0
.LBB166_2554:
	s_delay_alu instid0(SALU_CYCLE_1)
	s_and_not1_b32 vcc_lo, exec_lo, s0
	s_cbranch_vccnz .LBB166_2565
; %bb.2555:
	v_cmp_gt_i16_e32 vcc_lo, 6, v9
	s_cbranch_vccnz .LBB166_2558
; %bb.2556:
	v_cmp_lt_i16_e32 vcc_lo, 6, v9
	s_cbranch_vccz .LBB166_2559
; %bb.2557:
	global_load_b64 v[3:4], v[5:6], off
	s_mov_b32 s0, 0
	s_waitcnt vmcnt(0)
	v_trunc_f64_e32 v[3:4], v[3:4]
	s_delay_alu instid0(VALU_DEP_1) | instskip(NEXT) | instid1(VALU_DEP_1)
	v_ldexp_f64 v[13:14], v[3:4], 0xffffffe0
	v_floor_f64_e32 v[13:14], v[13:14]
	s_delay_alu instid0(VALU_DEP_1) | instskip(NEXT) | instid1(VALU_DEP_1)
	v_fma_f64 v[3:4], 0xc1f00000, v[13:14], v[3:4]
	v_cvt_u32_f64_e32 v3, v[3:4]
	s_branch .LBB166_2560
.LBB166_2558:
	s_mov_b32 s0, -1
                                        ; implicit-def: $vgpr3
	s_branch .LBB166_2563
.LBB166_2559:
	s_mov_b32 s0, -1
                                        ; implicit-def: $vgpr3
.LBB166_2560:
	s_delay_alu instid0(SALU_CYCLE_1)
	s_and_not1_b32 vcc_lo, exec_lo, s0
	s_cbranch_vccnz .LBB166_2562
; %bb.2561:
	global_load_b32 v3, v[5:6], off
	s_waitcnt vmcnt(0)
	v_trunc_f32_e32 v3, v3
	s_delay_alu instid0(VALU_DEP_1) | instskip(NEXT) | instid1(VALU_DEP_1)
	v_mul_f32_e64 v4, 0x2f800000, |v3|
	v_floor_f32_e32 v4, v4
	s_delay_alu instid0(VALU_DEP_1) | instskip(SKIP_1) | instid1(VALU_DEP_2)
	v_fma_f32 v4, 0xcf800000, v4, |v3|
	v_ashrrev_i32_e32 v3, 31, v3
	v_cvt_u32_f32_e32 v4, v4
	s_delay_alu instid0(VALU_DEP_1) | instskip(NEXT) | instid1(VALU_DEP_1)
	v_xor_b32_e32 v4, v4, v3
	v_sub_nc_u32_e32 v3, v4, v3
.LBB166_2562:
	s_mov_b32 s0, 0
.LBB166_2563:
	s_delay_alu instid0(SALU_CYCLE_1)
	s_and_not1_b32 vcc_lo, exec_lo, s0
	s_cbranch_vccnz .LBB166_2565
; %bb.2564:
	global_load_u16 v3, v[5:6], off
	s_waitcnt vmcnt(0)
	v_cvt_f32_f16_e32 v3, v3
	s_delay_alu instid0(VALU_DEP_1)
	v_cvt_i32_f32_e32 v3, v3
.LBB166_2565:
	s_mov_b32 s0, 0
.LBB166_2566:
	s_delay_alu instid0(SALU_CYCLE_1)
	s_and_not1_b32 vcc_lo, exec_lo, s0
	s_cbranch_vccnz .LBB166_2586
; %bb.2567:
	v_cmp_gt_i16_e32 vcc_lo, 2, v9
	s_cbranch_vccnz .LBB166_2571
; %bb.2568:
	v_cmp_gt_i16_e32 vcc_lo, 3, v9
	s_cbranch_vccnz .LBB166_2572
; %bb.2569:
	v_cmp_lt_i16_e32 vcc_lo, 3, v9
	s_cbranch_vccz .LBB166_2573
; %bb.2570:
	global_load_b64 v[3:4], v[5:6], off
	s_mov_b32 s0, 0
	s_branch .LBB166_2574
.LBB166_2571:
	s_mov_b32 s0, -1
                                        ; implicit-def: $vgpr3
	s_branch .LBB166_2580
.LBB166_2572:
	s_mov_b32 s0, -1
                                        ; implicit-def: $vgpr3
	s_branch .LBB166_2577
.LBB166_2573:
	s_mov_b32 s0, -1
                                        ; implicit-def: $vgpr3
.LBB166_2574:
	s_delay_alu instid0(SALU_CYCLE_1)
	s_and_not1_b32 vcc_lo, exec_lo, s0
	s_cbranch_vccnz .LBB166_2576
; %bb.2575:
	global_load_b32 v3, v[5:6], off
.LBB166_2576:
	s_mov_b32 s0, 0
.LBB166_2577:
	s_delay_alu instid0(SALU_CYCLE_1)
	s_and_not1_b32 vcc_lo, exec_lo, s0
	s_cbranch_vccnz .LBB166_2579
; %bb.2578:
	global_load_u16 v3, v[5:6], off
.LBB166_2579:
	s_mov_b32 s0, 0
.LBB166_2580:
	s_delay_alu instid0(SALU_CYCLE_1)
	s_and_not1_b32 vcc_lo, exec_lo, s0
	s_cbranch_vccnz .LBB166_2586
; %bb.2581:
	v_cmp_lt_i16_e32 vcc_lo, 0, v9
	s_mov_b32 s0, 0
	s_cbranch_vccz .LBB166_2583
; %bb.2582:
	global_load_u8 v3, v[5:6], off
	s_branch .LBB166_2584
.LBB166_2583:
	s_mov_b32 s0, -1
                                        ; implicit-def: $vgpr3
.LBB166_2584:
	s_delay_alu instid0(SALU_CYCLE_1)
	s_and_not1_b32 vcc_lo, exec_lo, s0
	s_cbranch_vccnz .LBB166_2586
; %bb.2585:
	global_load_u8 v3, v[5:6], off
.LBB166_2586:
	s_mov_b32 s2, -1
.LBB166_2587:
	s_delay_alu instid0(SALU_CYCLE_1)
	s_and_not1_b32 vcc_lo, exec_lo, s2
	s_cbranch_vccnz .LBB166_3021
; %bb.2588:
	s_waitcnt vmcnt(0)
	v_cvt_f32_ubyte0_e32 v4, v0
	v_mul_lo_u32 v0, s8, v7
	v_cvt_f32_f16_e32 v5, v8
	v_and_b32_e64 v6, 0xff, s12
	s_delay_alu instid0(VALU_DEP_2) | instskip(NEXT) | instid1(VALU_DEP_2)
	v_mul_f32_e32 v4, v5, v4
	v_cmp_gt_i16_e32 vcc_lo, 11, v6
	v_ashrrev_i32_e32 v5, 31, v0
	s_delay_alu instid0(VALU_DEP_3) | instskip(SKIP_1) | instid1(VALU_DEP_1)
	v_fma_mixlo_f16 v7, s11, v4, 0
	v_add_co_u32 v4, s0, s4, v0
	v_add_co_ci_u32_e64 v5, s0, s5, v5, s0
	s_cbranch_vccnz .LBB166_2666
; %bb.2589:
	v_cmp_lt_i16_e32 vcc_lo, 25, v6
	s_mov_b32 s3, -1
	s_mov_b32 s1, 0
	s_mov_b32 s2, 0
	;; [unrolled: 1-line block ×3, first 2 shown]
	s_cbranch_vccz .LBB166_2622
; %bb.2590:
	v_cmp_lt_i16_e32 vcc_lo, 28, v6
	s_cbranch_vccz .LBB166_2605
; %bb.2591:
	v_cmp_lt_i16_e32 vcc_lo, 43, v6
	;; [unrolled: 3-line block ×3, first 2 shown]
	s_cbranch_vccz .LBB166_2595
; %bb.2593:
	v_cmp_eq_u16_e32 vcc_lo, 46, v6
	s_mov_b32 s0, -1
	s_mov_b32 s3, 0
	s_cbranch_vccz .LBB166_2595
; %bb.2594:
	v_cvt_f32_f16_e32 v8, v7
	v_cmp_o_f16_e32 vcc_lo, v7, v7
	s_mov_b32 s0, 0
	s_mov_b32 s2, -1
	s_delay_alu instid0(VALU_DEP_2) | instskip(NEXT) | instid1(VALU_DEP_1)
	v_bfe_u32 v9, v8, 16, 1
	v_add3_u32 v8, v8, v9, 0x7fff
	s_delay_alu instid0(VALU_DEP_1) | instskip(NEXT) | instid1(VALU_DEP_1)
	v_lshrrev_b32_e32 v8, 16, v8
	v_cndmask_b32_e32 v8, 0x7fc0, v8, vcc_lo
	global_store_b32 v[4:5], v8, off
.LBB166_2595:
	s_and_b32 vcc_lo, exec_lo, s3
	s_cbranch_vccz .LBB166_2600
; %bb.2596:
	v_cmp_eq_u16_e32 vcc_lo, 44, v6
	s_mov_b32 s0, -1
	s_cbranch_vccz .LBB166_2600
; %bb.2597:
	v_cvt_f32_f16_e32 v8, v7
	v_mov_b32_e32 v9, 0xff
	s_mov_b32 s2, exec_lo
	s_delay_alu instid0(VALU_DEP_2) | instskip(NEXT) | instid1(VALU_DEP_1)
	v_bfe_u32 v13, v8, 23, 8
	v_cmpx_ne_u32_e32 0xff, v13
; %bb.2598:
	v_and_b32_e32 v9, 0x400000, v8
	v_and_or_b32 v13, 0x3fffff, v8, v13
	v_lshrrev_b32_e32 v8, 23, v8
	s_delay_alu instid0(VALU_DEP_3) | instskip(NEXT) | instid1(VALU_DEP_3)
	v_cmp_ne_u32_e32 vcc_lo, 0, v9
	v_cmp_ne_u32_e64 s0, 0, v13
	s_delay_alu instid0(VALU_DEP_1) | instskip(NEXT) | instid1(SALU_CYCLE_1)
	s_and_b32 s0, vcc_lo, s0
	v_cndmask_b32_e64 v9, 0, 1, s0
	s_delay_alu instid0(VALU_DEP_1)
	v_add_nc_u32_e32 v9, v8, v9
; %bb.2599:
	s_or_b32 exec_lo, exec_lo, s2
	s_mov_b32 s0, 0
	s_mov_b32 s2, -1
	global_store_b8 v[4:5], v9, off
.LBB166_2600:
	s_mov_b32 s3, 0
.LBB166_2601:
	s_delay_alu instid0(SALU_CYCLE_1)
	s_and_b32 vcc_lo, exec_lo, s3
	s_cbranch_vccz .LBB166_2604
; %bb.2602:
	v_cmp_eq_u16_e32 vcc_lo, 29, v6
	s_mov_b32 s0, -1
	s_cbranch_vccz .LBB166_2604
; %bb.2603:
	v_cvt_f32_f16_e32 v8, v7
	v_mov_b32_e32 v9, 0
	s_mov_b32 s0, 0
	s_mov_b32 s2, -1
	s_delay_alu instid0(VALU_DEP_2)
	v_cvt_u32_f32_e32 v8, v8
	global_store_b64 v[4:5], v[8:9], off
.LBB166_2604:
	s_mov_b32 s3, 0
.LBB166_2605:
	s_delay_alu instid0(SALU_CYCLE_1)
	s_and_b32 vcc_lo, exec_lo, s3
	s_cbranch_vccz .LBB166_2621
; %bb.2606:
	v_cmp_gt_i16_e32 vcc_lo, 27, v6
	s_mov_b32 s2, -1
	s_cbranch_vccnz .LBB166_2612
; %bb.2607:
	v_cmp_lt_i16_e32 vcc_lo, 27, v6
	s_cbranch_vccz .LBB166_2609
; %bb.2608:
	v_cvt_f32_f16_e32 v8, v7
	s_mov_b32 s2, 0
	s_delay_alu instid0(VALU_DEP_1)
	v_cvt_u32_f32_e32 v8, v8
	global_store_b32 v[4:5], v8, off
.LBB166_2609:
	s_and_not1_b32 vcc_lo, exec_lo, s2
	s_cbranch_vccnz .LBB166_2611
; %bb.2610:
	v_cvt_u16_f16_e32 v8, v7
	global_store_b16 v[4:5], v8, off
.LBB166_2611:
	s_mov_b32 s2, 0
.LBB166_2612:
	s_delay_alu instid0(SALU_CYCLE_1)
	s_and_not1_b32 vcc_lo, exec_lo, s2
	s_cbranch_vccnz .LBB166_2620
; %bb.2613:
	v_cvt_f32_f16_e32 v8, v7
	v_mov_b32_e32 v13, 0x80
	s_mov_b32 s2, exec_lo
	s_delay_alu instid0(VALU_DEP_2) | instskip(NEXT) | instid1(VALU_DEP_1)
	v_and_b32_e32 v9, 0x7fffffff, v8
	v_cmpx_gt_u32_e32 0x43800000, v9
	s_cbranch_execz .LBB166_2619
; %bb.2614:
	v_cmp_lt_u32_e32 vcc_lo, 0x3bffffff, v9
	s_mov_b32 s3, 0
                                        ; implicit-def: $vgpr9
	s_and_saveexec_b32 s6, vcc_lo
	s_delay_alu instid0(SALU_CYCLE_1)
	s_xor_b32 s6, exec_lo, s6
	s_cbranch_execz .LBB166_3069
; %bb.2615:
	v_bfe_u32 v9, v8, 20, 1
	s_mov_b32 s3, exec_lo
	s_delay_alu instid0(VALU_DEP_1) | instskip(NEXT) | instid1(VALU_DEP_1)
	v_add3_u32 v9, v8, v9, 0x487ffff
	v_lshrrev_b32_e32 v9, 20, v9
	s_or_saveexec_b32 s6, s6
                                        ; implicit-def: $sgpr7
	s_delay_alu instid0(SALU_CYCLE_1)
	s_xor_b32 exec_lo, exec_lo, s6
	s_cbranch_execnz .LBB166_3070
.LBB166_2616:
	s_or_b32 exec_lo, exec_lo, s6
	v_mov_b32_e32 v13, s7
	s_and_saveexec_b32 s6, s3
.LBB166_2617:
	v_lshrrev_b32_e32 v8, 24, v8
	s_delay_alu instid0(VALU_DEP_1)
	v_and_or_b32 v13, 0x80, v8, v9
.LBB166_2618:
	s_or_b32 exec_lo, exec_lo, s6
.LBB166_2619:
	s_delay_alu instid0(SALU_CYCLE_1)
	s_or_b32 exec_lo, exec_lo, s2
	global_store_b8 v[4:5], v13, off
.LBB166_2620:
	s_mov_b32 s2, -1
.LBB166_2621:
	s_mov_b32 s3, 0
.LBB166_2622:
	s_delay_alu instid0(SALU_CYCLE_1)
	s_and_b32 vcc_lo, exec_lo, s3
	s_cbranch_vccz .LBB166_2662
; %bb.2623:
	v_cmp_lt_i16_e32 vcc_lo, 22, v6
	s_mov_b32 s1, -1
	s_cbranch_vccz .LBB166_2655
; %bb.2624:
	v_cmp_gt_i16_e32 vcc_lo, 24, v6
	s_cbranch_vccnz .LBB166_2644
; %bb.2625:
	v_cmp_lt_i16_e32 vcc_lo, 24, v6
	s_cbranch_vccz .LBB166_2633
; %bb.2626:
	v_cvt_f32_f16_e32 v8, v7
	v_mov_b32_e32 v13, 0x80
	s_mov_b32 s1, exec_lo
	s_delay_alu instid0(VALU_DEP_2) | instskip(NEXT) | instid1(VALU_DEP_1)
	v_and_b32_e32 v9, 0x7fffffff, v8
	v_cmpx_gt_u32_e32 0x47800000, v9
	s_cbranch_execz .LBB166_2632
; %bb.2627:
	v_cmp_lt_u32_e32 vcc_lo, 0x37ffffff, v9
	s_mov_b32 s2, 0
                                        ; implicit-def: $vgpr9
	s_and_saveexec_b32 s3, vcc_lo
	s_delay_alu instid0(SALU_CYCLE_1)
	s_xor_b32 s3, exec_lo, s3
	s_cbranch_execz .LBB166_3075
; %bb.2628:
	v_bfe_u32 v9, v8, 21, 1
	s_mov_b32 s2, exec_lo
	s_delay_alu instid0(VALU_DEP_1) | instskip(NEXT) | instid1(VALU_DEP_1)
	v_add3_u32 v9, v8, v9, 0x88fffff
	v_lshrrev_b32_e32 v9, 21, v9
	s_or_saveexec_b32 s3, s3
                                        ; implicit-def: $sgpr6
	s_delay_alu instid0(SALU_CYCLE_1)
	s_xor_b32 exec_lo, exec_lo, s3
	s_cbranch_execnz .LBB166_3076
.LBB166_2629:
	s_or_b32 exec_lo, exec_lo, s3
	v_mov_b32_e32 v13, s6
	s_and_saveexec_b32 s3, s2
.LBB166_2630:
	v_lshrrev_b32_e32 v8, 24, v8
	s_delay_alu instid0(VALU_DEP_1)
	v_and_or_b32 v13, 0x80, v8, v9
.LBB166_2631:
	s_or_b32 exec_lo, exec_lo, s3
.LBB166_2632:
	s_delay_alu instid0(SALU_CYCLE_1)
	s_or_b32 exec_lo, exec_lo, s1
	s_mov_b32 s1, 0
	global_store_b8 v[4:5], v13, off
.LBB166_2633:
	s_and_b32 vcc_lo, exec_lo, s1
	s_cbranch_vccz .LBB166_2643
; %bb.2634:
	v_cvt_f32_f16_e32 v8, v7
	s_mov_b32 s1, exec_lo
                                        ; implicit-def: $vgpr9
	s_delay_alu instid0(VALU_DEP_1) | instskip(NEXT) | instid1(VALU_DEP_1)
	v_and_b32_e32 v13, 0x7fffffff, v8
	v_cmpx_gt_u32_e32 0x43f00000, v13
	s_xor_b32 s1, exec_lo, s1
	s_cbranch_execz .LBB166_2640
; %bb.2635:
	s_mov_b32 s2, exec_lo
                                        ; implicit-def: $vgpr9
	v_cmpx_lt_u32_e32 0x3c7fffff, v13
	s_xor_b32 s2, exec_lo, s2
; %bb.2636:
	v_bfe_u32 v9, v8, 20, 1
	s_delay_alu instid0(VALU_DEP_1) | instskip(NEXT) | instid1(VALU_DEP_1)
	v_add3_u32 v9, v8, v9, 0x407ffff
	v_and_b32_e32 v13, 0xff00000, v9
	v_lshrrev_b32_e32 v9, 20, v9
	s_delay_alu instid0(VALU_DEP_2) | instskip(NEXT) | instid1(VALU_DEP_2)
	v_cmp_ne_u32_e32 vcc_lo, 0x7f00000, v13
	v_cndmask_b32_e32 v9, 0x7e, v9, vcc_lo
; %bb.2637:
	s_and_not1_saveexec_b32 s2, s2
; %bb.2638:
	v_add_f32_e64 v9, 0x46800000, |v8|
; %bb.2639:
	s_or_b32 exec_lo, exec_lo, s2
                                        ; implicit-def: $vgpr13
.LBB166_2640:
	s_and_not1_saveexec_b32 s1, s1
; %bb.2641:
	v_mov_b32_e32 v9, 0x7f
	v_cmp_lt_u32_e32 vcc_lo, 0x7f800000, v13
	s_delay_alu instid0(VALU_DEP_2)
	v_cndmask_b32_e32 v9, 0x7e, v9, vcc_lo
; %bb.2642:
	s_or_b32 exec_lo, exec_lo, s1
	v_lshrrev_b32_e32 v8, 24, v8
	s_delay_alu instid0(VALU_DEP_1)
	v_and_or_b32 v8, 0x80, v8, v9
	global_store_b8 v[4:5], v8, off
.LBB166_2643:
	s_mov_b32 s1, 0
.LBB166_2644:
	s_delay_alu instid0(SALU_CYCLE_1)
	s_and_not1_b32 vcc_lo, exec_lo, s1
	s_cbranch_vccnz .LBB166_2654
; %bb.2645:
	v_cvt_f32_f16_e32 v8, v7
	s_mov_b32 s1, exec_lo
                                        ; implicit-def: $vgpr9
	s_delay_alu instid0(VALU_DEP_1) | instskip(NEXT) | instid1(VALU_DEP_1)
	v_and_b32_e32 v13, 0x7fffffff, v8
	v_cmpx_gt_u32_e32 0x47800000, v13
	s_xor_b32 s1, exec_lo, s1
	s_cbranch_execz .LBB166_2651
; %bb.2646:
	s_mov_b32 s2, exec_lo
                                        ; implicit-def: $vgpr9
	v_cmpx_lt_u32_e32 0x387fffff, v13
	s_xor_b32 s2, exec_lo, s2
; %bb.2647:
	v_bfe_u32 v9, v8, 21, 1
	s_delay_alu instid0(VALU_DEP_1) | instskip(NEXT) | instid1(VALU_DEP_1)
	v_add3_u32 v9, v8, v9, 0x80fffff
	v_lshrrev_b32_e32 v9, 21, v9
; %bb.2648:
	s_and_not1_saveexec_b32 s2, s2
; %bb.2649:
	v_add_f32_e64 v9, 0x43000000, |v8|
; %bb.2650:
	s_or_b32 exec_lo, exec_lo, s2
                                        ; implicit-def: $vgpr13
.LBB166_2651:
	s_and_not1_saveexec_b32 s1, s1
; %bb.2652:
	v_mov_b32_e32 v9, 0x7f
	v_cmp_lt_u32_e32 vcc_lo, 0x7f800000, v13
	s_delay_alu instid0(VALU_DEP_2)
	v_cndmask_b32_e32 v9, 0x7c, v9, vcc_lo
; %bb.2653:
	s_or_b32 exec_lo, exec_lo, s1
	v_lshrrev_b32_e32 v8, 24, v8
	s_delay_alu instid0(VALU_DEP_1)
	v_and_or_b32 v8, 0x80, v8, v9
	global_store_b8 v[4:5], v8, off
.LBB166_2654:
	s_mov_b32 s1, 0
	s_mov_b32 s2, -1
.LBB166_2655:
	s_and_not1_b32 vcc_lo, exec_lo, s1
	s_mov_b32 s1, 0
	s_cbranch_vccnz .LBB166_2662
; %bb.2656:
	v_cmp_lt_i16_e32 vcc_lo, 14, v6
	s_mov_b32 s1, -1
	s_cbranch_vccz .LBB166_2660
; %bb.2657:
	v_cmp_eq_u16_e32 vcc_lo, 15, v6
	s_mov_b32 s0, -1
	s_cbranch_vccz .LBB166_2659
; %bb.2658:
	v_cvt_f32_f16_e32 v8, v7
	v_cmp_o_f16_e32 vcc_lo, v7, v7
	s_mov_b32 s0, 0
	s_mov_b32 s2, -1
	s_delay_alu instid0(VALU_DEP_2) | instskip(NEXT) | instid1(VALU_DEP_1)
	v_bfe_u32 v9, v8, 16, 1
	v_add3_u32 v8, v8, v9, 0x7fff
	s_delay_alu instid0(VALU_DEP_1) | instskip(NEXT) | instid1(VALU_DEP_1)
	v_lshrrev_b32_e32 v8, 16, v8
	v_cndmask_b32_e32 v8, 0x7fc0, v8, vcc_lo
	global_store_b16 v[4:5], v8, off
.LBB166_2659:
	s_mov_b32 s1, 0
.LBB166_2660:
	s_delay_alu instid0(SALU_CYCLE_1)
	s_and_b32 vcc_lo, exec_lo, s1
	s_mov_b32 s1, 0
	s_cbranch_vccz .LBB166_2662
; %bb.2661:
	v_cmp_ne_u16_e64 s0, 11, v6
	s_mov_b32 s1, -1
.LBB166_2662:
	s_delay_alu instid0(VALU_DEP_1)
	s_and_b32 vcc_lo, exec_lo, s0
	s_cbranch_vccnz .LBB166_3073
; %bb.2663:
	s_and_not1_b32 vcc_lo, exec_lo, s1
	s_cbranch_vccnz .LBB166_2665
.LBB166_2664:
	v_cmp_neq_f16_e32 vcc_lo, 0, v7
	s_mov_b32 s2, -1
	v_cndmask_b32_e64 v8, 0, 1, vcc_lo
	global_store_b8 v[4:5], v8, off
.LBB166_2665:
	s_mov_b32 s0, 0
	s_branch .LBB166_2667
.LBB166_2666:
	s_mov_b32 s0, -1
	s_mov_b32 s2, 0
.LBB166_2667:
	s_and_b32 vcc_lo, exec_lo, s0
	s_cbranch_vccz .LBB166_2706
; %bb.2668:
	v_cmp_gt_i16_e32 vcc_lo, 5, v6
	s_mov_b32 s0, -1
	s_cbranch_vccnz .LBB166_2689
; %bb.2669:
	v_cmp_gt_i16_e32 vcc_lo, 8, v6
	s_cbranch_vccnz .LBB166_2679
; %bb.2670:
	v_cmp_gt_i16_e32 vcc_lo, 9, v6
	s_cbranch_vccnz .LBB166_2676
; %bb.2671:
	v_cmp_lt_i16_e32 vcc_lo, 9, v6
	s_cbranch_vccz .LBB166_2673
; %bb.2672:
	v_cvt_f32_f16_e32 v8, v7
	v_mov_b32_e32 v15, 0
	s_mov_b32 s0, 0
	s_delay_alu instid0(VALU_DEP_2) | instskip(NEXT) | instid1(VALU_DEP_2)
	v_cvt_f64_f32_e32 v[13:14], v8
	v_mov_b32_e32 v16, v15
	global_store_b128 v[4:5], v[13:16], off
.LBB166_2673:
	s_and_not1_b32 vcc_lo, exec_lo, s0
	s_cbranch_vccnz .LBB166_2675
; %bb.2674:
	v_cvt_f32_f16_e32 v8, v7
	v_mov_b32_e32 v9, 0
	global_store_b64 v[4:5], v[8:9], off
.LBB166_2675:
	s_mov_b32 s0, 0
.LBB166_2676:
	s_delay_alu instid0(SALU_CYCLE_1)
	s_and_not1_b32 vcc_lo, exec_lo, s0
	s_cbranch_vccnz .LBB166_2678
; %bb.2677:
	v_and_b32_e32 v8, 0xffff, v7
	global_store_b32 v[4:5], v8, off
.LBB166_2678:
	s_mov_b32 s0, 0
.LBB166_2679:
	s_delay_alu instid0(SALU_CYCLE_1)
	s_and_not1_b32 vcc_lo, exec_lo, s0
	s_cbranch_vccnz .LBB166_2688
; %bb.2680:
	v_cmp_gt_i16_e32 vcc_lo, 6, v6
	s_mov_b32 s0, -1
	s_cbranch_vccnz .LBB166_2686
; %bb.2681:
	v_cmp_lt_i16_e32 vcc_lo, 6, v6
	s_cbranch_vccz .LBB166_2683
; %bb.2682:
	v_cvt_f32_f16_e32 v8, v7
	s_mov_b32 s0, 0
	s_delay_alu instid0(VALU_DEP_1)
	v_cvt_f64_f32_e32 v[8:9], v8
	global_store_b64 v[4:5], v[8:9], off
.LBB166_2683:
	s_and_not1_b32 vcc_lo, exec_lo, s0
	s_cbranch_vccnz .LBB166_2685
; %bb.2684:
	v_cvt_f32_f16_e32 v8, v7
	global_store_b32 v[4:5], v8, off
.LBB166_2685:
	s_mov_b32 s0, 0
.LBB166_2686:
	s_delay_alu instid0(SALU_CYCLE_1)
	s_and_not1_b32 vcc_lo, exec_lo, s0
	s_cbranch_vccnz .LBB166_2688
; %bb.2687:
	global_store_b16 v[4:5], v7, off
.LBB166_2688:
	s_mov_b32 s0, 0
.LBB166_2689:
	s_delay_alu instid0(SALU_CYCLE_1)
	s_and_not1_b32 vcc_lo, exec_lo, s0
	s_cbranch_vccnz .LBB166_2705
; %bb.2690:
	v_cmp_gt_i16_e32 vcc_lo, 2, v6
	s_mov_b32 s0, -1
	s_cbranch_vccnz .LBB166_2700
; %bb.2691:
	v_cmp_gt_i16_e32 vcc_lo, 3, v6
	s_cbranch_vccnz .LBB166_2697
; %bb.2692:
	v_cmp_lt_i16_e32 vcc_lo, 3, v6
	s_cbranch_vccz .LBB166_2694
; %bb.2693:
	v_cvt_f32_f16_e32 v8, v7
	s_mov_b32 s0, 0
	s_delay_alu instid0(VALU_DEP_1) | instskip(NEXT) | instid1(VALU_DEP_1)
	v_cvt_i32_f32_e32 v8, v8
	v_ashrrev_i32_e32 v9, 31, v8
	global_store_b64 v[4:5], v[8:9], off
.LBB166_2694:
	s_and_not1_b32 vcc_lo, exec_lo, s0
	s_cbranch_vccnz .LBB166_2696
; %bb.2695:
	v_cvt_f32_f16_e32 v8, v7
	s_delay_alu instid0(VALU_DEP_1)
	v_cvt_i32_f32_e32 v8, v8
	global_store_b32 v[4:5], v8, off
.LBB166_2696:
	s_mov_b32 s0, 0
.LBB166_2697:
	s_delay_alu instid0(SALU_CYCLE_1)
	s_and_not1_b32 vcc_lo, exec_lo, s0
	s_cbranch_vccnz .LBB166_2699
; %bb.2698:
	v_cvt_i16_f16_e32 v8, v7
	global_store_b16 v[4:5], v8, off
.LBB166_2699:
	s_mov_b32 s0, 0
.LBB166_2700:
	s_delay_alu instid0(SALU_CYCLE_1)
	s_and_not1_b32 vcc_lo, exec_lo, s0
	s_cbranch_vccnz .LBB166_2705
; %bb.2701:
	v_cmp_lt_i16_e32 vcc_lo, 0, v6
	s_mov_b32 s0, -1
	s_cbranch_vccz .LBB166_2703
; %bb.2702:
	v_cvt_i16_f16_e32 v8, v7
	s_mov_b32 s0, 0
	global_store_b8 v[4:5], v8, off
.LBB166_2703:
	s_and_not1_b32 vcc_lo, exec_lo, s0
	s_cbranch_vccnz .LBB166_2705
; %bb.2704:
	v_cvt_f32_f16_e32 v7, v7
	s_delay_alu instid0(VALU_DEP_1)
	v_cvt_i32_f32_e32 v7, v7
	global_store_b8 v[4:5], v7, off
.LBB166_2705:
	s_mov_b32 s2, -1
.LBB166_2706:
	s_delay_alu instid0(SALU_CYCLE_1)
	s_and_not1_b32 vcc_lo, exec_lo, s2
	s_cbranch_vccnz .LBB166_3021
; %bb.2707:
	v_cvt_f32_ubyte0_e32 v1, v1
	v_cvt_f32_f16_e32 v5, v10
	s_lshl_b32 s1, s8, 7
	v_cmp_gt_i16_e32 vcc_lo, 11, v6
	v_add_nc_u32_e32 v4, s1, v0
	s_delay_alu instid0(VALU_DEP_3) | instskip(SKIP_1) | instid1(VALU_DEP_2)
	v_mul_f32_e32 v0, v5, v1
	s_and_b32 vcc_lo, exec_lo, vcc_lo
	v_ashrrev_i32_e32 v1, 31, v4
	s_delay_alu instid0(VALU_DEP_2) | instskip(SKIP_1) | instid1(VALU_DEP_1)
	v_fma_mixlo_f16 v5, s11, v0, 0
	v_add_co_u32 v0, s0, s4, v4
	v_add_co_ci_u32_e64 v1, s0, s5, v1, s0
	s_cbranch_vccnz .LBB166_2785
; %bb.2708:
	v_cmp_lt_i16_e32 vcc_lo, 25, v6
	s_mov_b32 s6, -1
	s_mov_b32 s2, 0
	s_mov_b32 s3, 0
	s_mov_b32 s0, 0
	s_cbranch_vccz .LBB166_2741
; %bb.2709:
	v_cmp_lt_i16_e32 vcc_lo, 28, v6
	s_cbranch_vccz .LBB166_2724
; %bb.2710:
	v_cmp_lt_i16_e32 vcc_lo, 43, v6
	;; [unrolled: 3-line block ×3, first 2 shown]
	s_cbranch_vccz .LBB166_2714
; %bb.2712:
	v_cmp_eq_u16_e32 vcc_lo, 46, v6
	s_mov_b32 s0, -1
	s_mov_b32 s6, 0
	s_cbranch_vccz .LBB166_2714
; %bb.2713:
	v_cvt_f32_f16_e32 v7, v5
	v_cmp_o_f16_e32 vcc_lo, v5, v5
	s_mov_b32 s0, 0
	s_mov_b32 s3, -1
	s_delay_alu instid0(VALU_DEP_2) | instskip(NEXT) | instid1(VALU_DEP_1)
	v_bfe_u32 v8, v7, 16, 1
	v_add3_u32 v7, v7, v8, 0x7fff
	s_delay_alu instid0(VALU_DEP_1) | instskip(NEXT) | instid1(VALU_DEP_1)
	v_lshrrev_b32_e32 v7, 16, v7
	v_cndmask_b32_e32 v7, 0x7fc0, v7, vcc_lo
	global_store_b32 v[0:1], v7, off
.LBB166_2714:
	s_and_b32 vcc_lo, exec_lo, s6
	s_cbranch_vccz .LBB166_2719
; %bb.2715:
	v_cmp_eq_u16_e32 vcc_lo, 44, v6
	s_mov_b32 s0, -1
	s_cbranch_vccz .LBB166_2719
; %bb.2716:
	v_cvt_f32_f16_e32 v7, v5
	v_mov_b32_e32 v8, 0xff
	s_mov_b32 s3, exec_lo
	s_delay_alu instid0(VALU_DEP_2) | instskip(NEXT) | instid1(VALU_DEP_1)
	v_bfe_u32 v9, v7, 23, 8
	v_cmpx_ne_u32_e32 0xff, v9
; %bb.2717:
	v_and_b32_e32 v8, 0x400000, v7
	v_and_or_b32 v9, 0x3fffff, v7, v9
	v_lshrrev_b32_e32 v7, 23, v7
	s_delay_alu instid0(VALU_DEP_3) | instskip(NEXT) | instid1(VALU_DEP_3)
	v_cmp_ne_u32_e32 vcc_lo, 0, v8
	v_cmp_ne_u32_e64 s0, 0, v9
	s_delay_alu instid0(VALU_DEP_1) | instskip(NEXT) | instid1(SALU_CYCLE_1)
	s_and_b32 s0, vcc_lo, s0
	v_cndmask_b32_e64 v8, 0, 1, s0
	s_delay_alu instid0(VALU_DEP_1)
	v_add_nc_u32_e32 v8, v7, v8
; %bb.2718:
	s_or_b32 exec_lo, exec_lo, s3
	s_mov_b32 s0, 0
	s_mov_b32 s3, -1
	global_store_b8 v[0:1], v8, off
.LBB166_2719:
	s_mov_b32 s6, 0
.LBB166_2720:
	s_delay_alu instid0(SALU_CYCLE_1)
	s_and_b32 vcc_lo, exec_lo, s6
	s_cbranch_vccz .LBB166_2723
; %bb.2721:
	v_cmp_eq_u16_e32 vcc_lo, 29, v6
	s_mov_b32 s0, -1
	s_cbranch_vccz .LBB166_2723
; %bb.2722:
	v_cvt_f32_f16_e32 v7, v5
	v_mov_b32_e32 v8, 0
	s_mov_b32 s0, 0
	s_mov_b32 s3, -1
	s_delay_alu instid0(VALU_DEP_2)
	v_cvt_u32_f32_e32 v7, v7
	global_store_b64 v[0:1], v[7:8], off
.LBB166_2723:
	s_mov_b32 s6, 0
.LBB166_2724:
	s_delay_alu instid0(SALU_CYCLE_1)
	s_and_b32 vcc_lo, exec_lo, s6
	s_cbranch_vccz .LBB166_2740
; %bb.2725:
	v_cmp_gt_i16_e32 vcc_lo, 27, v6
	s_mov_b32 s3, -1
	s_cbranch_vccnz .LBB166_2731
; %bb.2726:
	v_cmp_lt_i16_e32 vcc_lo, 27, v6
	s_cbranch_vccz .LBB166_2728
; %bb.2727:
	v_cvt_f32_f16_e32 v7, v5
	s_mov_b32 s3, 0
	s_delay_alu instid0(VALU_DEP_1)
	v_cvt_u32_f32_e32 v7, v7
	global_store_b32 v[0:1], v7, off
.LBB166_2728:
	s_and_not1_b32 vcc_lo, exec_lo, s3
	s_cbranch_vccnz .LBB166_2730
; %bb.2729:
	v_cvt_u16_f16_e32 v7, v5
	global_store_b16 v[0:1], v7, off
.LBB166_2730:
	s_mov_b32 s3, 0
.LBB166_2731:
	s_delay_alu instid0(SALU_CYCLE_1)
	s_and_not1_b32 vcc_lo, exec_lo, s3
	s_cbranch_vccnz .LBB166_2739
; %bb.2732:
	v_cvt_f32_f16_e32 v7, v5
	v_mov_b32_e32 v9, 0x80
	s_mov_b32 s3, exec_lo
	s_delay_alu instid0(VALU_DEP_2) | instskip(NEXT) | instid1(VALU_DEP_1)
	v_and_b32_e32 v8, 0x7fffffff, v7
	v_cmpx_gt_u32_e32 0x43800000, v8
	s_cbranch_execz .LBB166_2738
; %bb.2733:
	v_cmp_lt_u32_e32 vcc_lo, 0x3bffffff, v8
	s_mov_b32 s6, 0
                                        ; implicit-def: $vgpr8
	s_and_saveexec_b32 s7, vcc_lo
	s_delay_alu instid0(SALU_CYCLE_1)
	s_xor_b32 s7, exec_lo, s7
	s_cbranch_execz .LBB166_3077
; %bb.2734:
	v_bfe_u32 v8, v7, 20, 1
	s_mov_b32 s6, exec_lo
	s_delay_alu instid0(VALU_DEP_1) | instskip(NEXT) | instid1(VALU_DEP_1)
	v_add3_u32 v8, v7, v8, 0x487ffff
	v_lshrrev_b32_e32 v8, 20, v8
	s_or_saveexec_b32 s7, s7
                                        ; implicit-def: $sgpr8
	s_delay_alu instid0(SALU_CYCLE_1)
	s_xor_b32 exec_lo, exec_lo, s7
	s_cbranch_execnz .LBB166_3078
.LBB166_2735:
	s_or_b32 exec_lo, exec_lo, s7
	v_mov_b32_e32 v9, s8
	s_and_saveexec_b32 s7, s6
.LBB166_2736:
	v_lshrrev_b32_e32 v7, 24, v7
	s_delay_alu instid0(VALU_DEP_1)
	v_and_or_b32 v9, 0x80, v7, v8
.LBB166_2737:
	s_or_b32 exec_lo, exec_lo, s7
.LBB166_2738:
	s_delay_alu instid0(SALU_CYCLE_1)
	s_or_b32 exec_lo, exec_lo, s3
	global_store_b8 v[0:1], v9, off
.LBB166_2739:
	s_mov_b32 s3, -1
.LBB166_2740:
	s_mov_b32 s6, 0
.LBB166_2741:
	s_delay_alu instid0(SALU_CYCLE_1)
	s_and_b32 vcc_lo, exec_lo, s6
	s_cbranch_vccz .LBB166_2781
; %bb.2742:
	v_cmp_lt_i16_e32 vcc_lo, 22, v6
	s_mov_b32 s2, -1
	s_cbranch_vccz .LBB166_2774
; %bb.2743:
	v_cmp_gt_i16_e32 vcc_lo, 24, v6
	s_cbranch_vccnz .LBB166_2763
; %bb.2744:
	v_cmp_lt_i16_e32 vcc_lo, 24, v6
	s_cbranch_vccz .LBB166_2752
; %bb.2745:
	v_cvt_f32_f16_e32 v7, v5
	v_mov_b32_e32 v9, 0x80
	s_mov_b32 s2, exec_lo
	s_delay_alu instid0(VALU_DEP_2) | instskip(NEXT) | instid1(VALU_DEP_1)
	v_and_b32_e32 v8, 0x7fffffff, v7
	v_cmpx_gt_u32_e32 0x47800000, v8
	s_cbranch_execz .LBB166_2751
; %bb.2746:
	v_cmp_lt_u32_e32 vcc_lo, 0x37ffffff, v8
	s_mov_b32 s3, 0
                                        ; implicit-def: $vgpr8
	s_and_saveexec_b32 s6, vcc_lo
	s_delay_alu instid0(SALU_CYCLE_1)
	s_xor_b32 s6, exec_lo, s6
	s_cbranch_execz .LBB166_3083
; %bb.2747:
	v_bfe_u32 v8, v7, 21, 1
	s_mov_b32 s3, exec_lo
	s_delay_alu instid0(VALU_DEP_1) | instskip(NEXT) | instid1(VALU_DEP_1)
	v_add3_u32 v8, v7, v8, 0x88fffff
	v_lshrrev_b32_e32 v8, 21, v8
	s_or_saveexec_b32 s6, s6
                                        ; implicit-def: $sgpr7
	s_delay_alu instid0(SALU_CYCLE_1)
	s_xor_b32 exec_lo, exec_lo, s6
	s_cbranch_execnz .LBB166_3084
.LBB166_2748:
	s_or_b32 exec_lo, exec_lo, s6
	v_mov_b32_e32 v9, s7
	s_and_saveexec_b32 s6, s3
.LBB166_2749:
	v_lshrrev_b32_e32 v7, 24, v7
	s_delay_alu instid0(VALU_DEP_1)
	v_and_or_b32 v9, 0x80, v7, v8
.LBB166_2750:
	s_or_b32 exec_lo, exec_lo, s6
.LBB166_2751:
	s_delay_alu instid0(SALU_CYCLE_1)
	s_or_b32 exec_lo, exec_lo, s2
	s_mov_b32 s2, 0
	global_store_b8 v[0:1], v9, off
.LBB166_2752:
	s_and_b32 vcc_lo, exec_lo, s2
	s_cbranch_vccz .LBB166_2762
; %bb.2753:
	v_cvt_f32_f16_e32 v7, v5
	s_mov_b32 s2, exec_lo
                                        ; implicit-def: $vgpr8
	s_delay_alu instid0(VALU_DEP_1) | instskip(NEXT) | instid1(VALU_DEP_1)
	v_and_b32_e32 v9, 0x7fffffff, v7
	v_cmpx_gt_u32_e32 0x43f00000, v9
	s_xor_b32 s2, exec_lo, s2
	s_cbranch_execz .LBB166_2759
; %bb.2754:
	s_mov_b32 s3, exec_lo
                                        ; implicit-def: $vgpr8
	v_cmpx_lt_u32_e32 0x3c7fffff, v9
	s_xor_b32 s3, exec_lo, s3
; %bb.2755:
	v_bfe_u32 v8, v7, 20, 1
	s_delay_alu instid0(VALU_DEP_1) | instskip(NEXT) | instid1(VALU_DEP_1)
	v_add3_u32 v8, v7, v8, 0x407ffff
	v_and_b32_e32 v9, 0xff00000, v8
	v_lshrrev_b32_e32 v8, 20, v8
	s_delay_alu instid0(VALU_DEP_2) | instskip(NEXT) | instid1(VALU_DEP_2)
	v_cmp_ne_u32_e32 vcc_lo, 0x7f00000, v9
	v_cndmask_b32_e32 v8, 0x7e, v8, vcc_lo
; %bb.2756:
	s_and_not1_saveexec_b32 s3, s3
; %bb.2757:
	v_add_f32_e64 v8, 0x46800000, |v7|
; %bb.2758:
	s_or_b32 exec_lo, exec_lo, s3
                                        ; implicit-def: $vgpr9
.LBB166_2759:
	s_and_not1_saveexec_b32 s2, s2
; %bb.2760:
	v_mov_b32_e32 v8, 0x7f
	v_cmp_lt_u32_e32 vcc_lo, 0x7f800000, v9
	s_delay_alu instid0(VALU_DEP_2)
	v_cndmask_b32_e32 v8, 0x7e, v8, vcc_lo
; %bb.2761:
	s_or_b32 exec_lo, exec_lo, s2
	v_lshrrev_b32_e32 v7, 24, v7
	s_delay_alu instid0(VALU_DEP_1)
	v_and_or_b32 v7, 0x80, v7, v8
	global_store_b8 v[0:1], v7, off
.LBB166_2762:
	s_mov_b32 s2, 0
.LBB166_2763:
	s_delay_alu instid0(SALU_CYCLE_1)
	s_and_not1_b32 vcc_lo, exec_lo, s2
	s_cbranch_vccnz .LBB166_2773
; %bb.2764:
	v_cvt_f32_f16_e32 v7, v5
	s_mov_b32 s2, exec_lo
                                        ; implicit-def: $vgpr8
	s_delay_alu instid0(VALU_DEP_1) | instskip(NEXT) | instid1(VALU_DEP_1)
	v_and_b32_e32 v9, 0x7fffffff, v7
	v_cmpx_gt_u32_e32 0x47800000, v9
	s_xor_b32 s2, exec_lo, s2
	s_cbranch_execz .LBB166_2770
; %bb.2765:
	s_mov_b32 s3, exec_lo
                                        ; implicit-def: $vgpr8
	v_cmpx_lt_u32_e32 0x387fffff, v9
	s_xor_b32 s3, exec_lo, s3
; %bb.2766:
	v_bfe_u32 v8, v7, 21, 1
	s_delay_alu instid0(VALU_DEP_1) | instskip(NEXT) | instid1(VALU_DEP_1)
	v_add3_u32 v8, v7, v8, 0x80fffff
	v_lshrrev_b32_e32 v8, 21, v8
; %bb.2767:
	s_and_not1_saveexec_b32 s3, s3
; %bb.2768:
	v_add_f32_e64 v8, 0x43000000, |v7|
; %bb.2769:
	s_or_b32 exec_lo, exec_lo, s3
                                        ; implicit-def: $vgpr9
.LBB166_2770:
	s_and_not1_saveexec_b32 s2, s2
; %bb.2771:
	v_mov_b32_e32 v8, 0x7f
	v_cmp_lt_u32_e32 vcc_lo, 0x7f800000, v9
	s_delay_alu instid0(VALU_DEP_2)
	v_cndmask_b32_e32 v8, 0x7c, v8, vcc_lo
; %bb.2772:
	s_or_b32 exec_lo, exec_lo, s2
	v_lshrrev_b32_e32 v7, 24, v7
	s_delay_alu instid0(VALU_DEP_1)
	v_and_or_b32 v7, 0x80, v7, v8
	global_store_b8 v[0:1], v7, off
.LBB166_2773:
	s_mov_b32 s2, 0
	s_mov_b32 s3, -1
.LBB166_2774:
	s_and_not1_b32 vcc_lo, exec_lo, s2
	s_mov_b32 s2, 0
	s_cbranch_vccnz .LBB166_2781
; %bb.2775:
	v_cmp_lt_i16_e32 vcc_lo, 14, v6
	s_mov_b32 s2, -1
	s_cbranch_vccz .LBB166_2779
; %bb.2776:
	v_cmp_eq_u16_e32 vcc_lo, 15, v6
	s_mov_b32 s0, -1
	s_cbranch_vccz .LBB166_2778
; %bb.2777:
	v_cvt_f32_f16_e32 v7, v5
	v_cmp_o_f16_e32 vcc_lo, v5, v5
	s_mov_b32 s0, 0
	s_mov_b32 s3, -1
	s_delay_alu instid0(VALU_DEP_2) | instskip(NEXT) | instid1(VALU_DEP_1)
	v_bfe_u32 v8, v7, 16, 1
	v_add3_u32 v7, v7, v8, 0x7fff
	s_delay_alu instid0(VALU_DEP_1) | instskip(NEXT) | instid1(VALU_DEP_1)
	v_lshrrev_b32_e32 v7, 16, v7
	v_cndmask_b32_e32 v7, 0x7fc0, v7, vcc_lo
	global_store_b16 v[0:1], v7, off
.LBB166_2778:
	s_mov_b32 s2, 0
.LBB166_2779:
	s_delay_alu instid0(SALU_CYCLE_1)
	s_and_b32 vcc_lo, exec_lo, s2
	s_mov_b32 s2, 0
	s_cbranch_vccz .LBB166_2781
; %bb.2780:
	v_cmp_ne_u16_e64 s0, 11, v6
	s_mov_b32 s2, -1
.LBB166_2781:
	s_delay_alu instid0(VALU_DEP_1)
	s_and_b32 vcc_lo, exec_lo, s0
	s_cbranch_vccnz .LBB166_3081
; %bb.2782:
	s_and_not1_b32 vcc_lo, exec_lo, s2
	s_cbranch_vccnz .LBB166_2784
.LBB166_2783:
	v_cmp_neq_f16_e32 vcc_lo, 0, v5
	s_mov_b32 s3, -1
	v_cndmask_b32_e64 v7, 0, 1, vcc_lo
	global_store_b8 v[0:1], v7, off
.LBB166_2784:
	s_mov_b32 s0, 0
	s_branch .LBB166_2786
.LBB166_2785:
	s_mov_b32 s0, -1
	s_mov_b32 s3, 0
.LBB166_2786:
	s_and_b32 vcc_lo, exec_lo, s0
	s_cbranch_vccz .LBB166_2825
; %bb.2787:
	v_cmp_gt_i16_e32 vcc_lo, 5, v6
	s_mov_b32 s0, -1
	s_cbranch_vccnz .LBB166_2808
; %bb.2788:
	v_cmp_gt_i16_e32 vcc_lo, 8, v6
	s_cbranch_vccnz .LBB166_2798
; %bb.2789:
	v_cmp_gt_i16_e32 vcc_lo, 9, v6
	s_cbranch_vccnz .LBB166_2795
; %bb.2790:
	v_cmp_lt_i16_e32 vcc_lo, 9, v6
	s_cbranch_vccz .LBB166_2792
; %bb.2791:
	v_cvt_f32_f16_e32 v7, v5
	v_mov_b32_e32 v9, 0
	s_mov_b32 s0, 0
	s_delay_alu instid0(VALU_DEP_2) | instskip(NEXT) | instid1(VALU_DEP_2)
	v_cvt_f64_f32_e32 v[7:8], v7
	v_mov_b32_e32 v10, v9
	global_store_b128 v[0:1], v[7:10], off
.LBB166_2792:
	s_and_not1_b32 vcc_lo, exec_lo, s0
	s_cbranch_vccnz .LBB166_2794
; %bb.2793:
	v_cvt_f32_f16_e32 v7, v5
	v_mov_b32_e32 v8, 0
	global_store_b64 v[0:1], v[7:8], off
.LBB166_2794:
	s_mov_b32 s0, 0
.LBB166_2795:
	s_delay_alu instid0(SALU_CYCLE_1)
	s_and_not1_b32 vcc_lo, exec_lo, s0
	s_cbranch_vccnz .LBB166_2797
; %bb.2796:
	v_and_b32_e32 v7, 0xffff, v5
	global_store_b32 v[0:1], v7, off
.LBB166_2797:
	s_mov_b32 s0, 0
.LBB166_2798:
	s_delay_alu instid0(SALU_CYCLE_1)
	s_and_not1_b32 vcc_lo, exec_lo, s0
	s_cbranch_vccnz .LBB166_2807
; %bb.2799:
	v_cmp_gt_i16_e32 vcc_lo, 6, v6
	s_mov_b32 s0, -1
	s_cbranch_vccnz .LBB166_2805
; %bb.2800:
	v_cmp_lt_i16_e32 vcc_lo, 6, v6
	s_cbranch_vccz .LBB166_2802
; %bb.2801:
	v_cvt_f32_f16_e32 v7, v5
	s_mov_b32 s0, 0
	s_delay_alu instid0(VALU_DEP_1)
	v_cvt_f64_f32_e32 v[7:8], v7
	global_store_b64 v[0:1], v[7:8], off
.LBB166_2802:
	s_and_not1_b32 vcc_lo, exec_lo, s0
	s_cbranch_vccnz .LBB166_2804
; %bb.2803:
	v_cvt_f32_f16_e32 v7, v5
	global_store_b32 v[0:1], v7, off
.LBB166_2804:
	s_mov_b32 s0, 0
.LBB166_2805:
	s_delay_alu instid0(SALU_CYCLE_1)
	s_and_not1_b32 vcc_lo, exec_lo, s0
	s_cbranch_vccnz .LBB166_2807
; %bb.2806:
	global_store_b16 v[0:1], v5, off
.LBB166_2807:
	s_mov_b32 s0, 0
.LBB166_2808:
	s_delay_alu instid0(SALU_CYCLE_1)
	s_and_not1_b32 vcc_lo, exec_lo, s0
	s_cbranch_vccnz .LBB166_2824
; %bb.2809:
	v_cmp_gt_i16_e32 vcc_lo, 2, v6
	s_mov_b32 s0, -1
	s_cbranch_vccnz .LBB166_2819
; %bb.2810:
	v_cmp_gt_i16_e32 vcc_lo, 3, v6
	s_cbranch_vccnz .LBB166_2816
; %bb.2811:
	v_cmp_lt_i16_e32 vcc_lo, 3, v6
	s_cbranch_vccz .LBB166_2813
; %bb.2812:
	v_cvt_f32_f16_e32 v7, v5
	s_mov_b32 s0, 0
	s_delay_alu instid0(VALU_DEP_1) | instskip(NEXT) | instid1(VALU_DEP_1)
	v_cvt_i32_f32_e32 v7, v7
	v_ashrrev_i32_e32 v8, 31, v7
	global_store_b64 v[0:1], v[7:8], off
.LBB166_2813:
	s_and_not1_b32 vcc_lo, exec_lo, s0
	s_cbranch_vccnz .LBB166_2815
; %bb.2814:
	v_cvt_f32_f16_e32 v7, v5
	s_delay_alu instid0(VALU_DEP_1)
	v_cvt_i32_f32_e32 v7, v7
	global_store_b32 v[0:1], v7, off
.LBB166_2815:
	s_mov_b32 s0, 0
.LBB166_2816:
	s_delay_alu instid0(SALU_CYCLE_1)
	s_and_not1_b32 vcc_lo, exec_lo, s0
	s_cbranch_vccnz .LBB166_2818
; %bb.2817:
	v_cvt_i16_f16_e32 v7, v5
	global_store_b16 v[0:1], v7, off
.LBB166_2818:
	s_mov_b32 s0, 0
.LBB166_2819:
	s_delay_alu instid0(SALU_CYCLE_1)
	s_and_not1_b32 vcc_lo, exec_lo, s0
	s_cbranch_vccnz .LBB166_2824
; %bb.2820:
	v_cmp_lt_i16_e32 vcc_lo, 0, v6
	s_mov_b32 s0, -1
	s_cbranch_vccz .LBB166_2822
; %bb.2821:
	v_cvt_i16_f16_e32 v7, v5
	s_mov_b32 s0, 0
	global_store_b8 v[0:1], v7, off
.LBB166_2822:
	s_and_not1_b32 vcc_lo, exec_lo, s0
	s_cbranch_vccnz .LBB166_2824
; %bb.2823:
	v_cvt_f32_f16_e32 v5, v5
	s_delay_alu instid0(VALU_DEP_1)
	v_cvt_i32_f32_e32 v5, v5
	global_store_b8 v[0:1], v5, off
.LBB166_2824:
	s_mov_b32 s3, -1
.LBB166_2825:
	s_delay_alu instid0(SALU_CYCLE_1)
	s_and_not1_b32 vcc_lo, exec_lo, s3
	s_cbranch_vccnz .LBB166_3021
; %bb.2826:
	v_cvt_f32_ubyte0_e32 v0, v2
	v_cvt_f32_f16_e32 v1, v11
	v_add_nc_u32_e32 v2, s1, v4
	v_cmp_gt_i16_e32 vcc_lo, 11, v6
	s_delay_alu instid0(VALU_DEP_3) | instskip(NEXT) | instid1(VALU_DEP_3)
	v_mul_f32_e32 v0, v1, v0
	v_ashrrev_i32_e32 v1, 31, v2
	s_delay_alu instid0(VALU_DEP_2) | instskip(SKIP_1) | instid1(VALU_DEP_1)
	v_fma_mixlo_f16 v4, s11, v0, 0
	v_add_co_u32 v0, s0, s4, v2
	v_add_co_ci_u32_e64 v1, s0, s5, v1, s0
	s_cbranch_vccnz .LBB166_2904
; %bb.2827:
	v_cmp_lt_i16_e32 vcc_lo, 25, v6
	s_mov_b32 s6, -1
	s_mov_b32 s2, 0
	s_mov_b32 s3, 0
	;; [unrolled: 1-line block ×3, first 2 shown]
	s_cbranch_vccz .LBB166_2860
; %bb.2828:
	v_cmp_lt_i16_e32 vcc_lo, 28, v6
	s_cbranch_vccz .LBB166_2843
; %bb.2829:
	v_cmp_lt_i16_e32 vcc_lo, 43, v6
	;; [unrolled: 3-line block ×3, first 2 shown]
	s_cbranch_vccz .LBB166_2833
; %bb.2831:
	v_cmp_eq_u16_e32 vcc_lo, 46, v6
	s_mov_b32 s0, -1
	s_mov_b32 s6, 0
	s_cbranch_vccz .LBB166_2833
; %bb.2832:
	v_cvt_f32_f16_e32 v5, v4
	v_cmp_o_f16_e32 vcc_lo, v4, v4
	s_mov_b32 s0, 0
	s_mov_b32 s3, -1
	s_delay_alu instid0(VALU_DEP_2) | instskip(NEXT) | instid1(VALU_DEP_1)
	v_bfe_u32 v7, v5, 16, 1
	v_add3_u32 v5, v5, v7, 0x7fff
	s_delay_alu instid0(VALU_DEP_1) | instskip(NEXT) | instid1(VALU_DEP_1)
	v_lshrrev_b32_e32 v5, 16, v5
	v_cndmask_b32_e32 v5, 0x7fc0, v5, vcc_lo
	global_store_b32 v[0:1], v5, off
.LBB166_2833:
	s_and_b32 vcc_lo, exec_lo, s6
	s_cbranch_vccz .LBB166_2838
; %bb.2834:
	v_cmp_eq_u16_e32 vcc_lo, 44, v6
	s_mov_b32 s0, -1
	s_cbranch_vccz .LBB166_2838
; %bb.2835:
	v_cvt_f32_f16_e32 v5, v4
	v_mov_b32_e32 v7, 0xff
	s_mov_b32 s3, exec_lo
	s_delay_alu instid0(VALU_DEP_2) | instskip(NEXT) | instid1(VALU_DEP_1)
	v_bfe_u32 v8, v5, 23, 8
	v_cmpx_ne_u32_e32 0xff, v8
; %bb.2836:
	v_and_b32_e32 v7, 0x400000, v5
	v_and_or_b32 v8, 0x3fffff, v5, v8
	v_lshrrev_b32_e32 v5, 23, v5
	s_delay_alu instid0(VALU_DEP_3) | instskip(NEXT) | instid1(VALU_DEP_3)
	v_cmp_ne_u32_e32 vcc_lo, 0, v7
	v_cmp_ne_u32_e64 s0, 0, v8
	s_delay_alu instid0(VALU_DEP_1) | instskip(NEXT) | instid1(SALU_CYCLE_1)
	s_and_b32 s0, vcc_lo, s0
	v_cndmask_b32_e64 v7, 0, 1, s0
	s_delay_alu instid0(VALU_DEP_1)
	v_add_nc_u32_e32 v7, v5, v7
; %bb.2837:
	s_or_b32 exec_lo, exec_lo, s3
	s_mov_b32 s0, 0
	s_mov_b32 s3, -1
	global_store_b8 v[0:1], v7, off
.LBB166_2838:
	s_mov_b32 s6, 0
.LBB166_2839:
	s_delay_alu instid0(SALU_CYCLE_1)
	s_and_b32 vcc_lo, exec_lo, s6
	s_cbranch_vccz .LBB166_2842
; %bb.2840:
	v_cmp_eq_u16_e32 vcc_lo, 29, v6
	s_mov_b32 s0, -1
	s_cbranch_vccz .LBB166_2842
; %bb.2841:
	v_cvt_f32_f16_e32 v5, v4
	v_mov_b32_e32 v8, 0
	s_mov_b32 s0, 0
	s_mov_b32 s3, -1
	s_delay_alu instid0(VALU_DEP_2)
	v_cvt_u32_f32_e32 v7, v5
	global_store_b64 v[0:1], v[7:8], off
.LBB166_2842:
	s_mov_b32 s6, 0
.LBB166_2843:
	s_delay_alu instid0(SALU_CYCLE_1)
	s_and_b32 vcc_lo, exec_lo, s6
	s_cbranch_vccz .LBB166_2859
; %bb.2844:
	v_cmp_gt_i16_e32 vcc_lo, 27, v6
	s_mov_b32 s3, -1
	s_cbranch_vccnz .LBB166_2850
; %bb.2845:
	v_cmp_lt_i16_e32 vcc_lo, 27, v6
	s_cbranch_vccz .LBB166_2847
; %bb.2846:
	v_cvt_f32_f16_e32 v5, v4
	s_mov_b32 s3, 0
	s_delay_alu instid0(VALU_DEP_1)
	v_cvt_u32_f32_e32 v5, v5
	global_store_b32 v[0:1], v5, off
.LBB166_2847:
	s_and_not1_b32 vcc_lo, exec_lo, s3
	s_cbranch_vccnz .LBB166_2849
; %bb.2848:
	v_cvt_u16_f16_e32 v5, v4
	global_store_b16 v[0:1], v5, off
.LBB166_2849:
	s_mov_b32 s3, 0
.LBB166_2850:
	s_delay_alu instid0(SALU_CYCLE_1)
	s_and_not1_b32 vcc_lo, exec_lo, s3
	s_cbranch_vccnz .LBB166_2858
; %bb.2851:
	v_cvt_f32_f16_e32 v5, v4
	v_mov_b32_e32 v8, 0x80
	s_mov_b32 s3, exec_lo
	s_delay_alu instid0(VALU_DEP_2) | instskip(NEXT) | instid1(VALU_DEP_1)
	v_and_b32_e32 v7, 0x7fffffff, v5
	v_cmpx_gt_u32_e32 0x43800000, v7
	s_cbranch_execz .LBB166_2857
; %bb.2852:
	v_cmp_lt_u32_e32 vcc_lo, 0x3bffffff, v7
	s_mov_b32 s6, 0
                                        ; implicit-def: $vgpr7
	s_and_saveexec_b32 s7, vcc_lo
	s_delay_alu instid0(SALU_CYCLE_1)
	s_xor_b32 s7, exec_lo, s7
	s_cbranch_execz .LBB166_3085
; %bb.2853:
	v_bfe_u32 v7, v5, 20, 1
	s_mov_b32 s6, exec_lo
	s_delay_alu instid0(VALU_DEP_1) | instskip(NEXT) | instid1(VALU_DEP_1)
	v_add3_u32 v7, v5, v7, 0x487ffff
	v_lshrrev_b32_e32 v7, 20, v7
	s_or_saveexec_b32 s7, s7
                                        ; implicit-def: $sgpr8
	s_delay_alu instid0(SALU_CYCLE_1)
	s_xor_b32 exec_lo, exec_lo, s7
	s_cbranch_execnz .LBB166_3086
.LBB166_2854:
	s_or_b32 exec_lo, exec_lo, s7
	v_mov_b32_e32 v8, s8
	s_and_saveexec_b32 s7, s6
.LBB166_2855:
	v_lshrrev_b32_e32 v5, 24, v5
	s_delay_alu instid0(VALU_DEP_1)
	v_and_or_b32 v8, 0x80, v5, v7
.LBB166_2856:
	s_or_b32 exec_lo, exec_lo, s7
.LBB166_2857:
	s_delay_alu instid0(SALU_CYCLE_1)
	s_or_b32 exec_lo, exec_lo, s3
	global_store_b8 v[0:1], v8, off
.LBB166_2858:
	s_mov_b32 s3, -1
.LBB166_2859:
	s_mov_b32 s6, 0
.LBB166_2860:
	s_delay_alu instid0(SALU_CYCLE_1)
	s_and_b32 vcc_lo, exec_lo, s6
	s_cbranch_vccz .LBB166_2900
; %bb.2861:
	v_cmp_lt_i16_e32 vcc_lo, 22, v6
	s_mov_b32 s2, -1
	s_cbranch_vccz .LBB166_2893
; %bb.2862:
	v_cmp_gt_i16_e32 vcc_lo, 24, v6
	s_cbranch_vccnz .LBB166_2882
; %bb.2863:
	v_cmp_lt_i16_e32 vcc_lo, 24, v6
	s_cbranch_vccz .LBB166_2871
; %bb.2864:
	v_cvt_f32_f16_e32 v5, v4
	v_mov_b32_e32 v8, 0x80
	s_mov_b32 s2, exec_lo
	s_delay_alu instid0(VALU_DEP_2) | instskip(NEXT) | instid1(VALU_DEP_1)
	v_and_b32_e32 v7, 0x7fffffff, v5
	v_cmpx_gt_u32_e32 0x47800000, v7
	s_cbranch_execz .LBB166_2870
; %bb.2865:
	v_cmp_lt_u32_e32 vcc_lo, 0x37ffffff, v7
	s_mov_b32 s3, 0
                                        ; implicit-def: $vgpr7
	s_and_saveexec_b32 s6, vcc_lo
	s_delay_alu instid0(SALU_CYCLE_1)
	s_xor_b32 s6, exec_lo, s6
	s_cbranch_execz .LBB166_3091
; %bb.2866:
	v_bfe_u32 v7, v5, 21, 1
	s_mov_b32 s3, exec_lo
	s_delay_alu instid0(VALU_DEP_1) | instskip(NEXT) | instid1(VALU_DEP_1)
	v_add3_u32 v7, v5, v7, 0x88fffff
	v_lshrrev_b32_e32 v7, 21, v7
	s_or_saveexec_b32 s6, s6
                                        ; implicit-def: $sgpr7
	s_delay_alu instid0(SALU_CYCLE_1)
	s_xor_b32 exec_lo, exec_lo, s6
	s_cbranch_execnz .LBB166_3092
.LBB166_2867:
	s_or_b32 exec_lo, exec_lo, s6
	v_mov_b32_e32 v8, s7
	s_and_saveexec_b32 s6, s3
.LBB166_2868:
	v_lshrrev_b32_e32 v5, 24, v5
	s_delay_alu instid0(VALU_DEP_1)
	v_and_or_b32 v8, 0x80, v5, v7
.LBB166_2869:
	s_or_b32 exec_lo, exec_lo, s6
.LBB166_2870:
	s_delay_alu instid0(SALU_CYCLE_1)
	s_or_b32 exec_lo, exec_lo, s2
	s_mov_b32 s2, 0
	global_store_b8 v[0:1], v8, off
.LBB166_2871:
	s_and_b32 vcc_lo, exec_lo, s2
	s_cbranch_vccz .LBB166_2881
; %bb.2872:
	v_cvt_f32_f16_e32 v5, v4
	s_mov_b32 s2, exec_lo
                                        ; implicit-def: $vgpr7
	s_delay_alu instid0(VALU_DEP_1) | instskip(NEXT) | instid1(VALU_DEP_1)
	v_and_b32_e32 v8, 0x7fffffff, v5
	v_cmpx_gt_u32_e32 0x43f00000, v8
	s_xor_b32 s2, exec_lo, s2
	s_cbranch_execz .LBB166_2878
; %bb.2873:
	s_mov_b32 s3, exec_lo
                                        ; implicit-def: $vgpr7
	v_cmpx_lt_u32_e32 0x3c7fffff, v8
	s_xor_b32 s3, exec_lo, s3
; %bb.2874:
	v_bfe_u32 v7, v5, 20, 1
	s_delay_alu instid0(VALU_DEP_1) | instskip(NEXT) | instid1(VALU_DEP_1)
	v_add3_u32 v7, v5, v7, 0x407ffff
	v_and_b32_e32 v8, 0xff00000, v7
	v_lshrrev_b32_e32 v7, 20, v7
	s_delay_alu instid0(VALU_DEP_2) | instskip(NEXT) | instid1(VALU_DEP_2)
	v_cmp_ne_u32_e32 vcc_lo, 0x7f00000, v8
	v_cndmask_b32_e32 v7, 0x7e, v7, vcc_lo
; %bb.2875:
	s_and_not1_saveexec_b32 s3, s3
; %bb.2876:
	v_add_f32_e64 v7, 0x46800000, |v5|
; %bb.2877:
	s_or_b32 exec_lo, exec_lo, s3
                                        ; implicit-def: $vgpr8
.LBB166_2878:
	s_and_not1_saveexec_b32 s2, s2
; %bb.2879:
	v_mov_b32_e32 v7, 0x7f
	v_cmp_lt_u32_e32 vcc_lo, 0x7f800000, v8
	s_delay_alu instid0(VALU_DEP_2)
	v_cndmask_b32_e32 v7, 0x7e, v7, vcc_lo
; %bb.2880:
	s_or_b32 exec_lo, exec_lo, s2
	v_lshrrev_b32_e32 v5, 24, v5
	s_delay_alu instid0(VALU_DEP_1)
	v_and_or_b32 v5, 0x80, v5, v7
	global_store_b8 v[0:1], v5, off
.LBB166_2881:
	s_mov_b32 s2, 0
.LBB166_2882:
	s_delay_alu instid0(SALU_CYCLE_1)
	s_and_not1_b32 vcc_lo, exec_lo, s2
	s_cbranch_vccnz .LBB166_2892
; %bb.2883:
	v_cvt_f32_f16_e32 v5, v4
	s_mov_b32 s2, exec_lo
                                        ; implicit-def: $vgpr7
	s_delay_alu instid0(VALU_DEP_1) | instskip(NEXT) | instid1(VALU_DEP_1)
	v_and_b32_e32 v8, 0x7fffffff, v5
	v_cmpx_gt_u32_e32 0x47800000, v8
	s_xor_b32 s2, exec_lo, s2
	s_cbranch_execz .LBB166_2889
; %bb.2884:
	s_mov_b32 s3, exec_lo
                                        ; implicit-def: $vgpr7
	v_cmpx_lt_u32_e32 0x387fffff, v8
	s_xor_b32 s3, exec_lo, s3
; %bb.2885:
	v_bfe_u32 v7, v5, 21, 1
	s_delay_alu instid0(VALU_DEP_1) | instskip(NEXT) | instid1(VALU_DEP_1)
	v_add3_u32 v7, v5, v7, 0x80fffff
	v_lshrrev_b32_e32 v7, 21, v7
; %bb.2886:
	s_and_not1_saveexec_b32 s3, s3
; %bb.2887:
	v_add_f32_e64 v7, 0x43000000, |v5|
; %bb.2888:
	s_or_b32 exec_lo, exec_lo, s3
                                        ; implicit-def: $vgpr8
.LBB166_2889:
	s_and_not1_saveexec_b32 s2, s2
; %bb.2890:
	v_mov_b32_e32 v7, 0x7f
	v_cmp_lt_u32_e32 vcc_lo, 0x7f800000, v8
	s_delay_alu instid0(VALU_DEP_2)
	v_cndmask_b32_e32 v7, 0x7c, v7, vcc_lo
; %bb.2891:
	s_or_b32 exec_lo, exec_lo, s2
	v_lshrrev_b32_e32 v5, 24, v5
	s_delay_alu instid0(VALU_DEP_1)
	v_and_or_b32 v5, 0x80, v5, v7
	global_store_b8 v[0:1], v5, off
.LBB166_2892:
	s_mov_b32 s2, 0
	s_mov_b32 s3, -1
.LBB166_2893:
	s_and_not1_b32 vcc_lo, exec_lo, s2
	s_mov_b32 s2, 0
	s_cbranch_vccnz .LBB166_2900
; %bb.2894:
	v_cmp_lt_i16_e32 vcc_lo, 14, v6
	s_mov_b32 s2, -1
	s_cbranch_vccz .LBB166_2898
; %bb.2895:
	v_cmp_eq_u16_e32 vcc_lo, 15, v6
	s_mov_b32 s0, -1
	s_cbranch_vccz .LBB166_2897
; %bb.2896:
	v_cvt_f32_f16_e32 v5, v4
	v_cmp_o_f16_e32 vcc_lo, v4, v4
	s_mov_b32 s0, 0
	s_mov_b32 s3, -1
	s_delay_alu instid0(VALU_DEP_2) | instskip(NEXT) | instid1(VALU_DEP_1)
	v_bfe_u32 v7, v5, 16, 1
	v_add3_u32 v5, v5, v7, 0x7fff
	s_delay_alu instid0(VALU_DEP_1) | instskip(NEXT) | instid1(VALU_DEP_1)
	v_lshrrev_b32_e32 v5, 16, v5
	v_cndmask_b32_e32 v5, 0x7fc0, v5, vcc_lo
	global_store_b16 v[0:1], v5, off
.LBB166_2897:
	s_mov_b32 s2, 0
.LBB166_2898:
	s_delay_alu instid0(SALU_CYCLE_1)
	s_and_b32 vcc_lo, exec_lo, s2
	s_mov_b32 s2, 0
	s_cbranch_vccz .LBB166_2900
; %bb.2899:
	v_cmp_ne_u16_e64 s0, 11, v6
	s_mov_b32 s2, -1
.LBB166_2900:
	s_delay_alu instid0(VALU_DEP_1)
	s_and_b32 vcc_lo, exec_lo, s0
	s_cbranch_vccnz .LBB166_3089
; %bb.2901:
	s_and_not1_b32 vcc_lo, exec_lo, s2
	s_cbranch_vccnz .LBB166_2903
.LBB166_2902:
	v_cmp_neq_f16_e32 vcc_lo, 0, v4
	s_mov_b32 s3, -1
	v_cndmask_b32_e64 v5, 0, 1, vcc_lo
	global_store_b8 v[0:1], v5, off
.LBB166_2903:
	s_mov_b32 s0, 0
	s_branch .LBB166_2905
.LBB166_2904:
	s_mov_b32 s0, -1
	s_mov_b32 s3, 0
.LBB166_2905:
	s_and_b32 vcc_lo, exec_lo, s0
	s_cbranch_vccz .LBB166_2944
; %bb.2906:
	v_cmp_gt_i16_e32 vcc_lo, 5, v6
	s_mov_b32 s0, -1
	s_cbranch_vccnz .LBB166_2927
; %bb.2907:
	v_cmp_gt_i16_e32 vcc_lo, 8, v6
	s_cbranch_vccnz .LBB166_2917
; %bb.2908:
	v_cmp_gt_i16_e32 vcc_lo, 9, v6
	s_cbranch_vccnz .LBB166_2914
; %bb.2909:
	v_cmp_lt_i16_e32 vcc_lo, 9, v6
	s_cbranch_vccz .LBB166_2911
; %bb.2910:
	v_cvt_f32_f16_e32 v5, v4
	v_mov_b32_e32 v9, 0
	s_mov_b32 s0, 0
	s_delay_alu instid0(VALU_DEP_2) | instskip(NEXT) | instid1(VALU_DEP_2)
	v_cvt_f64_f32_e32 v[7:8], v5
	v_mov_b32_e32 v10, v9
	global_store_b128 v[0:1], v[7:10], off
.LBB166_2911:
	s_and_not1_b32 vcc_lo, exec_lo, s0
	s_cbranch_vccnz .LBB166_2913
; %bb.2912:
	v_cvt_f32_f16_e32 v7, v4
	v_mov_b32_e32 v8, 0
	global_store_b64 v[0:1], v[7:8], off
.LBB166_2913:
	s_mov_b32 s0, 0
.LBB166_2914:
	s_delay_alu instid0(SALU_CYCLE_1)
	s_and_not1_b32 vcc_lo, exec_lo, s0
	s_cbranch_vccnz .LBB166_2916
; %bb.2915:
	v_and_b32_e32 v5, 0xffff, v4
	global_store_b32 v[0:1], v5, off
.LBB166_2916:
	s_mov_b32 s0, 0
.LBB166_2917:
	s_delay_alu instid0(SALU_CYCLE_1)
	s_and_not1_b32 vcc_lo, exec_lo, s0
	s_cbranch_vccnz .LBB166_2926
; %bb.2918:
	v_cmp_gt_i16_e32 vcc_lo, 6, v6
	s_mov_b32 s0, -1
	s_cbranch_vccnz .LBB166_2924
; %bb.2919:
	v_cmp_lt_i16_e32 vcc_lo, 6, v6
	s_cbranch_vccz .LBB166_2921
; %bb.2920:
	v_cvt_f32_f16_e32 v5, v4
	s_mov_b32 s0, 0
	s_delay_alu instid0(VALU_DEP_1)
	v_cvt_f64_f32_e32 v[7:8], v5
	global_store_b64 v[0:1], v[7:8], off
.LBB166_2921:
	s_and_not1_b32 vcc_lo, exec_lo, s0
	s_cbranch_vccnz .LBB166_2923
; %bb.2922:
	v_cvt_f32_f16_e32 v5, v4
	global_store_b32 v[0:1], v5, off
.LBB166_2923:
	s_mov_b32 s0, 0
.LBB166_2924:
	s_delay_alu instid0(SALU_CYCLE_1)
	s_and_not1_b32 vcc_lo, exec_lo, s0
	s_cbranch_vccnz .LBB166_2926
; %bb.2925:
	global_store_b16 v[0:1], v4, off
.LBB166_2926:
	s_mov_b32 s0, 0
.LBB166_2927:
	s_delay_alu instid0(SALU_CYCLE_1)
	s_and_not1_b32 vcc_lo, exec_lo, s0
	s_cbranch_vccnz .LBB166_2943
; %bb.2928:
	v_cmp_gt_i16_e32 vcc_lo, 2, v6
	s_mov_b32 s0, -1
	s_cbranch_vccnz .LBB166_2938
; %bb.2929:
	v_cmp_gt_i16_e32 vcc_lo, 3, v6
	s_cbranch_vccnz .LBB166_2935
; %bb.2930:
	v_cmp_lt_i16_e32 vcc_lo, 3, v6
	s_cbranch_vccz .LBB166_2932
; %bb.2931:
	v_cvt_f32_f16_e32 v5, v4
	s_mov_b32 s0, 0
	s_delay_alu instid0(VALU_DEP_1) | instskip(NEXT) | instid1(VALU_DEP_1)
	v_cvt_i32_f32_e32 v7, v5
	v_ashrrev_i32_e32 v8, 31, v7
	global_store_b64 v[0:1], v[7:8], off
.LBB166_2932:
	s_and_not1_b32 vcc_lo, exec_lo, s0
	s_cbranch_vccnz .LBB166_2934
; %bb.2933:
	v_cvt_f32_f16_e32 v5, v4
	s_delay_alu instid0(VALU_DEP_1)
	v_cvt_i32_f32_e32 v5, v5
	global_store_b32 v[0:1], v5, off
.LBB166_2934:
	s_mov_b32 s0, 0
.LBB166_2935:
	s_delay_alu instid0(SALU_CYCLE_1)
	s_and_not1_b32 vcc_lo, exec_lo, s0
	s_cbranch_vccnz .LBB166_2937
; %bb.2936:
	v_cvt_i16_f16_e32 v5, v4
	global_store_b16 v[0:1], v5, off
.LBB166_2937:
	s_mov_b32 s0, 0
.LBB166_2938:
	s_delay_alu instid0(SALU_CYCLE_1)
	s_and_not1_b32 vcc_lo, exec_lo, s0
	s_cbranch_vccnz .LBB166_2943
; %bb.2939:
	v_cmp_lt_i16_e32 vcc_lo, 0, v6
	s_mov_b32 s0, -1
	s_cbranch_vccz .LBB166_2941
; %bb.2940:
	v_cvt_i16_f16_e32 v5, v4
	s_mov_b32 s0, 0
	global_store_b8 v[0:1], v5, off
.LBB166_2941:
	s_and_not1_b32 vcc_lo, exec_lo, s0
	s_cbranch_vccnz .LBB166_2943
; %bb.2942:
	v_cvt_f32_f16_e32 v4, v4
	s_delay_alu instid0(VALU_DEP_1)
	v_cvt_i32_f32_e32 v4, v4
	global_store_b8 v[0:1], v4, off
.LBB166_2943:
	s_mov_b32 s3, -1
.LBB166_2944:
	s_delay_alu instid0(SALU_CYCLE_1)
	s_and_not1_b32 vcc_lo, exec_lo, s3
	s_cbranch_vccnz .LBB166_3021
; %bb.2945:
	v_cvt_f32_ubyte0_e32 v0, v3
	v_cvt_f32_f16_e32 v1, v12
	v_add_nc_u32_e32 v3, s1, v2
	v_cmp_gt_i16_e32 vcc_lo, 11, v6
	s_delay_alu instid0(VALU_DEP_3) | instskip(NEXT) | instid1(VALU_DEP_3)
	v_mul_f32_e32 v0, v1, v0
	v_ashrrev_i32_e32 v1, 31, v3
	s_delay_alu instid0(VALU_DEP_2) | instskip(SKIP_1) | instid1(VALU_DEP_1)
	v_fma_mixlo_f16 v2, s11, v0, 0
	v_add_co_u32 v0, s0, s4, v3
	v_add_co_ci_u32_e64 v1, s0, s5, v1, s0
	s_cbranch_vccnz .LBB166_3066
; %bb.2946:
	v_cmp_lt_i16_e32 vcc_lo, 25, v6
	s_mov_b32 s2, -1
	s_mov_b32 s1, 0
	s_mov_b32 s0, 0
	s_cbranch_vccz .LBB166_2979
; %bb.2947:
	v_cmp_lt_i16_e32 vcc_lo, 28, v6
	s_cbranch_vccz .LBB166_2963
; %bb.2948:
	v_cmp_lt_i16_e32 vcc_lo, 43, v6
	;; [unrolled: 3-line block ×3, first 2 shown]
	s_cbranch_vccz .LBB166_2953
; %bb.2950:
	v_cmp_eq_u16_e32 vcc_lo, 46, v6
	s_mov_b32 s0, -1
	s_cbranch_vccz .LBB166_2952
; %bb.2951:
	v_cvt_f32_f16_e32 v3, v2
	v_cmp_o_f16_e32 vcc_lo, v2, v2
	s_mov_b32 s0, 0
	s_delay_alu instid0(VALU_DEP_2) | instskip(NEXT) | instid1(VALU_DEP_1)
	v_bfe_u32 v4, v3, 16, 1
	v_add3_u32 v3, v3, v4, 0x7fff
	s_delay_alu instid0(VALU_DEP_1) | instskip(NEXT) | instid1(VALU_DEP_1)
	v_lshrrev_b32_e32 v3, 16, v3
	v_cndmask_b32_e32 v3, 0x7fc0, v3, vcc_lo
	global_store_b32 v[0:1], v3, off
.LBB166_2952:
	s_mov_b32 s2, 0
.LBB166_2953:
	s_delay_alu instid0(SALU_CYCLE_1)
	s_and_b32 vcc_lo, exec_lo, s2
	s_cbranch_vccz .LBB166_2958
; %bb.2954:
	v_cmp_eq_u16_e32 vcc_lo, 44, v6
	s_mov_b32 s0, -1
	s_cbranch_vccz .LBB166_2958
; %bb.2955:
	v_cvt_f32_f16_e32 v3, v2
	v_mov_b32_e32 v4, 0xff
	s_mov_b32 s2, exec_lo
	s_delay_alu instid0(VALU_DEP_2) | instskip(NEXT) | instid1(VALU_DEP_1)
	v_bfe_u32 v5, v3, 23, 8
	v_cmpx_ne_u32_e32 0xff, v5
; %bb.2956:
	v_and_b32_e32 v4, 0x400000, v3
	v_and_or_b32 v5, 0x3fffff, v3, v5
	v_lshrrev_b32_e32 v3, 23, v3
	s_delay_alu instid0(VALU_DEP_3) | instskip(NEXT) | instid1(VALU_DEP_3)
	v_cmp_ne_u32_e32 vcc_lo, 0, v4
	v_cmp_ne_u32_e64 s0, 0, v5
	s_delay_alu instid0(VALU_DEP_1) | instskip(NEXT) | instid1(SALU_CYCLE_1)
	s_and_b32 s0, vcc_lo, s0
	v_cndmask_b32_e64 v4, 0, 1, s0
	s_delay_alu instid0(VALU_DEP_1)
	v_add_nc_u32_e32 v4, v3, v4
; %bb.2957:
	s_or_b32 exec_lo, exec_lo, s2
	s_mov_b32 s0, 0
	global_store_b8 v[0:1], v4, off
.LBB166_2958:
	s_mov_b32 s2, 0
.LBB166_2959:
	s_delay_alu instid0(SALU_CYCLE_1)
	s_and_b32 vcc_lo, exec_lo, s2
	s_cbranch_vccz .LBB166_2962
; %bb.2960:
	v_cmp_eq_u16_e32 vcc_lo, 29, v6
	s_mov_b32 s0, -1
	s_cbranch_vccz .LBB166_2962
; %bb.2961:
	v_cvt_f32_f16_e32 v3, v2
	v_mov_b32_e32 v4, 0
	s_mov_b32 s0, 0
	s_delay_alu instid0(VALU_DEP_2)
	v_cvt_u32_f32_e32 v3, v3
	global_store_b64 v[0:1], v[3:4], off
.LBB166_2962:
	s_mov_b32 s2, 0
.LBB166_2963:
	s_delay_alu instid0(SALU_CYCLE_1)
	s_and_b32 vcc_lo, exec_lo, s2
	s_cbranch_vccz .LBB166_2978
; %bb.2964:
	v_cmp_gt_i16_e32 vcc_lo, 27, v6
	s_mov_b32 s2, -1
	s_cbranch_vccnz .LBB166_2970
; %bb.2965:
	v_cmp_lt_i16_e32 vcc_lo, 27, v6
	s_cbranch_vccz .LBB166_2967
; %bb.2966:
	v_cvt_f32_f16_e32 v3, v2
	s_mov_b32 s2, 0
	s_delay_alu instid0(VALU_DEP_1)
	v_cvt_u32_f32_e32 v3, v3
	global_store_b32 v[0:1], v3, off
.LBB166_2967:
	s_and_not1_b32 vcc_lo, exec_lo, s2
	s_cbranch_vccnz .LBB166_2969
; %bb.2968:
	v_cvt_u16_f16_e32 v3, v2
	global_store_b16 v[0:1], v3, off
.LBB166_2969:
	s_mov_b32 s2, 0
.LBB166_2970:
	s_delay_alu instid0(SALU_CYCLE_1)
	s_and_not1_b32 vcc_lo, exec_lo, s2
	s_cbranch_vccnz .LBB166_2978
; %bb.2971:
	v_cvt_f32_f16_e32 v3, v2
	v_mov_b32_e32 v5, 0x80
	s_mov_b32 s2, exec_lo
	s_delay_alu instid0(VALU_DEP_2) | instskip(NEXT) | instid1(VALU_DEP_1)
	v_and_b32_e32 v4, 0x7fffffff, v3
	v_cmpx_gt_u32_e32 0x43800000, v4
	s_cbranch_execz .LBB166_2977
; %bb.2972:
	v_cmp_lt_u32_e32 vcc_lo, 0x3bffffff, v4
	s_mov_b32 s3, 0
                                        ; implicit-def: $vgpr4
	s_and_saveexec_b32 s4, vcc_lo
	s_delay_alu instid0(SALU_CYCLE_1)
	s_xor_b32 s4, exec_lo, s4
	s_cbranch_execz .LBB166_3093
; %bb.2973:
	v_bfe_u32 v4, v3, 20, 1
	s_mov_b32 s3, exec_lo
	s_delay_alu instid0(VALU_DEP_1) | instskip(NEXT) | instid1(VALU_DEP_1)
	v_add3_u32 v4, v3, v4, 0x487ffff
	v_lshrrev_b32_e32 v4, 20, v4
	s_or_saveexec_b32 s4, s4
                                        ; implicit-def: $sgpr5
	s_delay_alu instid0(SALU_CYCLE_1)
	s_xor_b32 exec_lo, exec_lo, s4
	s_cbranch_execnz .LBB166_3094
.LBB166_2974:
	s_or_b32 exec_lo, exec_lo, s4
	v_mov_b32_e32 v5, s5
	s_and_saveexec_b32 s4, s3
.LBB166_2975:
	v_lshrrev_b32_e32 v3, 24, v3
	s_delay_alu instid0(VALU_DEP_1)
	v_and_or_b32 v5, 0x80, v3, v4
.LBB166_2976:
	s_or_b32 exec_lo, exec_lo, s4
.LBB166_2977:
	s_delay_alu instid0(SALU_CYCLE_1)
	s_or_b32 exec_lo, exec_lo, s2
	global_store_b8 v[0:1], v5, off
.LBB166_2978:
	s_mov_b32 s2, 0
.LBB166_2979:
	s_delay_alu instid0(SALU_CYCLE_1)
	s_and_b32 vcc_lo, exec_lo, s2
	s_cbranch_vccz .LBB166_3019
; %bb.2980:
	v_cmp_lt_i16_e32 vcc_lo, 22, v6
	s_mov_b32 s1, -1
	s_cbranch_vccz .LBB166_3012
; %bb.2981:
	v_cmp_gt_i16_e32 vcc_lo, 24, v6
	s_cbranch_vccnz .LBB166_3001
; %bb.2982:
	v_cmp_lt_i16_e32 vcc_lo, 24, v6
	s_cbranch_vccz .LBB166_2990
; %bb.2983:
	v_cvt_f32_f16_e32 v3, v2
	v_mov_b32_e32 v5, 0x80
	s_mov_b32 s1, exec_lo
	s_delay_alu instid0(VALU_DEP_2) | instskip(NEXT) | instid1(VALU_DEP_1)
	v_and_b32_e32 v4, 0x7fffffff, v3
	v_cmpx_gt_u32_e32 0x47800000, v4
	s_cbranch_execz .LBB166_2989
; %bb.2984:
	v_cmp_lt_u32_e32 vcc_lo, 0x37ffffff, v4
	s_mov_b32 s2, 0
                                        ; implicit-def: $vgpr4
	s_and_saveexec_b32 s3, vcc_lo
	s_delay_alu instid0(SALU_CYCLE_1)
	s_xor_b32 s3, exec_lo, s3
	s_cbranch_execz .LBB166_3099
; %bb.2985:
	v_bfe_u32 v4, v3, 21, 1
	s_mov_b32 s2, exec_lo
	s_delay_alu instid0(VALU_DEP_1) | instskip(NEXT) | instid1(VALU_DEP_1)
	v_add3_u32 v4, v3, v4, 0x88fffff
	v_lshrrev_b32_e32 v4, 21, v4
	s_or_saveexec_b32 s3, s3
                                        ; implicit-def: $sgpr4
	s_delay_alu instid0(SALU_CYCLE_1)
	s_xor_b32 exec_lo, exec_lo, s3
	s_cbranch_execnz .LBB166_3100
.LBB166_2986:
	s_or_b32 exec_lo, exec_lo, s3
	v_mov_b32_e32 v5, s4
	s_and_saveexec_b32 s3, s2
.LBB166_2987:
	v_lshrrev_b32_e32 v3, 24, v3
	s_delay_alu instid0(VALU_DEP_1)
	v_and_or_b32 v5, 0x80, v3, v4
.LBB166_2988:
	s_or_b32 exec_lo, exec_lo, s3
.LBB166_2989:
	s_delay_alu instid0(SALU_CYCLE_1)
	s_or_b32 exec_lo, exec_lo, s1
	s_mov_b32 s1, 0
	global_store_b8 v[0:1], v5, off
.LBB166_2990:
	s_and_b32 vcc_lo, exec_lo, s1
	s_cbranch_vccz .LBB166_3000
; %bb.2991:
	v_cvt_f32_f16_e32 v3, v2
	s_mov_b32 s1, exec_lo
                                        ; implicit-def: $vgpr4
	s_delay_alu instid0(VALU_DEP_1) | instskip(NEXT) | instid1(VALU_DEP_1)
	v_and_b32_e32 v5, 0x7fffffff, v3
	v_cmpx_gt_u32_e32 0x43f00000, v5
	s_xor_b32 s1, exec_lo, s1
	s_cbranch_execz .LBB166_2997
; %bb.2992:
	s_mov_b32 s2, exec_lo
                                        ; implicit-def: $vgpr4
	v_cmpx_lt_u32_e32 0x3c7fffff, v5
	s_xor_b32 s2, exec_lo, s2
; %bb.2993:
	v_bfe_u32 v4, v3, 20, 1
	s_delay_alu instid0(VALU_DEP_1) | instskip(NEXT) | instid1(VALU_DEP_1)
	v_add3_u32 v4, v3, v4, 0x407ffff
	v_and_b32_e32 v5, 0xff00000, v4
	v_lshrrev_b32_e32 v4, 20, v4
	s_delay_alu instid0(VALU_DEP_2) | instskip(NEXT) | instid1(VALU_DEP_2)
	v_cmp_ne_u32_e32 vcc_lo, 0x7f00000, v5
	v_cndmask_b32_e32 v4, 0x7e, v4, vcc_lo
; %bb.2994:
	s_and_not1_saveexec_b32 s2, s2
; %bb.2995:
	v_add_f32_e64 v4, 0x46800000, |v3|
; %bb.2996:
	s_or_b32 exec_lo, exec_lo, s2
                                        ; implicit-def: $vgpr5
.LBB166_2997:
	s_and_not1_saveexec_b32 s1, s1
; %bb.2998:
	v_mov_b32_e32 v4, 0x7f
	v_cmp_lt_u32_e32 vcc_lo, 0x7f800000, v5
	s_delay_alu instid0(VALU_DEP_2)
	v_cndmask_b32_e32 v4, 0x7e, v4, vcc_lo
; %bb.2999:
	s_or_b32 exec_lo, exec_lo, s1
	v_lshrrev_b32_e32 v3, 24, v3
	s_delay_alu instid0(VALU_DEP_1)
	v_and_or_b32 v3, 0x80, v3, v4
	global_store_b8 v[0:1], v3, off
.LBB166_3000:
	s_mov_b32 s1, 0
.LBB166_3001:
	s_delay_alu instid0(SALU_CYCLE_1)
	s_and_not1_b32 vcc_lo, exec_lo, s1
	s_cbranch_vccnz .LBB166_3011
; %bb.3002:
	v_cvt_f32_f16_e32 v3, v2
	s_mov_b32 s1, exec_lo
                                        ; implicit-def: $vgpr4
	s_delay_alu instid0(VALU_DEP_1) | instskip(NEXT) | instid1(VALU_DEP_1)
	v_and_b32_e32 v5, 0x7fffffff, v3
	v_cmpx_gt_u32_e32 0x47800000, v5
	s_xor_b32 s1, exec_lo, s1
	s_cbranch_execz .LBB166_3008
; %bb.3003:
	s_mov_b32 s2, exec_lo
                                        ; implicit-def: $vgpr4
	v_cmpx_lt_u32_e32 0x387fffff, v5
	s_xor_b32 s2, exec_lo, s2
; %bb.3004:
	v_bfe_u32 v4, v3, 21, 1
	s_delay_alu instid0(VALU_DEP_1) | instskip(NEXT) | instid1(VALU_DEP_1)
	v_add3_u32 v4, v3, v4, 0x80fffff
	v_lshrrev_b32_e32 v4, 21, v4
; %bb.3005:
	s_and_not1_saveexec_b32 s2, s2
; %bb.3006:
	v_add_f32_e64 v4, 0x43000000, |v3|
; %bb.3007:
	s_or_b32 exec_lo, exec_lo, s2
                                        ; implicit-def: $vgpr5
.LBB166_3008:
	s_and_not1_saveexec_b32 s1, s1
; %bb.3009:
	v_mov_b32_e32 v4, 0x7f
	v_cmp_lt_u32_e32 vcc_lo, 0x7f800000, v5
	s_delay_alu instid0(VALU_DEP_2)
	v_cndmask_b32_e32 v4, 0x7c, v4, vcc_lo
; %bb.3010:
	s_or_b32 exec_lo, exec_lo, s1
	v_lshrrev_b32_e32 v3, 24, v3
	s_delay_alu instid0(VALU_DEP_1)
	v_and_or_b32 v3, 0x80, v3, v4
	global_store_b8 v[0:1], v3, off
.LBB166_3011:
	s_mov_b32 s1, 0
.LBB166_3012:
	s_delay_alu instid0(SALU_CYCLE_1)
	s_and_not1_b32 vcc_lo, exec_lo, s1
	s_mov_b32 s1, 0
	s_cbranch_vccnz .LBB166_3019
; %bb.3013:
	v_cmp_lt_i16_e32 vcc_lo, 14, v6
	s_mov_b32 s1, -1
	s_cbranch_vccz .LBB166_3017
; %bb.3014:
	v_cmp_eq_u16_e32 vcc_lo, 15, v6
	s_mov_b32 s0, -1
	s_cbranch_vccz .LBB166_3016
; %bb.3015:
	v_cvt_f32_f16_e32 v3, v2
	v_cmp_o_f16_e32 vcc_lo, v2, v2
	s_mov_b32 s0, 0
	s_delay_alu instid0(VALU_DEP_2) | instskip(NEXT) | instid1(VALU_DEP_1)
	v_bfe_u32 v4, v3, 16, 1
	v_add3_u32 v3, v3, v4, 0x7fff
	s_delay_alu instid0(VALU_DEP_1) | instskip(NEXT) | instid1(VALU_DEP_1)
	v_lshrrev_b32_e32 v3, 16, v3
	v_cndmask_b32_e32 v3, 0x7fc0, v3, vcc_lo
	global_store_b16 v[0:1], v3, off
.LBB166_3016:
	s_mov_b32 s1, 0
.LBB166_3017:
	s_delay_alu instid0(SALU_CYCLE_1)
	s_and_b32 vcc_lo, exec_lo, s1
	s_mov_b32 s1, 0
	s_cbranch_vccz .LBB166_3019
; %bb.3018:
	v_cmp_ne_u16_e64 s0, 11, v6
	s_mov_b32 s1, -1
.LBB166_3019:
	s_delay_alu instid0(VALU_DEP_1)
	s_and_b32 vcc_lo, exec_lo, s0
	s_cbranch_vccnz .LBB166_3097
.LBB166_3020:
	s_mov_b32 s0, 0
	s_branch .LBB166_3022
.LBB166_3021:
	s_mov_b32 s0, 0
	s_mov_b32 s1, 0
                                        ; implicit-def: $vgpr6
                                        ; implicit-def: $vgpr0_vgpr1
                                        ; implicit-def: $vgpr2
.LBB166_3022:
	s_and_not1_b32 s2, s16, exec_lo
	s_and_b32 s3, s13, exec_lo
	s_and_b32 s0, s0, exec_lo
	;; [unrolled: 1-line block ×3, first 2 shown]
	s_or_b32 s16, s2, s3
.LBB166_3023:
	s_or_b32 exec_lo, exec_lo, s15
	s_and_saveexec_b32 s1, s16
	s_cbranch_execz .LBB166_3026
; %bb.3024:
	; divergent unreachable
	s_or_b32 exec_lo, exec_lo, s1
	s_and_saveexec_b32 s1, s13
	s_delay_alu instid0(SALU_CYCLE_1)
	s_xor_b32 s1, exec_lo, s1
	s_cbranch_execnz .LBB166_3027
.LBB166_3025:
	s_or_b32 exec_lo, exec_lo, s1
	s_and_saveexec_b32 s1, s0
	s_cbranch_execnz .LBB166_3028
	s_branch .LBB166_3065
.LBB166_3026:
	s_or_b32 exec_lo, exec_lo, s1
	s_and_saveexec_b32 s1, s13
	s_delay_alu instid0(SALU_CYCLE_1)
	s_xor_b32 s1, exec_lo, s1
	s_cbranch_execz .LBB166_3025
.LBB166_3027:
	s_waitcnt vmcnt(0)
	s_delay_alu instid0(VALU_DEP_1)
	v_cmp_neq_f16_e32 vcc_lo, 0, v2
	v_cndmask_b32_e64 v3, 0, 1, vcc_lo
	global_store_b8 v[0:1], v3, off
	s_or_b32 exec_lo, exec_lo, s1
	s_and_saveexec_b32 s1, s0
	s_cbranch_execz .LBB166_3065
.LBB166_3028:
	v_cmp_gt_i16_e32 vcc_lo, 5, v6
	s_mov_b32 s0, -1
	s_cbranch_vccnz .LBB166_3049
; %bb.3029:
	v_cmp_gt_i16_e32 vcc_lo, 8, v6
	s_cbranch_vccnz .LBB166_3039
; %bb.3030:
	v_cmp_gt_i16_e32 vcc_lo, 9, v6
	s_cbranch_vccnz .LBB166_3036
; %bb.3031:
	v_cmp_lt_i16_e32 vcc_lo, 9, v6
	s_cbranch_vccz .LBB166_3033
; %bb.3032:
	s_waitcnt vmcnt(0)
	v_cvt_f32_f16_e32 v3, v2
	v_mov_b32_e32 v9, 0
	s_mov_b32 s0, 0
	s_delay_alu instid0(VALU_DEP_2) | instskip(NEXT) | instid1(VALU_DEP_2)
	v_cvt_f64_f32_e32 v[7:8], v3
	v_mov_b32_e32 v10, v9
	global_store_b128 v[0:1], v[7:10], off
.LBB166_3033:
	s_and_not1_b32 vcc_lo, exec_lo, s0
	s_cbranch_vccnz .LBB166_3035
; %bb.3034:
	s_waitcnt vmcnt(0)
	v_cvt_f32_f16_e32 v3, v2
	v_mov_b32_e32 v4, 0
	global_store_b64 v[0:1], v[3:4], off
.LBB166_3035:
	s_mov_b32 s0, 0
.LBB166_3036:
	s_delay_alu instid0(SALU_CYCLE_1)
	s_and_not1_b32 vcc_lo, exec_lo, s0
	s_cbranch_vccnz .LBB166_3038
; %bb.3037:
	s_waitcnt vmcnt(0)
	v_and_b32_e32 v3, 0xffff, v2
	global_store_b32 v[0:1], v3, off
.LBB166_3038:
	s_mov_b32 s0, 0
.LBB166_3039:
	s_delay_alu instid0(SALU_CYCLE_1)
	s_and_not1_b32 vcc_lo, exec_lo, s0
	s_cbranch_vccnz .LBB166_3048
; %bb.3040:
	v_cmp_gt_i16_e32 vcc_lo, 6, v6
	s_mov_b32 s0, -1
	s_cbranch_vccnz .LBB166_3046
; %bb.3041:
	v_cmp_lt_i16_e32 vcc_lo, 6, v6
	s_cbranch_vccz .LBB166_3043
; %bb.3042:
	s_waitcnt vmcnt(0)
	v_cvt_f32_f16_e32 v3, v2
	s_mov_b32 s0, 0
	s_delay_alu instid0(VALU_DEP_1)
	v_cvt_f64_f32_e32 v[3:4], v3
	global_store_b64 v[0:1], v[3:4], off
.LBB166_3043:
	s_and_not1_b32 vcc_lo, exec_lo, s0
	s_cbranch_vccnz .LBB166_3045
; %bb.3044:
	s_waitcnt vmcnt(0)
	v_cvt_f32_f16_e32 v3, v2
	global_store_b32 v[0:1], v3, off
.LBB166_3045:
	s_mov_b32 s0, 0
.LBB166_3046:
	s_delay_alu instid0(SALU_CYCLE_1)
	s_and_not1_b32 vcc_lo, exec_lo, s0
	s_cbranch_vccnz .LBB166_3048
; %bb.3047:
	s_waitcnt vmcnt(0)
	global_store_b16 v[0:1], v2, off
.LBB166_3048:
	s_mov_b32 s0, 0
.LBB166_3049:
	s_delay_alu instid0(SALU_CYCLE_1)
	s_and_not1_b32 vcc_lo, exec_lo, s0
	s_cbranch_vccnz .LBB166_3065
; %bb.3050:
	v_cmp_gt_i16_e32 vcc_lo, 2, v6
	s_mov_b32 s0, -1
	s_cbranch_vccnz .LBB166_3060
; %bb.3051:
	v_cmp_gt_i16_e32 vcc_lo, 3, v6
	s_cbranch_vccnz .LBB166_3057
; %bb.3052:
	v_cmp_lt_i16_e32 vcc_lo, 3, v6
	s_cbranch_vccz .LBB166_3054
; %bb.3053:
	s_waitcnt vmcnt(0)
	v_cvt_f32_f16_e32 v3, v2
	s_mov_b32 s0, 0
	s_delay_alu instid0(VALU_DEP_1) | instskip(NEXT) | instid1(VALU_DEP_1)
	v_cvt_i32_f32_e32 v3, v3
	v_ashrrev_i32_e32 v4, 31, v3
	global_store_b64 v[0:1], v[3:4], off
.LBB166_3054:
	s_and_not1_b32 vcc_lo, exec_lo, s0
	s_cbranch_vccnz .LBB166_3056
; %bb.3055:
	s_waitcnt vmcnt(0)
	v_cvt_f32_f16_e32 v3, v2
	s_delay_alu instid0(VALU_DEP_1)
	v_cvt_i32_f32_e32 v3, v3
	global_store_b32 v[0:1], v3, off
.LBB166_3056:
	s_mov_b32 s0, 0
.LBB166_3057:
	s_delay_alu instid0(SALU_CYCLE_1)
	s_and_not1_b32 vcc_lo, exec_lo, s0
	s_cbranch_vccnz .LBB166_3059
; %bb.3058:
	s_waitcnt vmcnt(0)
	v_cvt_i16_f16_e32 v3, v2
	global_store_b16 v[0:1], v3, off
.LBB166_3059:
	s_mov_b32 s0, 0
.LBB166_3060:
	s_delay_alu instid0(SALU_CYCLE_1)
	s_and_not1_b32 vcc_lo, exec_lo, s0
	s_cbranch_vccnz .LBB166_3065
; %bb.3061:
	v_cmp_lt_i16_e32 vcc_lo, 0, v6
	s_mov_b32 s0, -1
	s_cbranch_vccz .LBB166_3063
; %bb.3062:
	s_waitcnt vmcnt(0)
	v_cvt_i16_f16_e32 v3, v2
	s_mov_b32 s0, 0
	global_store_b8 v[0:1], v3, off
.LBB166_3063:
	s_and_not1_b32 vcc_lo, exec_lo, s0
	s_cbranch_vccnz .LBB166_3065
; %bb.3064:
	s_waitcnt vmcnt(0)
	v_cvt_f32_f16_e32 v2, v2
	s_delay_alu instid0(VALU_DEP_1)
	v_cvt_i32_f32_e32 v2, v2
	global_store_b8 v[0:1], v2, off
	s_nop 0
	s_sendmsg sendmsg(MSG_DEALLOC_VGPRS)
	s_endpgm
.LBB166_3065:
	s_nop 0
	s_sendmsg sendmsg(MSG_DEALLOC_VGPRS)
	s_endpgm
.LBB166_3066:
	s_mov_b32 s1, 0
	s_mov_b32 s0, -1
	s_branch .LBB166_3022
.LBB166_3067:
	s_cbranch_execnz .LBB166_3071
; %bb.3068:
	s_or_b32 s13, s13, exec_lo
                                        ; implicit-def: $vgpr3
	s_cbranch_execz .LBB166_2536
	s_branch .LBB166_2537
.LBB166_3069:
	s_or_saveexec_b32 s6, s6
                                        ; implicit-def: $sgpr7
	s_delay_alu instid0(SALU_CYCLE_1)
	s_xor_b32 exec_lo, exec_lo, s6
	s_cbranch_execz .LBB166_2616
.LBB166_3070:
	v_add_f32_e64 v9, 0x46000000, |v8|
	s_and_not1_b32 s3, s3, exec_lo
	s_mov_b32 s7, 0
	s_delay_alu instid0(VALU_DEP_1) | instskip(NEXT) | instid1(VALU_DEP_1)
	v_and_b32_e32 v9, 0xff, v9
	v_cmp_ne_u32_e32 vcc_lo, 0, v9
	s_and_b32 s9, vcc_lo, exec_lo
	s_delay_alu instid0(SALU_CYCLE_1)
	s_or_b32 s3, s3, s9
	s_or_b32 exec_lo, exec_lo, s6
	v_mov_b32_e32 v13, s7
	s_and_saveexec_b32 s6, s3
	s_cbranch_execnz .LBB166_2617
	s_branch .LBB166_2618
.LBB166_3071:
	s_trap 2
	s_sendmsg_rtn_b32 s0, sendmsg(MSG_RTN_GET_DOORBELL)
	s_mov_b32 ttmp2, m0
	s_waitcnt lgkmcnt(0)
	s_and_b32 s0, s0, 0x3ff
	s_delay_alu instid0(SALU_CYCLE_1) | instskip(NEXT) | instid1(SALU_CYCLE_1)
	s_bitset1_b32 s0, 10
	s_mov_b32 m0, s0
	s_sendmsg sendmsg(MSG_INTERRUPT)
	s_mov_b32 m0, ttmp2
.LBB166_3072:                           ; =>This Inner Loop Header: Depth=1
	s_sethalt 5
	s_branch .LBB166_3072
.LBB166_3073:
	s_cbranch_execnz .LBB166_3079
; %bb.3074:
	s_or_b32 s13, s13, exec_lo
	s_cbranch_execz .LBB166_2664
	s_branch .LBB166_2665
.LBB166_3075:
	s_or_saveexec_b32 s3, s3
                                        ; implicit-def: $sgpr6
	s_delay_alu instid0(SALU_CYCLE_1)
	s_xor_b32 exec_lo, exec_lo, s3
	s_cbranch_execz .LBB166_2629
.LBB166_3076:
	v_add_f32_e64 v9, 0x42800000, |v8|
	s_and_not1_b32 s2, s2, exec_lo
	s_mov_b32 s6, 0
	s_delay_alu instid0(VALU_DEP_1) | instskip(NEXT) | instid1(VALU_DEP_1)
	v_and_b32_e32 v9, 0xff, v9
	v_cmp_ne_u32_e32 vcc_lo, 0, v9
	s_and_b32 s7, vcc_lo, exec_lo
	s_delay_alu instid0(SALU_CYCLE_1)
	s_or_b32 s2, s2, s7
	s_or_b32 exec_lo, exec_lo, s3
	v_mov_b32_e32 v13, s6
	s_and_saveexec_b32 s3, s2
	s_cbranch_execnz .LBB166_2630
	s_branch .LBB166_2631
.LBB166_3077:
	s_or_saveexec_b32 s7, s7
                                        ; implicit-def: $sgpr8
	s_delay_alu instid0(SALU_CYCLE_1)
	s_xor_b32 exec_lo, exec_lo, s7
	s_cbranch_execz .LBB166_2735
.LBB166_3078:
	v_add_f32_e64 v8, 0x46000000, |v7|
	s_and_not1_b32 s6, s6, exec_lo
	s_mov_b32 s8, 0
	s_delay_alu instid0(VALU_DEP_1) | instskip(NEXT) | instid1(VALU_DEP_1)
	v_and_b32_e32 v8, 0xff, v8
	v_cmp_ne_u32_e32 vcc_lo, 0, v8
	s_and_b32 s9, vcc_lo, exec_lo
	s_delay_alu instid0(SALU_CYCLE_1)
	s_or_b32 s6, s6, s9
	s_or_b32 exec_lo, exec_lo, s7
	v_mov_b32_e32 v9, s8
	s_and_saveexec_b32 s7, s6
	s_cbranch_execnz .LBB166_2736
	s_branch .LBB166_2737
.LBB166_3079:
	s_trap 2
	s_sendmsg_rtn_b32 s0, sendmsg(MSG_RTN_GET_DOORBELL)
	s_mov_b32 ttmp2, m0
	s_waitcnt lgkmcnt(0)
	s_and_b32 s0, s0, 0x3ff
	s_delay_alu instid0(SALU_CYCLE_1) | instskip(NEXT) | instid1(SALU_CYCLE_1)
	s_bitset1_b32 s0, 10
	s_mov_b32 m0, s0
	s_sendmsg sendmsg(MSG_INTERRUPT)
	s_mov_b32 m0, ttmp2
.LBB166_3080:                           ; =>This Inner Loop Header: Depth=1
	s_sethalt 5
	s_branch .LBB166_3080
.LBB166_3081:
	s_cbranch_execnz .LBB166_3087
; %bb.3082:
	s_or_b32 s13, s13, exec_lo
	s_cbranch_execz .LBB166_2783
	s_branch .LBB166_2784
.LBB166_3083:
	s_or_saveexec_b32 s6, s6
                                        ; implicit-def: $sgpr7
	s_delay_alu instid0(SALU_CYCLE_1)
	s_xor_b32 exec_lo, exec_lo, s6
	s_cbranch_execz .LBB166_2748
.LBB166_3084:
	v_add_f32_e64 v8, 0x42800000, |v7|
	s_and_not1_b32 s3, s3, exec_lo
	s_mov_b32 s7, 0
	s_delay_alu instid0(VALU_DEP_1) | instskip(NEXT) | instid1(VALU_DEP_1)
	v_and_b32_e32 v8, 0xff, v8
	v_cmp_ne_u32_e32 vcc_lo, 0, v8
	s_and_b32 s8, vcc_lo, exec_lo
	s_delay_alu instid0(SALU_CYCLE_1)
	s_or_b32 s3, s3, s8
	s_or_b32 exec_lo, exec_lo, s6
	v_mov_b32_e32 v9, s7
	s_and_saveexec_b32 s6, s3
	s_cbranch_execnz .LBB166_2749
	s_branch .LBB166_2750
.LBB166_3085:
	s_or_saveexec_b32 s7, s7
                                        ; implicit-def: $sgpr8
	s_delay_alu instid0(SALU_CYCLE_1)
	s_xor_b32 exec_lo, exec_lo, s7
	s_cbranch_execz .LBB166_2854
.LBB166_3086:
	v_add_f32_e64 v7, 0x46000000, |v5|
	s_and_not1_b32 s6, s6, exec_lo
	s_mov_b32 s8, 0
	s_delay_alu instid0(VALU_DEP_1) | instskip(NEXT) | instid1(VALU_DEP_1)
	v_and_b32_e32 v7, 0xff, v7
	v_cmp_ne_u32_e32 vcc_lo, 0, v7
	s_and_b32 s9, vcc_lo, exec_lo
	s_delay_alu instid0(SALU_CYCLE_1)
	s_or_b32 s6, s6, s9
	s_or_b32 exec_lo, exec_lo, s7
	v_mov_b32_e32 v8, s8
	s_and_saveexec_b32 s7, s6
	s_cbranch_execnz .LBB166_2855
	s_branch .LBB166_2856
.LBB166_3087:
	s_trap 2
	s_sendmsg_rtn_b32 s0, sendmsg(MSG_RTN_GET_DOORBELL)
	s_mov_b32 ttmp2, m0
	s_waitcnt lgkmcnt(0)
	s_and_b32 s0, s0, 0x3ff
	s_delay_alu instid0(SALU_CYCLE_1) | instskip(NEXT) | instid1(SALU_CYCLE_1)
	s_bitset1_b32 s0, 10
	s_mov_b32 m0, s0
	s_sendmsg sendmsg(MSG_INTERRUPT)
	s_mov_b32 m0, ttmp2
.LBB166_3088:                           ; =>This Inner Loop Header: Depth=1
	s_sethalt 5
	s_branch .LBB166_3088
.LBB166_3089:
	s_cbranch_execnz .LBB166_3095
; %bb.3090:
	s_or_b32 s13, s13, exec_lo
	s_cbranch_execz .LBB166_2902
	s_branch .LBB166_2903
.LBB166_3091:
	s_or_saveexec_b32 s6, s6
                                        ; implicit-def: $sgpr7
	s_delay_alu instid0(SALU_CYCLE_1)
	s_xor_b32 exec_lo, exec_lo, s6
	s_cbranch_execz .LBB166_2867
.LBB166_3092:
	v_add_f32_e64 v7, 0x42800000, |v5|
	s_and_not1_b32 s3, s3, exec_lo
	s_mov_b32 s7, 0
	s_delay_alu instid0(VALU_DEP_1) | instskip(NEXT) | instid1(VALU_DEP_1)
	v_and_b32_e32 v7, 0xff, v7
	v_cmp_ne_u32_e32 vcc_lo, 0, v7
	s_and_b32 s8, vcc_lo, exec_lo
	s_delay_alu instid0(SALU_CYCLE_1)
	s_or_b32 s3, s3, s8
	s_or_b32 exec_lo, exec_lo, s6
	v_mov_b32_e32 v8, s7
	s_and_saveexec_b32 s6, s3
	s_cbranch_execnz .LBB166_2868
	s_branch .LBB166_2869
.LBB166_3093:
	s_or_saveexec_b32 s4, s4
                                        ; implicit-def: $sgpr5
	s_delay_alu instid0(SALU_CYCLE_1)
	s_xor_b32 exec_lo, exec_lo, s4
	s_cbranch_execz .LBB166_2974
.LBB166_3094:
	v_add_f32_e64 v4, 0x46000000, |v3|
	s_and_not1_b32 s3, s3, exec_lo
	s_mov_b32 s5, 0
	s_delay_alu instid0(VALU_DEP_1) | instskip(NEXT) | instid1(VALU_DEP_1)
	v_and_b32_e32 v4, 0xff, v4
	v_cmp_ne_u32_e32 vcc_lo, 0, v4
	s_and_b32 s6, vcc_lo, exec_lo
	s_delay_alu instid0(SALU_CYCLE_1)
	s_or_b32 s3, s3, s6
	s_or_b32 exec_lo, exec_lo, s4
	v_mov_b32_e32 v5, s5
	s_and_saveexec_b32 s4, s3
	s_cbranch_execnz .LBB166_2975
	s_branch .LBB166_2976
.LBB166_3095:
	s_trap 2
	s_sendmsg_rtn_b32 s0, sendmsg(MSG_RTN_GET_DOORBELL)
	s_mov_b32 ttmp2, m0
	s_waitcnt lgkmcnt(0)
	s_and_b32 s0, s0, 0x3ff
	s_delay_alu instid0(SALU_CYCLE_1) | instskip(NEXT) | instid1(SALU_CYCLE_1)
	s_bitset1_b32 s0, 10
	s_mov_b32 m0, s0
	s_sendmsg sendmsg(MSG_INTERRUPT)
	s_mov_b32 m0, ttmp2
.LBB166_3096:                           ; =>This Inner Loop Header: Depth=1
	s_sethalt 5
	s_branch .LBB166_3096
.LBB166_3097:
	s_cbranch_execnz .LBB166_3101
; %bb.3098:
	s_mov_b32 s1, 0
	s_or_b32 s13, s13, exec_lo
	s_branch .LBB166_3020
.LBB166_3099:
	s_or_saveexec_b32 s3, s3
                                        ; implicit-def: $sgpr4
	s_delay_alu instid0(SALU_CYCLE_1)
	s_xor_b32 exec_lo, exec_lo, s3
	s_cbranch_execz .LBB166_2986
.LBB166_3100:
	v_add_f32_e64 v4, 0x42800000, |v3|
	s_and_not1_b32 s2, s2, exec_lo
	s_mov_b32 s4, 0
	s_delay_alu instid0(VALU_DEP_1) | instskip(NEXT) | instid1(VALU_DEP_1)
	v_and_b32_e32 v4, 0xff, v4
	v_cmp_ne_u32_e32 vcc_lo, 0, v4
	s_and_b32 s5, vcc_lo, exec_lo
	s_delay_alu instid0(SALU_CYCLE_1)
	s_or_b32 s2, s2, s5
	s_or_b32 exec_lo, exec_lo, s3
	v_mov_b32_e32 v5, s4
	s_and_saveexec_b32 s3, s2
	s_cbranch_execnz .LBB166_2987
	s_branch .LBB166_2988
.LBB166_3101:
	s_trap 2
	s_sendmsg_rtn_b32 s0, sendmsg(MSG_RTN_GET_DOORBELL)
	s_mov_b32 ttmp2, m0
	s_waitcnt lgkmcnt(0)
	s_and_b32 s0, s0, 0x3ff
	s_delay_alu instid0(SALU_CYCLE_1) | instskip(NEXT) | instid1(SALU_CYCLE_1)
	s_bitset1_b32 s0, 10
	s_mov_b32 m0, s0
	s_sendmsg sendmsg(MSG_INTERRUPT)
	s_mov_b32 m0, ttmp2
.LBB166_3102:                           ; =>This Inner Loop Header: Depth=1
	s_sethalt 5
	s_branch .LBB166_3102
	.section	.rodata,"a",@progbits
	.p2align	6, 0x0
	.amdhsa_kernel _ZN2at6native32elementwise_kernel_manual_unrollILi128ELi4EZNS0_15gpu_kernel_implIZNS0_12_GLOBAL__N_119masked_scale_kernelIhN3c104HalfEfEEvRNS_6TensorERKS7_SA_T1_EUlS6_hE_EEvRNS_18TensorIteratorBaseERKT_EUlibE_EEviSB_
		.amdhsa_group_segment_fixed_size 0
		.amdhsa_private_segment_fixed_size 0
		.amdhsa_kernarg_size 56
		.amdhsa_user_sgpr_count 15
		.amdhsa_user_sgpr_dispatch_ptr 0
		.amdhsa_user_sgpr_queue_ptr 0
		.amdhsa_user_sgpr_kernarg_segment_ptr 1
		.amdhsa_user_sgpr_dispatch_id 0
		.amdhsa_user_sgpr_private_segment_size 0
		.amdhsa_wavefront_size32 1
		.amdhsa_uses_dynamic_stack 0
		.amdhsa_enable_private_segment 0
		.amdhsa_system_sgpr_workgroup_id_x 1
		.amdhsa_system_sgpr_workgroup_id_y 0
		.amdhsa_system_sgpr_workgroup_id_z 0
		.amdhsa_system_sgpr_workgroup_info 0
		.amdhsa_system_vgpr_workitem_id 0
		.amdhsa_next_free_vgpr 17
		.amdhsa_next_free_sgpr 35
		.amdhsa_reserve_vcc 1
		.amdhsa_float_round_mode_32 0
		.amdhsa_float_round_mode_16_64 0
		.amdhsa_float_denorm_mode_32 3
		.amdhsa_float_denorm_mode_16_64 3
		.amdhsa_dx10_clamp 1
		.amdhsa_ieee_mode 1
		.amdhsa_fp16_overflow 0
		.amdhsa_workgroup_processor_mode 1
		.amdhsa_memory_ordered 1
		.amdhsa_forward_progress 0
		.amdhsa_shared_vgpr_count 0
		.amdhsa_exception_fp_ieee_invalid_op 0
		.amdhsa_exception_fp_denorm_src 0
		.amdhsa_exception_fp_ieee_div_zero 0
		.amdhsa_exception_fp_ieee_overflow 0
		.amdhsa_exception_fp_ieee_underflow 0
		.amdhsa_exception_fp_ieee_inexact 0
		.amdhsa_exception_int_div_zero 0
	.end_amdhsa_kernel
	.section	.text._ZN2at6native32elementwise_kernel_manual_unrollILi128ELi4EZNS0_15gpu_kernel_implIZNS0_12_GLOBAL__N_119masked_scale_kernelIhN3c104HalfEfEEvRNS_6TensorERKS7_SA_T1_EUlS6_hE_EEvRNS_18TensorIteratorBaseERKT_EUlibE_EEviSB_,"axG",@progbits,_ZN2at6native32elementwise_kernel_manual_unrollILi128ELi4EZNS0_15gpu_kernel_implIZNS0_12_GLOBAL__N_119masked_scale_kernelIhN3c104HalfEfEEvRNS_6TensorERKS7_SA_T1_EUlS6_hE_EEvRNS_18TensorIteratorBaseERKT_EUlibE_EEviSB_,comdat
.Lfunc_end166:
	.size	_ZN2at6native32elementwise_kernel_manual_unrollILi128ELi4EZNS0_15gpu_kernel_implIZNS0_12_GLOBAL__N_119masked_scale_kernelIhN3c104HalfEfEEvRNS_6TensorERKS7_SA_T1_EUlS6_hE_EEvRNS_18TensorIteratorBaseERKT_EUlibE_EEviSB_, .Lfunc_end166-_ZN2at6native32elementwise_kernel_manual_unrollILi128ELi4EZNS0_15gpu_kernel_implIZNS0_12_GLOBAL__N_119masked_scale_kernelIhN3c104HalfEfEEvRNS_6TensorERKS7_SA_T1_EUlS6_hE_EEvRNS_18TensorIteratorBaseERKT_EUlibE_EEviSB_
                                        ; -- End function
	.section	.AMDGPU.csdata,"",@progbits
; Kernel info:
; codeLenInByte = 56528
; NumSgprs: 37
; NumVgprs: 17
; ScratchSize: 0
; MemoryBound: 1
; FloatMode: 240
; IeeeMode: 1
; LDSByteSize: 0 bytes/workgroup (compile time only)
; SGPRBlocks: 4
; VGPRBlocks: 2
; NumSGPRsForWavesPerEU: 37
; NumVGPRsForWavesPerEU: 17
; Occupancy: 16
; WaveLimiterHint : 0
; COMPUTE_PGM_RSRC2:SCRATCH_EN: 0
; COMPUTE_PGM_RSRC2:USER_SGPR: 15
; COMPUTE_PGM_RSRC2:TRAP_HANDLER: 0
; COMPUTE_PGM_RSRC2:TGID_X_EN: 1
; COMPUTE_PGM_RSRC2:TGID_Y_EN: 0
; COMPUTE_PGM_RSRC2:TGID_Z_EN: 0
; COMPUTE_PGM_RSRC2:TIDIG_COMP_CNT: 0
	.section	.text._ZN2at6native32elementwise_kernel_manual_unrollILi128ELi4EZNS0_15gpu_kernel_implIZNS0_12_GLOBAL__N_119masked_scale_kernelIhN3c104HalfEfEEvRNS_6TensorERKS7_SA_T1_EUlS6_hE_EEvRNS_18TensorIteratorBaseERKT_EUlibE0_EEviSB_,"axG",@progbits,_ZN2at6native32elementwise_kernel_manual_unrollILi128ELi4EZNS0_15gpu_kernel_implIZNS0_12_GLOBAL__N_119masked_scale_kernelIhN3c104HalfEfEEvRNS_6TensorERKS7_SA_T1_EUlS6_hE_EEvRNS_18TensorIteratorBaseERKT_EUlibE0_EEviSB_,comdat
	.globl	_ZN2at6native32elementwise_kernel_manual_unrollILi128ELi4EZNS0_15gpu_kernel_implIZNS0_12_GLOBAL__N_119masked_scale_kernelIhN3c104HalfEfEEvRNS_6TensorERKS7_SA_T1_EUlS6_hE_EEvRNS_18TensorIteratorBaseERKT_EUlibE0_EEviSB_ ; -- Begin function _ZN2at6native32elementwise_kernel_manual_unrollILi128ELi4EZNS0_15gpu_kernel_implIZNS0_12_GLOBAL__N_119masked_scale_kernelIhN3c104HalfEfEEvRNS_6TensorERKS7_SA_T1_EUlS6_hE_EEvRNS_18TensorIteratorBaseERKT_EUlibE0_EEviSB_
	.p2align	8
	.type	_ZN2at6native32elementwise_kernel_manual_unrollILi128ELi4EZNS0_15gpu_kernel_implIZNS0_12_GLOBAL__N_119masked_scale_kernelIhN3c104HalfEfEEvRNS_6TensorERKS7_SA_T1_EUlS6_hE_EEvRNS_18TensorIteratorBaseERKT_EUlibE0_EEviSB_,@function
_ZN2at6native32elementwise_kernel_manual_unrollILi128ELi4EZNS0_15gpu_kernel_implIZNS0_12_GLOBAL__N_119masked_scale_kernelIhN3c104HalfEfEEvRNS_6TensorERKS7_SA_T1_EUlS6_hE_EEvRNS_18TensorIteratorBaseERKT_EUlibE0_EEviSB_: ; @_ZN2at6native32elementwise_kernel_manual_unrollILi128ELi4EZNS0_15gpu_kernel_implIZNS0_12_GLOBAL__N_119masked_scale_kernelIhN3c104HalfEfEEvRNS_6TensorERKS7_SA_T1_EUlS6_hE_EEvRNS_18TensorIteratorBaseERKT_EUlibE0_EEviSB_
; %bb.0:
	s_clause 0x1
	s_load_b32 s26, s[0:1], 0x8
	s_load_b32 s36, s[0:1], 0x0
	v_lshl_or_b32 v7, s15, 9, v0
	s_or_b32 s20, s0, 8
	s_mov_b32 s2, -1
	s_mov_b32 s28, 0
	s_mov_b32 s21, s1
	v_or_b32_e32 v12, 0x180, v7
	s_mov_b32 s8, 0
	s_mov_b32 s3, exec_lo
	s_waitcnt lgkmcnt(0)
	s_add_i32 s27, s26, -1
	s_delay_alu instid0(SALU_CYCLE_1)
	s_cmp_gt_u32 s27, 1
	s_cselect_b32 s29, -1, 0
	v_cmpx_le_i32_e64 s36, v12
	s_xor_b32 s30, exec_lo, s3
	s_cbranch_execz .LBB167_1566
; %bb.1:
	s_clause 0x4
	s_load_b256 s[4:11], s[20:21], 0x188
	s_load_b128 s[16:19], s[20:21], 0x4
	s_load_b64 s[24:25], s[20:21], 0x14
	s_load_b128 s[12:15], s[20:21], 0xc4
	s_load_b64 s[22:23], s[20:21], 0xd4
	s_cmp_lg_u32 s26, 0
	s_mov_b32 s42, 0
	s_cselect_b32 s37, -1, 0
	s_min_u32 s35, s27, 15
	s_cmp_gt_u32 s26, 1
	s_mov_b32 s40, 0
	s_mov_b32 s39, 0
	s_cselect_b32 s34, -1, 0
	s_mov_b32 s38, 0
	s_mov_b32 s41, exec_lo
	s_waitcnt lgkmcnt(0)
	s_lshr_b32 s33, s11, 8
	s_lshr_b32 s31, s11, 16
	v_cmpx_gt_i32_e64 s36, v7
	s_cbranch_execz .LBB167_385
; %bb.2:
	s_and_not1_b32 vcc_lo, exec_lo, s29
	s_cbranch_vccnz .LBB167_8
; %bb.3:
	v_dual_mov_b32 v0, 0 :: v_dual_mov_b32 v1, 0
	v_mov_b32_e32 v2, 0
	s_and_not1_b32 vcc_lo, exec_lo, s37
	s_cbranch_vccnz .LBB167_9
; %bb.4:
	s_add_i32 s2, s35, 1
	v_dual_mov_b32 v1, 0 :: v_dual_mov_b32 v2, 0
	v_dual_mov_b32 v0, 0 :: v_dual_mov_b32 v3, v7
	s_and_b32 s39, s2, 30
	s_add_u32 s2, s20, 0xffffffec
	s_addc_u32 s3, s21, -1
	s_set_inst_prefetch_distance 0x1
	.p2align	6
.LBB167_5:                              ; =>This Inner Loop Header: Depth=1
	s_clause 0x2
	s_load_b128 s[44:47], s[2:3], 0x18
	s_load_b64 s[52:53], s[2:3], 0x28
	s_load_b128 s[48:51], s[2:3], 0xd8
	s_waitcnt lgkmcnt(0)
	v_mul_hi_u32 v4, s45, v3
	s_delay_alu instid0(VALU_DEP_1) | instskip(NEXT) | instid1(VALU_DEP_1)
	v_add_nc_u32_e32 v4, v3, v4
	v_lshrrev_b32_e32 v4, s46, v4
	s_delay_alu instid0(VALU_DEP_1)
	v_mul_hi_u32 v5, s52, v4
	v_mul_lo_u32 v6, v4, s44
	s_load_b64 s[44:45], s[2:3], 0xe8
	s_add_u32 s2, s2, 24
	s_addc_u32 s3, s3, 0
	s_add_i32 s39, s39, -2
	s_delay_alu instid0(SALU_CYCLE_1) | instskip(NEXT) | instid1(VALU_DEP_2)
	s_cmp_lg_u32 s39, 0
	v_add_nc_u32_e32 v5, v4, v5
	s_delay_alu instid0(VALU_DEP_2) | instskip(NEXT) | instid1(VALU_DEP_2)
	v_sub_nc_u32_e32 v6, v3, v6
	v_lshrrev_b32_e32 v3, s53, v5
	s_delay_alu instid0(VALU_DEP_2) | instskip(NEXT) | instid1(VALU_DEP_2)
	v_mul_lo_u32 v8, v6, s48
	v_mul_lo_u32 v5, v3, s47
	s_delay_alu instid0(VALU_DEP_1) | instskip(SKIP_2) | instid1(VALU_DEP_3)
	v_sub_nc_u32_e32 v4, v4, v5
	v_mul_lo_u32 v5, v6, s49
	v_mul_lo_u32 v6, v6, s50
	;; [unrolled: 1-line block ×3, first 2 shown]
	s_waitcnt lgkmcnt(0)
	v_mul_lo_u32 v10, v4, s44
	v_mul_lo_u32 v4, v4, s45
	s_delay_alu instid0(VALU_DEP_3) | instskip(NEXT) | instid1(VALU_DEP_3)
	v_add3_u32 v0, v8, v0, v9
	v_add3_u32 v2, v5, v2, v10
	s_delay_alu instid0(VALU_DEP_3)
	v_add3_u32 v1, v6, v1, v4
	s_cbranch_scc1 .LBB167_5
; %bb.6:
	s_set_inst_prefetch_distance 0x2
	s_bitcmp1_b32 s35, 0
	s_cselect_b32 s39, -1, 0
	s_delay_alu instid0(SALU_CYCLE_1)
	s_and_b32 vcc_lo, exec_lo, s39
	s_cbranch_vccnz .LBB167_9
; %bb.7:
	s_clause 0x3
	s_load_b64 s[44:45], s[2:3], 0x18
	s_load_b32 s39, s[2:3], 0x20
	s_load_b64 s[46:47], s[2:3], 0xd8
	s_load_b32 s2, s[2:3], 0xe0
	s_waitcnt lgkmcnt(0)
	v_mul_hi_u32 v4, s45, v3
	s_delay_alu instid0(VALU_DEP_1) | instskip(NEXT) | instid1(VALU_DEP_1)
	v_add_nc_u32_e32 v4, v3, v4
	v_lshrrev_b32_e32 v4, s39, v4
	s_delay_alu instid0(VALU_DEP_1) | instskip(NEXT) | instid1(VALU_DEP_1)
	v_mul_lo_u32 v4, v4, s44
	v_sub_nc_u32_e32 v8, v3, v4
	s_delay_alu instid0(VALU_DEP_1) | instskip(NEXT) | instid1(VALU_DEP_1)
	v_mad_u64_u32 v[3:4], null, v8, s46, v[0:1]
	v_mad_u64_u32 v[4:5], null, v8, s47, v[2:3]
	;; [unrolled: 1-line block ×3, first 2 shown]
	v_mov_b32_e32 v0, v3
	s_delay_alu instid0(VALU_DEP_2)
	v_dual_mov_b32 v2, v4 :: v_dual_mov_b32 v1, v5
	s_branch .LBB167_9
.LBB167_8:
	s_mov_b32 s38, -1
                                        ; implicit-def: $vgpr0
                                        ; implicit-def: $vgpr2
                                        ; implicit-def: $vgpr1
.LBB167_9:
	s_delay_alu instid0(SALU_CYCLE_1)
	s_and_not1_b32 vcc_lo, exec_lo, s38
	s_cbranch_vccnz .LBB167_12
; %bb.10:
	v_mul_hi_u32 v0, s17, v7
	s_and_not1_b32 vcc_lo, exec_lo, s34
	s_delay_alu instid0(VALU_DEP_1) | instskip(NEXT) | instid1(VALU_DEP_1)
	v_add_nc_u32_e32 v0, v7, v0
	v_lshrrev_b32_e32 v3, s18, v0
	s_delay_alu instid0(VALU_DEP_1) | instskip(NEXT) | instid1(VALU_DEP_1)
	v_mul_lo_u32 v0, v3, s16
	v_sub_nc_u32_e32 v1, v7, v0
	s_delay_alu instid0(VALU_DEP_1)
	v_mul_lo_u32 v0, v1, s12
	v_mul_lo_u32 v2, v1, s13
	;; [unrolled: 1-line block ×3, first 2 shown]
	s_cbranch_vccnz .LBB167_12
; %bb.11:
	v_mul_hi_u32 v4, s24, v3
	s_delay_alu instid0(VALU_DEP_1) | instskip(NEXT) | instid1(VALU_DEP_1)
	v_add_nc_u32_e32 v4, v3, v4
	v_lshrrev_b32_e32 v4, s25, v4
	s_delay_alu instid0(VALU_DEP_1) | instskip(NEXT) | instid1(VALU_DEP_1)
	v_mul_lo_u32 v4, v4, s19
	v_sub_nc_u32_e32 v8, v3, v4
	s_delay_alu instid0(VALU_DEP_1) | instskip(NEXT) | instid1(VALU_DEP_1)
	v_mad_u64_u32 v[3:4], null, v8, s15, v[0:1]
	v_mad_u64_u32 v[4:5], null, v8, s22, v[2:3]
	;; [unrolled: 1-line block ×3, first 2 shown]
	v_mov_b32_e32 v0, v3
	s_delay_alu instid0(VALU_DEP_2)
	v_dual_mov_b32 v2, v4 :: v_dual_mov_b32 v1, v5
.LBB167_12:
	v_and_b32_e64 v4, 0xff, s33
	s_delay_alu instid0(VALU_DEP_2) | instskip(NEXT) | instid1(VALU_DEP_1)
	v_add_co_u32 v2, s2, s6, v2
	v_add_co_ci_u32_e64 v3, null, s7, 0, s2
	s_delay_alu instid0(VALU_DEP_3)
	v_cmp_gt_i16_e32 vcc_lo, 11, v4
	s_mov_b32 s3, 0
	s_cbranch_vccnz .LBB167_19
; %bb.13:
	v_cmp_lt_i16_e32 vcc_lo, 25, v4
	s_cbranch_vccz .LBB167_28
; %bb.14:
	v_cmp_lt_i16_e32 vcc_lo, 28, v4
	s_cbranch_vccz .LBB167_148
	;; [unrolled: 3-line block ×4, first 2 shown]
; %bb.17:
	v_cmp_eq_u16_e32 vcc_lo, 46, v4
	s_mov_b32 s38, 0
	s_cbranch_vccz .LBB167_154
; %bb.18:
	global_load_b32 v5, v[2:3], off
	s_mov_b32 s2, -1
	s_waitcnt vmcnt(0)
	v_lshlrev_b32_e32 v5, 16, v5
	s_delay_alu instid0(VALU_DEP_1)
	v_cvt_f16_f32_e32 v5, v5
	s_branch .LBB167_156
.LBB167_19:
	s_mov_b32 s2, 0
                                        ; implicit-def: $vgpr5
	s_cbranch_execnz .LBB167_221
.LBB167_20:
	s_and_not1_b32 vcc_lo, exec_lo, s2
	s_cbranch_vccnz .LBB167_268
.LBB167_21:
	v_and_b32_e64 v6, 0xff, s31
	v_add_co_u32 v1, s2, s8, v1
	s_delay_alu instid0(VALU_DEP_1) | instskip(NEXT) | instid1(VALU_DEP_3)
	v_add_co_ci_u32_e64 v2, null, s9, 0, s2
	v_cmp_gt_i16_e32 vcc_lo, 11, v6
	s_mov_b32 s39, 0
	s_cbranch_vccnz .LBB167_29
; %bb.22:
	v_cmp_lt_i16_e32 vcc_lo, 25, v6
	s_cbranch_vccz .LBB167_149
; %bb.23:
	v_cmp_lt_i16_e32 vcc_lo, 28, v6
	s_cbranch_vccz .LBB167_151
	;; [unrolled: 3-line block ×4, first 2 shown]
; %bb.26:
	v_cmp_eq_u16_e32 vcc_lo, 46, v6
	s_mov_b32 s38, 0
	s_cbranch_vccz .LBB167_269
; %bb.27:
	global_load_b32 v3, v[1:2], off
	s_mov_b32 s2, -1
	s_waitcnt vmcnt(0)
	v_lshlrev_b32_e32 v3, 16, v3
	s_delay_alu instid0(VALU_DEP_1) | instskip(NEXT) | instid1(VALU_DEP_1)
	v_trunc_f32_e32 v3, v3
	v_mul_f32_e64 v4, 0x2f800000, |v3|
	s_delay_alu instid0(VALU_DEP_1) | instskip(NEXT) | instid1(VALU_DEP_1)
	v_floor_f32_e32 v4, v4
	v_fma_f32 v4, 0xcf800000, v4, |v3|
	v_ashrrev_i32_e32 v3, 31, v3
	s_delay_alu instid0(VALU_DEP_2) | instskip(NEXT) | instid1(VALU_DEP_1)
	v_cvt_u32_f32_e32 v4, v4
	v_xor_b32_e32 v4, v4, v3
	s_delay_alu instid0(VALU_DEP_1)
	v_sub_nc_u32_e32 v3, v4, v3
	s_branch .LBB167_271
.LBB167_28:
	s_mov_b32 s2, 0
                                        ; implicit-def: $vgpr5
	s_cbranch_execnz .LBB167_186
	s_branch .LBB167_220
.LBB167_29:
	s_mov_b32 s2, 0
                                        ; implicit-def: $vgpr3
	s_cbranch_execnz .LBB167_334
.LBB167_30:
	s_and_not1_b32 vcc_lo, exec_lo, s2
	s_cbranch_vccnz .LBB167_382
.LBB167_31:
	s_waitcnt vmcnt(0)
	s_delay_alu instid0(VALU_DEP_1) | instskip(SKIP_4) | instid1(VALU_DEP_3)
	v_cvt_f32_ubyte0_e32 v1, v3
	v_cvt_f32_f16_e32 v2, v5
	v_and_b32_e64 v3, 0xff, s11
	v_add_co_u32 v0, s38, s4, v0
	s_mov_b32 s2, 0
	v_mul_f32_e32 v2, v2, v1
	s_delay_alu instid0(VALU_DEP_3) | instskip(SKIP_2) | instid1(VALU_DEP_3)
	v_cmp_gt_i16_e32 vcc_lo, 11, v3
	v_add_co_ci_u32_e64 v1, null, s5, 0, s38
	s_mov_b32 s40, -1
	v_fma_mixlo_f16 v2, s10, v2, 0
	s_mov_b32 s38, 0
	s_cbranch_vccnz .LBB167_108
; %bb.32:
	v_cmp_lt_i16_e32 vcc_lo, 25, v3
	s_cbranch_vccz .LBB167_65
; %bb.33:
	v_cmp_lt_i16_e32 vcc_lo, 28, v3
	s_cbranch_vccz .LBB167_48
	;; [unrolled: 3-line block ×4, first 2 shown]
; %bb.36:
	v_cmp_eq_u16_e32 vcc_lo, 46, v3
	s_mov_b32 s40, 0
	s_mov_b32 s2, -1
	s_cbranch_vccz .LBB167_38
; %bb.37:
	v_cvt_f32_f16_e32 v4, v2
	v_cmp_o_f16_e32 vcc_lo, v2, v2
	s_mov_b32 s38, -1
	s_mov_b32 s2, 0
	s_delay_alu instid0(VALU_DEP_2) | instskip(NEXT) | instid1(VALU_DEP_1)
	v_bfe_u32 v5, v4, 16, 1
	v_add3_u32 v4, v4, v5, 0x7fff
	s_delay_alu instid0(VALU_DEP_1) | instskip(NEXT) | instid1(VALU_DEP_1)
	v_lshrrev_b32_e32 v4, 16, v4
	v_cndmask_b32_e32 v4, 0x7fc0, v4, vcc_lo
	global_store_b32 v[0:1], v4, off
.LBB167_38:
	s_and_b32 vcc_lo, exec_lo, s40
	s_cbranch_vccz .LBB167_43
; %bb.39:
	v_cmp_eq_u16_e32 vcc_lo, 44, v3
	s_mov_b32 s2, -1
	s_cbranch_vccz .LBB167_43
; %bb.40:
	v_cvt_f32_f16_e32 v4, v2
	v_mov_b32_e32 v5, 0xff
	s_mov_b32 s38, exec_lo
	s_delay_alu instid0(VALU_DEP_2) | instskip(NEXT) | instid1(VALU_DEP_1)
	v_bfe_u32 v6, v4, 23, 8
	v_cmpx_ne_u32_e32 0xff, v6
; %bb.41:
	v_and_b32_e32 v5, 0x400000, v4
	v_and_or_b32 v6, 0x3fffff, v4, v6
	v_lshrrev_b32_e32 v4, 23, v4
	s_delay_alu instid0(VALU_DEP_3) | instskip(NEXT) | instid1(VALU_DEP_3)
	v_cmp_ne_u32_e32 vcc_lo, 0, v5
	v_cmp_ne_u32_e64 s2, 0, v6
	s_delay_alu instid0(VALU_DEP_1) | instskip(NEXT) | instid1(SALU_CYCLE_1)
	s_and_b32 s2, vcc_lo, s2
	v_cndmask_b32_e64 v5, 0, 1, s2
	s_delay_alu instid0(VALU_DEP_1)
	v_add_nc_u32_e32 v5, v4, v5
; %bb.42:
	s_or_b32 exec_lo, exec_lo, s38
	s_mov_b32 s38, -1
	s_mov_b32 s2, 0
	global_store_b8 v[0:1], v5, off
.LBB167_43:
	s_mov_b32 s40, 0
.LBB167_44:
	s_delay_alu instid0(SALU_CYCLE_1)
	s_and_b32 vcc_lo, exec_lo, s40
	s_cbranch_vccz .LBB167_47
; %bb.45:
	v_cmp_eq_u16_e32 vcc_lo, 29, v3
	s_mov_b32 s2, -1
	s_cbranch_vccz .LBB167_47
; %bb.46:
	v_cvt_f32_f16_e32 v4, v2
	v_mov_b32_e32 v5, 0
	s_mov_b32 s2, 0
	s_mov_b32 s38, -1
	s_delay_alu instid0(VALU_DEP_2)
	v_cvt_u32_f32_e32 v4, v4
	global_store_b64 v[0:1], v[4:5], off
.LBB167_47:
	s_mov_b32 s40, 0
.LBB167_48:
	s_delay_alu instid0(SALU_CYCLE_1)
	s_and_b32 vcc_lo, exec_lo, s40
	s_cbranch_vccz .LBB167_64
; %bb.49:
	v_cmp_gt_i16_e32 vcc_lo, 27, v3
	s_mov_b32 s38, -1
	s_cbranch_vccnz .LBB167_55
; %bb.50:
	v_cmp_lt_i16_e32 vcc_lo, 27, v3
	s_cbranch_vccz .LBB167_52
; %bb.51:
	v_cvt_f32_f16_e32 v4, v2
	s_mov_b32 s38, 0
	s_delay_alu instid0(VALU_DEP_1)
	v_cvt_u32_f32_e32 v4, v4
	global_store_b32 v[0:1], v4, off
.LBB167_52:
	s_and_not1_b32 vcc_lo, exec_lo, s38
	s_cbranch_vccnz .LBB167_54
; %bb.53:
	v_cvt_u16_f16_e32 v4, v2
	global_store_b16 v[0:1], v4, off
.LBB167_54:
	s_mov_b32 s38, 0
.LBB167_55:
	s_delay_alu instid0(SALU_CYCLE_1)
	s_and_not1_b32 vcc_lo, exec_lo, s38
	s_cbranch_vccnz .LBB167_63
; %bb.56:
	v_cvt_f32_f16_e32 v4, v2
	v_mov_b32_e32 v6, 0x80
	s_mov_b32 s38, exec_lo
	s_delay_alu instid0(VALU_DEP_2) | instskip(NEXT) | instid1(VALU_DEP_1)
	v_and_b32_e32 v5, 0x7fffffff, v4
	v_cmpx_gt_u32_e32 0x43800000, v5
	s_cbranch_execz .LBB167_62
; %bb.57:
	v_cmp_lt_u32_e32 vcc_lo, 0x3bffffff, v5
	s_mov_b32 s40, 0
                                        ; implicit-def: $vgpr5
	s_and_saveexec_b32 s43, vcc_lo
	s_delay_alu instid0(SALU_CYCLE_1)
	s_xor_b32 s43, exec_lo, s43
	s_cbranch_execz .LBB167_274
; %bb.58:
	v_bfe_u32 v5, v4, 20, 1
	s_mov_b32 s40, exec_lo
	s_delay_alu instid0(VALU_DEP_1) | instskip(NEXT) | instid1(VALU_DEP_1)
	v_add3_u32 v5, v4, v5, 0x487ffff
	v_lshrrev_b32_e32 v5, 20, v5
	s_or_saveexec_b32 s43, s43
                                        ; implicit-def: $sgpr44
	s_delay_alu instid0(SALU_CYCLE_1)
	s_xor_b32 exec_lo, exec_lo, s43
	s_cbranch_execnz .LBB167_275
.LBB167_59:
	s_or_b32 exec_lo, exec_lo, s43
	v_mov_b32_e32 v6, s44
	s_and_saveexec_b32 s43, s40
.LBB167_60:
	v_lshrrev_b32_e32 v4, 24, v4
	s_delay_alu instid0(VALU_DEP_1)
	v_and_or_b32 v6, 0x80, v4, v5
.LBB167_61:
	s_or_b32 exec_lo, exec_lo, s43
.LBB167_62:
	s_delay_alu instid0(SALU_CYCLE_1)
	s_or_b32 exec_lo, exec_lo, s38
	global_store_b8 v[0:1], v6, off
.LBB167_63:
	s_mov_b32 s38, -1
.LBB167_64:
	s_mov_b32 s40, 0
.LBB167_65:
	s_delay_alu instid0(SALU_CYCLE_1)
	s_and_b32 vcc_lo, exec_lo, s40
	s_cbranch_vccz .LBB167_106
; %bb.66:
	v_cmp_lt_i16_e32 vcc_lo, 22, v3
	s_mov_b32 s40, -1
	s_cbranch_vccz .LBB167_98
; %bb.67:
	v_cmp_gt_i16_e32 vcc_lo, 24, v3
	s_mov_b32 s38, -1
	s_cbranch_vccnz .LBB167_87
; %bb.68:
	v_cmp_lt_i16_e32 vcc_lo, 24, v3
	s_cbranch_vccz .LBB167_76
; %bb.69:
	v_cvt_f32_f16_e32 v4, v2
	v_mov_b32_e32 v6, 0x80
	s_mov_b32 s38, exec_lo
	s_delay_alu instid0(VALU_DEP_2) | instskip(NEXT) | instid1(VALU_DEP_1)
	v_and_b32_e32 v5, 0x7fffffff, v4
	v_cmpx_gt_u32_e32 0x47800000, v5
	s_cbranch_execz .LBB167_75
; %bb.70:
	v_cmp_lt_u32_e32 vcc_lo, 0x37ffffff, v5
	s_mov_b32 s40, 0
                                        ; implicit-def: $vgpr5
	s_and_saveexec_b32 s43, vcc_lo
	s_delay_alu instid0(SALU_CYCLE_1)
	s_xor_b32 s43, exec_lo, s43
	s_cbranch_execz .LBB167_538
; %bb.71:
	v_bfe_u32 v5, v4, 21, 1
	s_mov_b32 s40, exec_lo
	s_delay_alu instid0(VALU_DEP_1) | instskip(NEXT) | instid1(VALU_DEP_1)
	v_add3_u32 v5, v4, v5, 0x88fffff
	v_lshrrev_b32_e32 v5, 21, v5
	s_or_saveexec_b32 s43, s43
                                        ; implicit-def: $sgpr44
	s_delay_alu instid0(SALU_CYCLE_1)
	s_xor_b32 exec_lo, exec_lo, s43
	s_cbranch_execnz .LBB167_539
.LBB167_72:
	s_or_b32 exec_lo, exec_lo, s43
	v_mov_b32_e32 v6, s44
	s_and_saveexec_b32 s43, s40
.LBB167_73:
	v_lshrrev_b32_e32 v4, 24, v4
	s_delay_alu instid0(VALU_DEP_1)
	v_and_or_b32 v6, 0x80, v4, v5
.LBB167_74:
	s_or_b32 exec_lo, exec_lo, s43
.LBB167_75:
	s_delay_alu instid0(SALU_CYCLE_1)
	s_or_b32 exec_lo, exec_lo, s38
	s_mov_b32 s38, 0
	global_store_b8 v[0:1], v6, off
.LBB167_76:
	s_and_b32 vcc_lo, exec_lo, s38
	s_cbranch_vccz .LBB167_86
; %bb.77:
	v_cvt_f32_f16_e32 v4, v2
	s_mov_b32 s38, exec_lo
                                        ; implicit-def: $vgpr5
	s_delay_alu instid0(VALU_DEP_1) | instskip(NEXT) | instid1(VALU_DEP_1)
	v_and_b32_e32 v6, 0x7fffffff, v4
	v_cmpx_gt_u32_e32 0x43f00000, v6
	s_xor_b32 s38, exec_lo, s38
	s_cbranch_execz .LBB167_83
; %bb.78:
	s_mov_b32 s40, exec_lo
                                        ; implicit-def: $vgpr5
	v_cmpx_lt_u32_e32 0x3c7fffff, v6
	s_xor_b32 s40, exec_lo, s40
; %bb.79:
	v_bfe_u32 v5, v4, 20, 1
	s_delay_alu instid0(VALU_DEP_1) | instskip(NEXT) | instid1(VALU_DEP_1)
	v_add3_u32 v5, v4, v5, 0x407ffff
	v_and_b32_e32 v6, 0xff00000, v5
	v_lshrrev_b32_e32 v5, 20, v5
	s_delay_alu instid0(VALU_DEP_2) | instskip(NEXT) | instid1(VALU_DEP_2)
	v_cmp_ne_u32_e32 vcc_lo, 0x7f00000, v6
	v_cndmask_b32_e32 v5, 0x7e, v5, vcc_lo
; %bb.80:
	s_and_not1_saveexec_b32 s40, s40
; %bb.81:
	v_add_f32_e64 v5, 0x46800000, |v4|
; %bb.82:
	s_or_b32 exec_lo, exec_lo, s40
                                        ; implicit-def: $vgpr6
.LBB167_83:
	s_and_not1_saveexec_b32 s38, s38
; %bb.84:
	v_mov_b32_e32 v5, 0x7f
	v_cmp_lt_u32_e32 vcc_lo, 0x7f800000, v6
	s_delay_alu instid0(VALU_DEP_2)
	v_cndmask_b32_e32 v5, 0x7e, v5, vcc_lo
; %bb.85:
	s_or_b32 exec_lo, exec_lo, s38
	v_lshrrev_b32_e32 v4, 24, v4
	s_delay_alu instid0(VALU_DEP_1)
	v_and_or_b32 v4, 0x80, v4, v5
	global_store_b8 v[0:1], v4, off
.LBB167_86:
	s_mov_b32 s38, 0
.LBB167_87:
	s_delay_alu instid0(SALU_CYCLE_1)
	s_and_not1_b32 vcc_lo, exec_lo, s38
	s_cbranch_vccnz .LBB167_97
; %bb.88:
	v_cvt_f32_f16_e32 v4, v2
	s_mov_b32 s38, exec_lo
                                        ; implicit-def: $vgpr5
	s_delay_alu instid0(VALU_DEP_1) | instskip(NEXT) | instid1(VALU_DEP_1)
	v_and_b32_e32 v6, 0x7fffffff, v4
	v_cmpx_gt_u32_e32 0x47800000, v6
	s_xor_b32 s38, exec_lo, s38
	s_cbranch_execz .LBB167_94
; %bb.89:
	s_mov_b32 s40, exec_lo
                                        ; implicit-def: $vgpr5
	v_cmpx_lt_u32_e32 0x387fffff, v6
	s_xor_b32 s40, exec_lo, s40
; %bb.90:
	v_bfe_u32 v5, v4, 21, 1
	s_delay_alu instid0(VALU_DEP_1) | instskip(NEXT) | instid1(VALU_DEP_1)
	v_add3_u32 v5, v4, v5, 0x80fffff
	v_lshrrev_b32_e32 v5, 21, v5
; %bb.91:
	s_and_not1_saveexec_b32 s40, s40
; %bb.92:
	v_add_f32_e64 v5, 0x43000000, |v4|
; %bb.93:
	s_or_b32 exec_lo, exec_lo, s40
                                        ; implicit-def: $vgpr6
.LBB167_94:
	s_and_not1_saveexec_b32 s38, s38
; %bb.95:
	v_mov_b32_e32 v5, 0x7f
	v_cmp_lt_u32_e32 vcc_lo, 0x7f800000, v6
	s_delay_alu instid0(VALU_DEP_2)
	v_cndmask_b32_e32 v5, 0x7c, v5, vcc_lo
; %bb.96:
	s_or_b32 exec_lo, exec_lo, s38
	v_lshrrev_b32_e32 v4, 24, v4
	s_delay_alu instid0(VALU_DEP_1)
	v_and_or_b32 v4, 0x80, v4, v5
	global_store_b8 v[0:1], v4, off
.LBB167_97:
	s_mov_b32 s40, 0
	s_mov_b32 s38, -1
.LBB167_98:
	s_and_not1_b32 vcc_lo, exec_lo, s40
	s_cbranch_vccnz .LBB167_106
; %bb.99:
	v_cmp_lt_i16_e32 vcc_lo, 14, v3
	s_mov_b32 s40, -1
	s_cbranch_vccz .LBB167_103
; %bb.100:
	v_cmp_eq_u16_e32 vcc_lo, 15, v3
	s_mov_b32 s2, -1
	s_cbranch_vccz .LBB167_102
; %bb.101:
	v_cvt_f32_f16_e32 v4, v2
	v_cmp_o_f16_e32 vcc_lo, v2, v2
	s_mov_b32 s38, -1
	s_mov_b32 s2, 0
	s_delay_alu instid0(VALU_DEP_2) | instskip(NEXT) | instid1(VALU_DEP_1)
	v_bfe_u32 v5, v4, 16, 1
	v_add3_u32 v4, v4, v5, 0x7fff
	s_delay_alu instid0(VALU_DEP_1) | instskip(NEXT) | instid1(VALU_DEP_1)
	v_lshrrev_b32_e32 v4, 16, v4
	v_cndmask_b32_e32 v4, 0x7fc0, v4, vcc_lo
	global_store_b16 v[0:1], v4, off
.LBB167_102:
	s_mov_b32 s40, 0
.LBB167_103:
	s_delay_alu instid0(SALU_CYCLE_1)
	s_and_b32 vcc_lo, exec_lo, s40
	s_cbranch_vccz .LBB167_106
; %bb.104:
	v_cmp_eq_u16_e32 vcc_lo, 11, v3
	s_mov_b32 s2, -1
	s_cbranch_vccz .LBB167_106
; %bb.105:
	v_cmp_neq_f16_e32 vcc_lo, 0, v2
	s_mov_b32 s2, 0
	s_mov_b32 s38, -1
	v_cndmask_b32_e64 v4, 0, 1, vcc_lo
	global_store_b8 v[0:1], v4, off
.LBB167_106:
.LBB167_107:
	s_and_not1_b32 vcc_lo, exec_lo, s38
	s_cbranch_vccz .LBB167_147
	s_branch .LBB167_383
.LBB167_108:
	s_and_b32 vcc_lo, exec_lo, s40
	s_cbranch_vccz .LBB167_107
; %bb.109:
	v_cmp_gt_i16_e32 vcc_lo, 5, v3
	s_mov_b32 s38, -1
	s_cbranch_vccnz .LBB167_130
; %bb.110:
	v_cmp_gt_i16_e32 vcc_lo, 8, v3
	s_cbranch_vccnz .LBB167_120
; %bb.111:
	v_cmp_gt_i16_e32 vcc_lo, 9, v3
	s_cbranch_vccnz .LBB167_117
; %bb.112:
	v_cmp_lt_i16_e32 vcc_lo, 9, v3
	s_cbranch_vccz .LBB167_114
; %bb.113:
	v_cvt_f32_f16_e32 v4, v2
	v_mov_b32_e32 v10, 0
	s_mov_b32 s38, 0
	s_delay_alu instid0(VALU_DEP_2) | instskip(NEXT) | instid1(VALU_DEP_2)
	v_cvt_f64_f32_e32 v[8:9], v4
	v_mov_b32_e32 v11, v10
	global_store_b128 v[0:1], v[8:11], off
.LBB167_114:
	s_and_not1_b32 vcc_lo, exec_lo, s38
	s_cbranch_vccnz .LBB167_116
; %bb.115:
	v_cvt_f32_f16_e32 v4, v2
	v_mov_b32_e32 v5, 0
	global_store_b64 v[0:1], v[4:5], off
.LBB167_116:
	s_mov_b32 s38, 0
.LBB167_117:
	s_delay_alu instid0(SALU_CYCLE_1)
	s_and_not1_b32 vcc_lo, exec_lo, s38
	s_cbranch_vccnz .LBB167_119
; %bb.118:
	v_and_b32_e32 v4, 0xffff, v2
	global_store_b32 v[0:1], v4, off
.LBB167_119:
	s_mov_b32 s38, 0
.LBB167_120:
	s_delay_alu instid0(SALU_CYCLE_1)
	s_and_not1_b32 vcc_lo, exec_lo, s38
	s_cbranch_vccnz .LBB167_129
; %bb.121:
	v_cmp_gt_i16_e32 vcc_lo, 6, v3
	s_mov_b32 s38, -1
	s_cbranch_vccnz .LBB167_127
; %bb.122:
	v_cmp_lt_i16_e32 vcc_lo, 6, v3
	s_cbranch_vccz .LBB167_124
; %bb.123:
	v_cvt_f32_f16_e32 v4, v2
	s_mov_b32 s38, 0
	s_delay_alu instid0(VALU_DEP_1)
	v_cvt_f64_f32_e32 v[4:5], v4
	global_store_b64 v[0:1], v[4:5], off
.LBB167_124:
	s_and_not1_b32 vcc_lo, exec_lo, s38
	s_cbranch_vccnz .LBB167_126
; %bb.125:
	v_cvt_f32_f16_e32 v4, v2
	global_store_b32 v[0:1], v4, off
.LBB167_126:
	s_mov_b32 s38, 0
.LBB167_127:
	s_delay_alu instid0(SALU_CYCLE_1)
	s_and_not1_b32 vcc_lo, exec_lo, s38
	s_cbranch_vccnz .LBB167_129
; %bb.128:
	global_store_b16 v[0:1], v2, off
.LBB167_129:
	s_mov_b32 s38, 0
.LBB167_130:
	s_delay_alu instid0(SALU_CYCLE_1)
	s_and_not1_b32 vcc_lo, exec_lo, s38
	s_cbranch_vccnz .LBB167_146
; %bb.131:
	v_cmp_gt_i16_e32 vcc_lo, 2, v3
	s_mov_b32 s38, -1
	s_cbranch_vccnz .LBB167_141
; %bb.132:
	v_cmp_gt_i16_e32 vcc_lo, 3, v3
	s_cbranch_vccnz .LBB167_138
; %bb.133:
	v_cmp_lt_i16_e32 vcc_lo, 3, v3
	s_cbranch_vccz .LBB167_135
; %bb.134:
	v_cvt_f32_f16_e32 v4, v2
	s_mov_b32 s38, 0
	s_delay_alu instid0(VALU_DEP_1) | instskip(NEXT) | instid1(VALU_DEP_1)
	v_cvt_i32_f32_e32 v4, v4
	v_ashrrev_i32_e32 v5, 31, v4
	global_store_b64 v[0:1], v[4:5], off
.LBB167_135:
	s_and_not1_b32 vcc_lo, exec_lo, s38
	s_cbranch_vccnz .LBB167_137
; %bb.136:
	v_cvt_f32_f16_e32 v4, v2
	s_delay_alu instid0(VALU_DEP_1)
	v_cvt_i32_f32_e32 v4, v4
	global_store_b32 v[0:1], v4, off
.LBB167_137:
	s_mov_b32 s38, 0
.LBB167_138:
	s_delay_alu instid0(SALU_CYCLE_1)
	s_and_not1_b32 vcc_lo, exec_lo, s38
	s_cbranch_vccnz .LBB167_140
; %bb.139:
	v_cvt_i16_f16_e32 v4, v2
	global_store_b16 v[0:1], v4, off
.LBB167_140:
	s_mov_b32 s38, 0
.LBB167_141:
	s_delay_alu instid0(SALU_CYCLE_1)
	s_and_not1_b32 vcc_lo, exec_lo, s38
	s_cbranch_vccnz .LBB167_146
; %bb.142:
	v_cmp_lt_i16_e32 vcc_lo, 0, v3
	s_mov_b32 s38, -1
	s_cbranch_vccz .LBB167_144
; %bb.143:
	v_cvt_i16_f16_e32 v3, v2
	s_mov_b32 s38, 0
	global_store_b8 v[0:1], v3, off
.LBB167_144:
	s_and_not1_b32 vcc_lo, exec_lo, s38
	s_cbranch_vccnz .LBB167_146
; %bb.145:
	v_cvt_f32_f16_e32 v2, v2
	s_delay_alu instid0(VALU_DEP_1)
	v_cvt_i32_f32_e32 v2, v2
	global_store_b8 v[0:1], v2, off
.LBB167_146:
.LBB167_147:
	v_add_nc_u32_e32 v7, 0x80, v7
	s_mov_b32 s43, -1
	s_branch .LBB167_384
.LBB167_148:
	s_mov_b32 s38, -1
	s_mov_b32 s2, 0
                                        ; implicit-def: $vgpr5
	s_branch .LBB167_167
.LBB167_149:
	s_mov_b32 s38, -1
	s_mov_b32 s2, 0
                                        ; implicit-def: $vgpr3
	s_branch .LBB167_300
.LBB167_150:
	s_mov_b32 s38, -1
	s_mov_b32 s2, 0
                                        ; implicit-def: $vgpr5
	s_branch .LBB167_162
.LBB167_151:
	s_mov_b32 s38, -1
	s_mov_b32 s2, 0
                                        ; implicit-def: $vgpr3
	s_branch .LBB167_283
.LBB167_152:
	s_mov_b32 s38, -1
	s_branch .LBB167_155
.LBB167_153:
	s_mov_b32 s38, -1
	s_mov_b32 s2, 0
                                        ; implicit-def: $vgpr3
	s_branch .LBB167_278
.LBB167_154:
	s_mov_b32 s3, -1
.LBB167_155:
	s_mov_b32 s2, 0
                                        ; implicit-def: $vgpr5
.LBB167_156:
	s_and_b32 vcc_lo, exec_lo, s38
	s_cbranch_vccz .LBB167_161
; %bb.157:
	v_cmp_eq_u16_e32 vcc_lo, 44, v4
	s_cbranch_vccz .LBB167_160
; %bb.158:
	global_load_u8 v5, v[2:3], off
	s_mov_b32 s3, 0
	s_mov_b32 s2, -1
	s_waitcnt vmcnt(0)
	v_lshlrev_b32_e32 v6, 23, v5
	v_cmp_ne_u32_e32 vcc_lo, 0xff, v5
	s_delay_alu instid0(VALU_DEP_2) | instskip(NEXT) | instid1(VALU_DEP_1)
	v_cvt_f16_f32_e32 v6, v6
	v_cndmask_b32_e32 v6, 0x7e00, v6, vcc_lo
	v_cmp_ne_u32_e32 vcc_lo, 0, v5
	s_delay_alu instid0(VALU_DEP_2)
	v_cndmask_b32_e32 v5, 0, v6, vcc_lo
	s_branch .LBB167_161
.LBB167_159:
	s_mov_b32 s38, -1
	s_branch .LBB167_270
.LBB167_160:
	s_mov_b32 s3, -1
                                        ; implicit-def: $vgpr5
.LBB167_161:
	s_mov_b32 s38, 0
.LBB167_162:
	s_delay_alu instid0(SALU_CYCLE_1)
	s_and_b32 vcc_lo, exec_lo, s38
	s_cbranch_vccz .LBB167_166
; %bb.163:
	v_cmp_eq_u16_e32 vcc_lo, 29, v4
	s_cbranch_vccz .LBB167_165
; %bb.164:
	global_load_b64 v[5:6], v[2:3], off
	s_mov_b32 s2, -1
	s_mov_b32 s3, 0
	s_mov_b32 s38, 0
	s_waitcnt vmcnt(0)
	v_clz_i32_u32_e32 v8, v6
	s_delay_alu instid0(VALU_DEP_1) | instskip(NEXT) | instid1(VALU_DEP_1)
	v_min_u32_e32 v8, 32, v8
	v_lshlrev_b64 v[5:6], v8, v[5:6]
	s_delay_alu instid0(VALU_DEP_1) | instskip(NEXT) | instid1(VALU_DEP_1)
	v_min_u32_e32 v5, 1, v5
	v_or_b32_e32 v5, v6, v5
	v_sub_nc_u32_e32 v6, 32, v8
	s_delay_alu instid0(VALU_DEP_2) | instskip(NEXT) | instid1(VALU_DEP_1)
	v_cvt_f32_u32_e32 v5, v5
	v_ldexp_f32 v5, v5, v6
	s_delay_alu instid0(VALU_DEP_1)
	v_cvt_f16_f32_e32 v5, v5
	s_branch .LBB167_167
.LBB167_165:
	s_mov_b32 s3, -1
                                        ; implicit-def: $vgpr5
.LBB167_166:
	s_mov_b32 s38, 0
.LBB167_167:
	s_delay_alu instid0(SALU_CYCLE_1)
	s_and_b32 vcc_lo, exec_lo, s38
	s_cbranch_vccz .LBB167_185
; %bb.168:
	v_cmp_gt_i16_e32 vcc_lo, 27, v4
	s_cbranch_vccnz .LBB167_171
; %bb.169:
	v_cmp_lt_i16_e32 vcc_lo, 27, v4
	s_cbranch_vccz .LBB167_172
; %bb.170:
	global_load_b32 v5, v[2:3], off
	s_mov_b32 s2, 0
	s_waitcnt vmcnt(0)
	v_cvt_f32_u32_e32 v5, v5
	s_delay_alu instid0(VALU_DEP_1)
	v_cvt_f16_f32_e32 v5, v5
	s_branch .LBB167_173
.LBB167_171:
	s_mov_b32 s2, -1
                                        ; implicit-def: $vgpr5
	s_branch .LBB167_176
.LBB167_172:
	s_mov_b32 s2, -1
                                        ; implicit-def: $vgpr5
.LBB167_173:
	s_delay_alu instid0(SALU_CYCLE_1)
	s_and_not1_b32 vcc_lo, exec_lo, s2
	s_cbranch_vccnz .LBB167_175
; %bb.174:
	global_load_u16 v5, v[2:3], off
	s_waitcnt vmcnt(0)
	v_cvt_f16_u16_e32 v5, v5
.LBB167_175:
	s_mov_b32 s2, 0
.LBB167_176:
	s_delay_alu instid0(SALU_CYCLE_1)
	s_and_not1_b32 vcc_lo, exec_lo, s2
	s_cbranch_vccnz .LBB167_184
; %bb.177:
	global_load_u8 v6, v[2:3], off
	s_mov_b32 s2, 0
	s_mov_b32 s39, exec_lo
                                        ; implicit-def: $sgpr38
	s_waitcnt vmcnt(0)
	v_cmpx_lt_i16_e32 0x7f, v6
	s_xor_b32 s39, exec_lo, s39
	s_cbranch_execz .LBB167_197
; %bb.178:
	s_mov_b32 s2, -1
	s_mov_b32 s40, exec_lo
                                        ; implicit-def: $sgpr38
	v_cmpx_eq_u16_e32 0x80, v6
; %bb.179:
	s_movk_i32 s38, 0x7e00
	s_xor_b32 s2, exec_lo, -1
; %bb.180:
	s_or_b32 exec_lo, exec_lo, s40
	s_delay_alu instid0(SALU_CYCLE_1)
	s_and_b32 s2, s2, exec_lo
	s_or_saveexec_b32 s39, s39
	v_mov_b32_e32 v5, s38
	s_xor_b32 exec_lo, exec_lo, s39
	s_cbranch_execnz .LBB167_198
.LBB167_181:
	s_or_b32 exec_lo, exec_lo, s39
	s_and_saveexec_b32 s38, s2
	s_cbranch_execz .LBB167_183
.LBB167_182:
	v_and_b32_e32 v5, 0xffff, v6
	v_lshlrev_b32_e32 v6, 24, v6
	s_delay_alu instid0(VALU_DEP_2) | instskip(NEXT) | instid1(VALU_DEP_2)
	v_and_b32_e32 v8, 7, v5
	v_and_b32_e32 v6, 0x80000000, v6
	s_delay_alu instid0(VALU_DEP_2) | instskip(NEXT) | instid1(VALU_DEP_1)
	v_clz_i32_u32_e32 v9, v8
	v_min_u32_e32 v9, 32, v9
	s_delay_alu instid0(VALU_DEP_1) | instskip(SKIP_1) | instid1(VALU_DEP_2)
	v_subrev_nc_u32_e32 v10, 28, v9
	v_sub_nc_u32_e32 v9, 29, v9
	v_lshlrev_b32_e32 v10, v10, v5
	v_bfe_u32 v5, v5, 3, 4
	s_delay_alu instid0(VALU_DEP_1) | instskip(NEXT) | instid1(VALU_DEP_3)
	v_cmp_eq_u32_e32 vcc_lo, 0, v5
	v_dual_cndmask_b32 v5, v5, v9 :: v_dual_and_b32 v10, 7, v10
	s_delay_alu instid0(VALU_DEP_1) | instskip(NEXT) | instid1(VALU_DEP_2)
	v_cndmask_b32_e32 v8, v8, v10, vcc_lo
	v_lshl_add_u32 v5, v5, 23, 0x3b800000
	s_delay_alu instid0(VALU_DEP_2) | instskip(NEXT) | instid1(VALU_DEP_1)
	v_lshlrev_b32_e32 v8, 20, v8
	v_or3_b32 v5, v6, v5, v8
	s_delay_alu instid0(VALU_DEP_1)
	v_cvt_f16_f32_e32 v5, v5
.LBB167_183:
	s_or_b32 exec_lo, exec_lo, s38
.LBB167_184:
	s_mov_b32 s2, -1
.LBB167_185:
	s_branch .LBB167_220
.LBB167_186:
	v_cmp_lt_i16_e32 vcc_lo, 22, v4
	s_cbranch_vccz .LBB167_196
; %bb.187:
	v_cmp_gt_i16_e32 vcc_lo, 24, v4
	s_cbranch_vccnz .LBB167_199
; %bb.188:
	v_cmp_lt_i16_e32 vcc_lo, 24, v4
	s_cbranch_vccz .LBB167_200
; %bb.189:
	global_load_u8 v6, v[2:3], off
	s_mov_b32 s2, 0
	s_mov_b32 s39, exec_lo
                                        ; implicit-def: $sgpr38
	s_waitcnt vmcnt(0)
	v_cmpx_lt_i16_e32 0x7f, v6
	s_xor_b32 s39, exec_lo, s39
	s_cbranch_execz .LBB167_212
; %bb.190:
	s_mov_b32 s2, -1
	s_mov_b32 s40, exec_lo
                                        ; implicit-def: $sgpr38
	v_cmpx_eq_u16_e32 0x80, v6
; %bb.191:
	s_movk_i32 s38, 0x7e00
	s_xor_b32 s2, exec_lo, -1
; %bb.192:
	s_or_b32 exec_lo, exec_lo, s40
	s_delay_alu instid0(SALU_CYCLE_1)
	s_and_b32 s2, s2, exec_lo
	s_or_saveexec_b32 s39, s39
	v_mov_b32_e32 v5, s38
	s_xor_b32 exec_lo, exec_lo, s39
	s_cbranch_execnz .LBB167_213
.LBB167_193:
	s_or_b32 exec_lo, exec_lo, s39
	s_and_saveexec_b32 s38, s2
	s_cbranch_execz .LBB167_195
.LBB167_194:
	v_and_b32_e32 v5, 0xffff, v6
	v_lshlrev_b32_e32 v6, 24, v6
	s_delay_alu instid0(VALU_DEP_2) | instskip(NEXT) | instid1(VALU_DEP_2)
	v_and_b32_e32 v8, 3, v5
	v_and_b32_e32 v6, 0x80000000, v6
	s_delay_alu instid0(VALU_DEP_2) | instskip(NEXT) | instid1(VALU_DEP_1)
	v_clz_i32_u32_e32 v9, v8
	v_min_u32_e32 v9, 32, v9
	s_delay_alu instid0(VALU_DEP_1) | instskip(SKIP_1) | instid1(VALU_DEP_2)
	v_subrev_nc_u32_e32 v10, 29, v9
	v_sub_nc_u32_e32 v9, 30, v9
	v_lshlrev_b32_e32 v10, v10, v5
	v_bfe_u32 v5, v5, 2, 5
	s_delay_alu instid0(VALU_DEP_1) | instskip(NEXT) | instid1(VALU_DEP_3)
	v_cmp_eq_u32_e32 vcc_lo, 0, v5
	v_dual_cndmask_b32 v5, v5, v9 :: v_dual_and_b32 v10, 3, v10
	s_delay_alu instid0(VALU_DEP_1) | instskip(NEXT) | instid1(VALU_DEP_2)
	v_cndmask_b32_e32 v8, v8, v10, vcc_lo
	v_lshl_add_u32 v5, v5, 23, 0x37800000
	s_delay_alu instid0(VALU_DEP_2) | instskip(NEXT) | instid1(VALU_DEP_1)
	v_lshlrev_b32_e32 v8, 21, v8
	v_or3_b32 v5, v6, v5, v8
	s_delay_alu instid0(VALU_DEP_1)
	v_cvt_f16_f32_e32 v5, v5
.LBB167_195:
	s_or_b32 exec_lo, exec_lo, s38
	s_mov_b32 s2, 0
	s_branch .LBB167_201
.LBB167_196:
	s_mov_b32 s38, -1
                                        ; implicit-def: $vgpr5
	s_branch .LBB167_207
.LBB167_197:
	s_or_saveexec_b32 s39, s39
	v_mov_b32_e32 v5, s38
	s_xor_b32 exec_lo, exec_lo, s39
	s_cbranch_execz .LBB167_181
.LBB167_198:
	v_cmp_ne_u16_e32 vcc_lo, 0, v6
	v_mov_b32_e32 v5, v6
	s_and_not1_b32 s2, s2, exec_lo
	s_and_b32 s38, vcc_lo, exec_lo
	s_delay_alu instid0(SALU_CYCLE_1)
	s_or_b32 s2, s2, s38
	s_or_b32 exec_lo, exec_lo, s39
	s_and_saveexec_b32 s38, s2
	s_cbranch_execnz .LBB167_182
	s_branch .LBB167_183
.LBB167_199:
	s_mov_b32 s2, -1
                                        ; implicit-def: $vgpr5
	s_branch .LBB167_204
.LBB167_200:
	s_mov_b32 s2, -1
                                        ; implicit-def: $vgpr5
.LBB167_201:
	s_delay_alu instid0(SALU_CYCLE_1)
	s_and_b32 vcc_lo, exec_lo, s2
	s_cbranch_vccz .LBB167_203
; %bb.202:
	global_load_u8 v5, v[2:3], off
	s_waitcnt vmcnt(0)
	v_lshlrev_b32_e32 v5, 24, v5
	s_delay_alu instid0(VALU_DEP_1) | instskip(NEXT) | instid1(VALU_DEP_1)
	v_and_b32_e32 v6, 0x7f000000, v5
	v_clz_i32_u32_e32 v8, v6
	v_add_nc_u32_e32 v10, 0x1000000, v6
	v_cmp_ne_u32_e32 vcc_lo, 0, v6
	s_delay_alu instid0(VALU_DEP_3) | instskip(NEXT) | instid1(VALU_DEP_1)
	v_min_u32_e32 v8, 32, v8
	v_sub_nc_u32_e64 v8, v8, 4 clamp
	s_delay_alu instid0(VALU_DEP_1) | instskip(SKIP_1) | instid1(VALU_DEP_2)
	v_lshlrev_b32_e32 v9, v8, v6
	v_lshlrev_b32_e32 v8, 23, v8
	v_lshrrev_b32_e32 v9, 4, v9
	s_delay_alu instid0(VALU_DEP_1) | instskip(SKIP_1) | instid1(VALU_DEP_2)
	v_sub_nc_u32_e32 v8, v9, v8
	v_ashrrev_i32_e32 v9, 8, v10
	v_add_nc_u32_e32 v8, 0x3c000000, v8
	s_delay_alu instid0(VALU_DEP_1) | instskip(NEXT) | instid1(VALU_DEP_1)
	v_and_or_b32 v8, 0x7f800000, v9, v8
	v_cndmask_b32_e32 v6, 0, v8, vcc_lo
	s_delay_alu instid0(VALU_DEP_1) | instskip(NEXT) | instid1(VALU_DEP_1)
	v_and_or_b32 v5, 0x80000000, v5, v6
	v_cvt_f16_f32_e32 v5, v5
.LBB167_203:
	s_mov_b32 s2, 0
.LBB167_204:
	s_delay_alu instid0(SALU_CYCLE_1)
	s_and_not1_b32 vcc_lo, exec_lo, s2
	s_cbranch_vccnz .LBB167_206
; %bb.205:
	global_load_u8 v5, v[2:3], off
	s_waitcnt vmcnt(0)
	v_lshlrev_b32_e32 v6, 25, v5
	v_lshlrev_b16 v5, 8, v5
	s_delay_alu instid0(VALU_DEP_2) | instskip(NEXT) | instid1(VALU_DEP_2)
	v_lshrrev_b32_e32 v8, 4, v6
	v_and_or_b32 v9, 0x7f00, v5, 0.5
	v_cmp_gt_u32_e32 vcc_lo, 0x8000000, v6
	v_bfe_i32 v5, v5, 0, 16
	s_delay_alu instid0(VALU_DEP_4) | instskip(NEXT) | instid1(VALU_DEP_1)
	v_or_b32_e32 v8, 0x70000000, v8
	v_dual_add_f32 v9, -0.5, v9 :: v_dual_mul_f32 v8, 0x7800000, v8
	s_delay_alu instid0(VALU_DEP_1) | instskip(NEXT) | instid1(VALU_DEP_1)
	v_cndmask_b32_e32 v6, v8, v9, vcc_lo
	v_and_or_b32 v5, 0x80000000, v5, v6
	s_delay_alu instid0(VALU_DEP_1)
	v_cvt_f16_f32_e32 v5, v5
.LBB167_206:
	s_mov_b32 s38, 0
	s_mov_b32 s2, -1
.LBB167_207:
	s_and_not1_b32 vcc_lo, exec_lo, s38
	s_cbranch_vccnz .LBB167_220
; %bb.208:
	v_cmp_lt_i16_e32 vcc_lo, 14, v4
	s_cbranch_vccz .LBB167_211
; %bb.209:
	v_cmp_eq_u16_e32 vcc_lo, 15, v4
	s_cbranch_vccz .LBB167_214
; %bb.210:
	global_load_u16 v5, v[2:3], off
	s_mov_b32 s2, -1
	s_mov_b32 s3, 0
	s_waitcnt vmcnt(0)
	v_lshlrev_b32_e32 v5, 16, v5
	s_delay_alu instid0(VALU_DEP_1)
	v_cvt_f16_f32_e32 v5, v5
	s_branch .LBB167_215
.LBB167_211:
	s_mov_b32 s38, -1
                                        ; implicit-def: $vgpr5
	s_branch .LBB167_216
.LBB167_212:
	s_or_saveexec_b32 s39, s39
	v_mov_b32_e32 v5, s38
	s_xor_b32 exec_lo, exec_lo, s39
	s_cbranch_execz .LBB167_193
.LBB167_213:
	v_cmp_ne_u16_e32 vcc_lo, 0, v6
	v_mov_b32_e32 v5, v6
	s_and_not1_b32 s2, s2, exec_lo
	s_and_b32 s38, vcc_lo, exec_lo
	s_delay_alu instid0(SALU_CYCLE_1)
	s_or_b32 s2, s2, s38
	s_or_b32 exec_lo, exec_lo, s39
	s_and_saveexec_b32 s38, s2
	s_cbranch_execnz .LBB167_194
	s_branch .LBB167_195
.LBB167_214:
	s_mov_b32 s3, -1
                                        ; implicit-def: $vgpr5
.LBB167_215:
	s_mov_b32 s38, 0
.LBB167_216:
	s_delay_alu instid0(SALU_CYCLE_1)
	s_and_b32 vcc_lo, exec_lo, s38
	s_cbranch_vccz .LBB167_220
; %bb.217:
	v_cmp_eq_u16_e32 vcc_lo, 11, v4
	s_cbranch_vccz .LBB167_219
; %bb.218:
	global_load_u8 v5, v[2:3], off
	s_mov_b32 s3, 0
	s_mov_b32 s2, -1
	s_waitcnt vmcnt(0)
	v_cmp_ne_u16_e32 vcc_lo, 0, v5
	v_cndmask_b32_e64 v5, 0, 0x3c00, vcc_lo
	s_branch .LBB167_220
.LBB167_219:
	s_mov_b32 s3, -1
                                        ; implicit-def: $vgpr5
.LBB167_220:
	s_branch .LBB167_20
.LBB167_221:
	v_cmp_gt_i16_e32 vcc_lo, 5, v4
	s_cbranch_vccnz .LBB167_226
; %bb.222:
	v_cmp_gt_i16_e32 vcc_lo, 8, v4
	s_cbranch_vccnz .LBB167_227
; %bb.223:
	;; [unrolled: 3-line block ×3, first 2 shown]
	v_cmp_lt_i16_e32 vcc_lo, 9, v4
	s_cbranch_vccz .LBB167_229
; %bb.225:
	global_load_b64 v[5:6], v[2:3], off
	s_mov_b32 s2, 0
	s_waitcnt vmcnt(0)
	v_cvt_f32_f64_e32 v5, v[5:6]
	s_delay_alu instid0(VALU_DEP_1)
	v_cvt_f16_f32_e32 v5, v5
	s_branch .LBB167_230
.LBB167_226:
                                        ; implicit-def: $vgpr5
	s_branch .LBB167_248
.LBB167_227:
	s_mov_b32 s2, -1
                                        ; implicit-def: $vgpr5
	s_branch .LBB167_236
.LBB167_228:
	s_mov_b32 s2, -1
                                        ; implicit-def: $vgpr5
	s_branch .LBB167_233
.LBB167_229:
	s_mov_b32 s2, -1
                                        ; implicit-def: $vgpr5
.LBB167_230:
	s_delay_alu instid0(SALU_CYCLE_1)
	s_and_not1_b32 vcc_lo, exec_lo, s2
	s_cbranch_vccnz .LBB167_232
; %bb.231:
	global_load_b32 v5, v[2:3], off
	s_waitcnt vmcnt(0)
	v_cvt_f16_f32_e32 v5, v5
.LBB167_232:
	s_mov_b32 s2, 0
.LBB167_233:
	s_delay_alu instid0(SALU_CYCLE_1)
	s_and_not1_b32 vcc_lo, exec_lo, s2
	s_cbranch_vccnz .LBB167_235
; %bb.234:
	global_load_b32 v5, v[2:3], off
.LBB167_235:
	s_mov_b32 s2, 0
.LBB167_236:
	s_delay_alu instid0(SALU_CYCLE_1)
	s_and_not1_b32 vcc_lo, exec_lo, s2
	s_cbranch_vccnz .LBB167_247
; %bb.237:
	v_cmp_gt_i16_e32 vcc_lo, 6, v4
	s_cbranch_vccnz .LBB167_240
; %bb.238:
	v_cmp_lt_i16_e32 vcc_lo, 6, v4
	s_cbranch_vccz .LBB167_241
; %bb.239:
	global_load_b64 v[5:6], v[2:3], off
	s_mov_b32 s2, 0
	s_waitcnt vmcnt(0)
	v_cvt_f32_f64_e32 v5, v[5:6]
	s_delay_alu instid0(VALU_DEP_1)
	v_cvt_f16_f32_e32 v5, v5
	s_branch .LBB167_242
.LBB167_240:
	s_mov_b32 s2, -1
                                        ; implicit-def: $vgpr5
	s_branch .LBB167_245
.LBB167_241:
	s_mov_b32 s2, -1
                                        ; implicit-def: $vgpr5
.LBB167_242:
	s_delay_alu instid0(SALU_CYCLE_1)
	s_and_not1_b32 vcc_lo, exec_lo, s2
	s_cbranch_vccnz .LBB167_244
; %bb.243:
	global_load_b32 v5, v[2:3], off
	s_waitcnt vmcnt(0)
	v_cvt_f16_f32_e32 v5, v5
.LBB167_244:
	s_mov_b32 s2, 0
.LBB167_245:
	s_delay_alu instid0(SALU_CYCLE_1)
	s_and_not1_b32 vcc_lo, exec_lo, s2
	s_cbranch_vccnz .LBB167_247
; %bb.246:
	global_load_u16 v5, v[2:3], off
.LBB167_247:
	s_cbranch_execnz .LBB167_267
.LBB167_248:
	v_cmp_gt_i16_e32 vcc_lo, 2, v4
	s_cbranch_vccnz .LBB167_252
; %bb.249:
	v_cmp_gt_i16_e32 vcc_lo, 3, v4
	s_cbranch_vccnz .LBB167_253
; %bb.250:
	v_cmp_lt_i16_e32 vcc_lo, 3, v4
	s_cbranch_vccz .LBB167_254
; %bb.251:
	global_load_b64 v[5:6], v[2:3], off
	s_mov_b32 s2, 0
	s_waitcnt vmcnt(0)
	v_xor_b32_e32 v8, v5, v6
	v_cls_i32_e32 v9, v6
	s_delay_alu instid0(VALU_DEP_2) | instskip(NEXT) | instid1(VALU_DEP_2)
	v_ashrrev_i32_e32 v8, 31, v8
	v_add_nc_u32_e32 v9, -1, v9
	s_delay_alu instid0(VALU_DEP_2) | instskip(NEXT) | instid1(VALU_DEP_1)
	v_add_nc_u32_e32 v8, 32, v8
	v_min_u32_e32 v8, v9, v8
	s_delay_alu instid0(VALU_DEP_1) | instskip(NEXT) | instid1(VALU_DEP_1)
	v_lshlrev_b64 v[5:6], v8, v[5:6]
	v_min_u32_e32 v5, 1, v5
	s_delay_alu instid0(VALU_DEP_1) | instskip(SKIP_1) | instid1(VALU_DEP_2)
	v_or_b32_e32 v5, v6, v5
	v_sub_nc_u32_e32 v6, 32, v8
	v_cvt_f32_i32_e32 v5, v5
	s_delay_alu instid0(VALU_DEP_1) | instskip(NEXT) | instid1(VALU_DEP_1)
	v_ldexp_f32 v5, v5, v6
	v_cvt_f16_f32_e32 v5, v5
	s_branch .LBB167_255
.LBB167_252:
	s_mov_b32 s2, -1
                                        ; implicit-def: $vgpr5
	s_branch .LBB167_261
.LBB167_253:
	s_mov_b32 s2, -1
                                        ; implicit-def: $vgpr5
	s_branch .LBB167_258
.LBB167_254:
	s_mov_b32 s2, -1
                                        ; implicit-def: $vgpr5
.LBB167_255:
	s_delay_alu instid0(SALU_CYCLE_1)
	s_and_not1_b32 vcc_lo, exec_lo, s2
	s_cbranch_vccnz .LBB167_257
; %bb.256:
	global_load_b32 v5, v[2:3], off
	s_waitcnt vmcnt(0)
	v_cvt_f32_i32_e32 v5, v5
	s_delay_alu instid0(VALU_DEP_1)
	v_cvt_f16_f32_e32 v5, v5
.LBB167_257:
	s_mov_b32 s2, 0
.LBB167_258:
	s_delay_alu instid0(SALU_CYCLE_1)
	s_and_not1_b32 vcc_lo, exec_lo, s2
	s_cbranch_vccnz .LBB167_260
; %bb.259:
	global_load_u16 v5, v[2:3], off
	s_waitcnt vmcnt(0)
	v_cvt_f16_i16_e32 v5, v5
.LBB167_260:
	s_mov_b32 s2, 0
.LBB167_261:
	s_delay_alu instid0(SALU_CYCLE_1)
	s_and_not1_b32 vcc_lo, exec_lo, s2
	s_cbranch_vccnz .LBB167_267
; %bb.262:
	v_cmp_lt_i16_e32 vcc_lo, 0, v4
	s_mov_b32 s2, 0
	s_cbranch_vccz .LBB167_264
; %bb.263:
	global_load_i8 v4, v[2:3], off
	s_waitcnt vmcnt(0)
	v_cvt_f16_i16_e32 v5, v4
	s_branch .LBB167_265
.LBB167_264:
	s_mov_b32 s2, -1
                                        ; implicit-def: $vgpr5
.LBB167_265:
	s_delay_alu instid0(SALU_CYCLE_1)
	s_and_not1_b32 vcc_lo, exec_lo, s2
	s_cbranch_vccnz .LBB167_267
; %bb.266:
	global_load_u8 v2, v[2:3], off
	s_waitcnt vmcnt(0)
	v_cvt_f16_u16_e32 v5, v2
.LBB167_267:
	s_branch .LBB167_21
.LBB167_268:
	s_mov_b32 s2, 0
	s_mov_b32 s39, 0
	s_branch .LBB167_383
.LBB167_269:
	s_mov_b32 s39, -1
.LBB167_270:
	s_mov_b32 s2, 0
                                        ; implicit-def: $vgpr3
.LBB167_271:
	s_and_b32 vcc_lo, exec_lo, s38
	s_cbranch_vccz .LBB167_277
; %bb.272:
	v_cmp_eq_u16_e32 vcc_lo, 44, v6
	s_cbranch_vccz .LBB167_276
; %bb.273:
	global_load_u8 v3, v[1:2], off
	s_mov_b32 s39, 0
	s_mov_b32 s2, -1
	s_waitcnt vmcnt(0)
	v_lshlrev_b32_e32 v4, 23, v3
	v_cmp_ne_u32_e32 vcc_lo, 0, v3
	s_delay_alu instid0(VALU_DEP_2) | instskip(NEXT) | instid1(VALU_DEP_1)
	v_trunc_f32_e32 v4, v4
	v_mul_f32_e64 v8, 0x2f800000, |v4|
	s_delay_alu instid0(VALU_DEP_1) | instskip(NEXT) | instid1(VALU_DEP_1)
	v_floor_f32_e32 v8, v8
	v_fma_f32 v8, 0xcf800000, v8, |v4|
	v_ashrrev_i32_e32 v4, 31, v4
	s_delay_alu instid0(VALU_DEP_2) | instskip(NEXT) | instid1(VALU_DEP_1)
	v_cvt_u32_f32_e32 v8, v8
	v_xor_b32_e32 v8, v8, v4
	s_delay_alu instid0(VALU_DEP_1) | instskip(NEXT) | instid1(VALU_DEP_1)
	v_sub_nc_u32_e32 v4, v8, v4
	v_cndmask_b32_e32 v3, 0, v4, vcc_lo
	s_branch .LBB167_277
.LBB167_274:
	s_or_saveexec_b32 s43, s43
                                        ; implicit-def: $sgpr44
	s_delay_alu instid0(SALU_CYCLE_1)
	s_xor_b32 exec_lo, exec_lo, s43
	s_cbranch_execz .LBB167_59
.LBB167_275:
	v_add_f32_e64 v5, 0x46000000, |v4|
	s_and_not1_b32 s40, s40, exec_lo
	s_mov_b32 s44, 0
	s_delay_alu instid0(VALU_DEP_1) | instskip(NEXT) | instid1(VALU_DEP_1)
	v_and_b32_e32 v5, 0xff, v5
	v_cmp_ne_u32_e32 vcc_lo, 0, v5
	s_and_b32 s45, vcc_lo, exec_lo
	s_delay_alu instid0(SALU_CYCLE_1)
	s_or_b32 s40, s40, s45
	s_or_b32 exec_lo, exec_lo, s43
	v_mov_b32_e32 v6, s44
	s_and_saveexec_b32 s43, s40
	s_cbranch_execnz .LBB167_60
	s_branch .LBB167_61
.LBB167_276:
	s_mov_b32 s39, -1
                                        ; implicit-def: $vgpr3
.LBB167_277:
	s_mov_b32 s38, 0
.LBB167_278:
	s_delay_alu instid0(SALU_CYCLE_1)
	s_and_b32 vcc_lo, exec_lo, s38
	s_cbranch_vccz .LBB167_282
; %bb.279:
	v_cmp_eq_u16_e32 vcc_lo, 29, v6
	s_cbranch_vccz .LBB167_281
; %bb.280:
	global_load_b64 v[3:4], v[1:2], off
	s_mov_b32 s2, -1
	s_mov_b32 s39, 0
	s_branch .LBB167_282
.LBB167_281:
	s_mov_b32 s39, -1
                                        ; implicit-def: $vgpr3
.LBB167_282:
	s_mov_b32 s38, 0
.LBB167_283:
	s_delay_alu instid0(SALU_CYCLE_1)
	s_and_b32 vcc_lo, exec_lo, s38
	s_cbranch_vccz .LBB167_299
; %bb.284:
	v_cmp_gt_i16_e32 vcc_lo, 27, v6
	s_cbranch_vccnz .LBB167_287
; %bb.285:
	v_cmp_lt_i16_e32 vcc_lo, 27, v6
	s_cbranch_vccz .LBB167_288
; %bb.286:
	global_load_b32 v3, v[1:2], off
	s_mov_b32 s2, 0
	s_branch .LBB167_289
.LBB167_287:
	s_mov_b32 s2, -1
                                        ; implicit-def: $vgpr3
	s_branch .LBB167_292
.LBB167_288:
	s_mov_b32 s2, -1
                                        ; implicit-def: $vgpr3
.LBB167_289:
	s_delay_alu instid0(SALU_CYCLE_1)
	s_and_not1_b32 vcc_lo, exec_lo, s2
	s_cbranch_vccnz .LBB167_291
; %bb.290:
	global_load_u16 v3, v[1:2], off
.LBB167_291:
	s_mov_b32 s2, 0
.LBB167_292:
	s_delay_alu instid0(SALU_CYCLE_1)
	s_and_not1_b32 vcc_lo, exec_lo, s2
	s_cbranch_vccnz .LBB167_298
; %bb.293:
	global_load_u8 v4, v[1:2], off
	s_mov_b32 s38, 0
	s_mov_b32 s2, exec_lo
                                        ; implicit-def: $sgpr40
	s_waitcnt vmcnt(0)
	v_cmpx_lt_i16_e32 0x7f, v4
	s_xor_b32 s2, exec_lo, s2
	s_cbranch_execz .LBB167_310
; %bb.294:
	v_cmp_ne_u16_e32 vcc_lo, 0x80, v4
	s_mov_b32 s40, 0
	s_and_b32 s38, vcc_lo, exec_lo
	s_or_saveexec_b32 s2, s2
	v_mov_b32_e32 v3, s40
	s_xor_b32 exec_lo, exec_lo, s2
	s_cbranch_execnz .LBB167_311
.LBB167_295:
	s_or_b32 exec_lo, exec_lo, s2
	s_and_saveexec_b32 s2, s38
	s_cbranch_execz .LBB167_297
.LBB167_296:
	v_and_b32_e32 v3, 0xffff, v4
	v_lshlrev_b32_e32 v4, 24, v4
	s_delay_alu instid0(VALU_DEP_2) | instskip(NEXT) | instid1(VALU_DEP_2)
	v_and_b32_e32 v8, 7, v3
	v_and_b32_e32 v4, 0x80000000, v4
	s_delay_alu instid0(VALU_DEP_2) | instskip(NEXT) | instid1(VALU_DEP_1)
	v_clz_i32_u32_e32 v9, v8
	v_min_u32_e32 v9, 32, v9
	s_delay_alu instid0(VALU_DEP_1) | instskip(SKIP_1) | instid1(VALU_DEP_2)
	v_subrev_nc_u32_e32 v10, 28, v9
	v_sub_nc_u32_e32 v9, 29, v9
	v_lshlrev_b32_e32 v10, v10, v3
	v_bfe_u32 v3, v3, 3, 4
	s_delay_alu instid0(VALU_DEP_2) | instskip(NEXT) | instid1(VALU_DEP_2)
	v_and_b32_e32 v10, 7, v10
	v_cmp_eq_u32_e32 vcc_lo, 0, v3
	s_delay_alu instid0(VALU_DEP_2) | instskip(NEXT) | instid1(VALU_DEP_1)
	v_dual_cndmask_b32 v3, v3, v9 :: v_dual_cndmask_b32 v8, v8, v10
	v_lshl_add_u32 v3, v3, 23, 0x3b800000
	s_delay_alu instid0(VALU_DEP_2) | instskip(NEXT) | instid1(VALU_DEP_1)
	v_lshlrev_b32_e32 v8, 20, v8
	v_or3_b32 v3, v4, v3, v8
	s_delay_alu instid0(VALU_DEP_1) | instskip(NEXT) | instid1(VALU_DEP_1)
	v_trunc_f32_e32 v3, v3
	v_mul_f32_e64 v4, 0x2f800000, |v3|
	s_delay_alu instid0(VALU_DEP_1) | instskip(NEXT) | instid1(VALU_DEP_1)
	v_floor_f32_e32 v4, v4
	v_fma_f32 v4, 0xcf800000, v4, |v3|
	v_ashrrev_i32_e32 v3, 31, v3
	s_delay_alu instid0(VALU_DEP_2) | instskip(NEXT) | instid1(VALU_DEP_1)
	v_cvt_u32_f32_e32 v4, v4
	v_xor_b32_e32 v4, v4, v3
	s_delay_alu instid0(VALU_DEP_1)
	v_sub_nc_u32_e32 v3, v4, v3
.LBB167_297:
	s_or_b32 exec_lo, exec_lo, s2
.LBB167_298:
	s_mov_b32 s2, -1
.LBB167_299:
	s_mov_b32 s38, 0
.LBB167_300:
	s_delay_alu instid0(SALU_CYCLE_1)
	s_and_b32 vcc_lo, exec_lo, s38
	s_cbranch_vccz .LBB167_333
; %bb.301:
	v_cmp_lt_i16_e32 vcc_lo, 22, v6
	s_cbranch_vccz .LBB167_309
; %bb.302:
	v_cmp_gt_i16_e32 vcc_lo, 24, v6
	s_cbranch_vccnz .LBB167_312
; %bb.303:
	v_cmp_lt_i16_e32 vcc_lo, 24, v6
	s_cbranch_vccz .LBB167_313
; %bb.304:
	global_load_u8 v4, v[1:2], off
	s_mov_b32 s38, 0
	s_mov_b32 s2, exec_lo
                                        ; implicit-def: $sgpr40
	s_waitcnt vmcnt(0)
	v_cmpx_lt_i16_e32 0x7f, v4
	s_xor_b32 s2, exec_lo, s2
	s_cbranch_execz .LBB167_325
; %bb.305:
	v_cmp_ne_u16_e32 vcc_lo, 0x80, v4
	s_mov_b32 s40, 0
	s_and_b32 s38, vcc_lo, exec_lo
	s_or_saveexec_b32 s2, s2
	v_mov_b32_e32 v3, s40
	s_xor_b32 exec_lo, exec_lo, s2
	s_cbranch_execnz .LBB167_326
.LBB167_306:
	s_or_b32 exec_lo, exec_lo, s2
	s_and_saveexec_b32 s2, s38
	s_cbranch_execz .LBB167_308
.LBB167_307:
	v_and_b32_e32 v3, 0xffff, v4
	v_lshlrev_b32_e32 v4, 24, v4
	s_delay_alu instid0(VALU_DEP_2) | instskip(NEXT) | instid1(VALU_DEP_2)
	v_and_b32_e32 v8, 3, v3
	v_and_b32_e32 v4, 0x80000000, v4
	s_delay_alu instid0(VALU_DEP_2) | instskip(NEXT) | instid1(VALU_DEP_1)
	v_clz_i32_u32_e32 v9, v8
	v_min_u32_e32 v9, 32, v9
	s_delay_alu instid0(VALU_DEP_1) | instskip(SKIP_1) | instid1(VALU_DEP_2)
	v_subrev_nc_u32_e32 v10, 29, v9
	v_sub_nc_u32_e32 v9, 30, v9
	v_lshlrev_b32_e32 v10, v10, v3
	v_bfe_u32 v3, v3, 2, 5
	s_delay_alu instid0(VALU_DEP_2) | instskip(NEXT) | instid1(VALU_DEP_2)
	v_and_b32_e32 v10, 3, v10
	v_cmp_eq_u32_e32 vcc_lo, 0, v3
	s_delay_alu instid0(VALU_DEP_2) | instskip(NEXT) | instid1(VALU_DEP_1)
	v_dual_cndmask_b32 v3, v3, v9 :: v_dual_cndmask_b32 v8, v8, v10
	v_lshl_add_u32 v3, v3, 23, 0x37800000
	s_delay_alu instid0(VALU_DEP_2) | instskip(NEXT) | instid1(VALU_DEP_1)
	v_lshlrev_b32_e32 v8, 21, v8
	v_or3_b32 v3, v4, v3, v8
	s_delay_alu instid0(VALU_DEP_1) | instskip(NEXT) | instid1(VALU_DEP_1)
	v_trunc_f32_e32 v3, v3
	v_mul_f32_e64 v4, 0x2f800000, |v3|
	s_delay_alu instid0(VALU_DEP_1) | instskip(NEXT) | instid1(VALU_DEP_1)
	v_floor_f32_e32 v4, v4
	v_fma_f32 v4, 0xcf800000, v4, |v3|
	v_ashrrev_i32_e32 v3, 31, v3
	s_delay_alu instid0(VALU_DEP_2) | instskip(NEXT) | instid1(VALU_DEP_1)
	v_cvt_u32_f32_e32 v4, v4
	v_xor_b32_e32 v4, v4, v3
	s_delay_alu instid0(VALU_DEP_1)
	v_sub_nc_u32_e32 v3, v4, v3
.LBB167_308:
	s_or_b32 exec_lo, exec_lo, s2
	s_mov_b32 s2, 0
	s_branch .LBB167_314
.LBB167_309:
	s_mov_b32 s38, -1
                                        ; implicit-def: $vgpr3
	s_branch .LBB167_320
.LBB167_310:
	s_or_saveexec_b32 s2, s2
	v_mov_b32_e32 v3, s40
	s_xor_b32 exec_lo, exec_lo, s2
	s_cbranch_execz .LBB167_295
.LBB167_311:
	v_cmp_ne_u16_e32 vcc_lo, 0, v4
	v_mov_b32_e32 v3, 0
	s_and_not1_b32 s38, s38, exec_lo
	s_and_b32 s40, vcc_lo, exec_lo
	s_delay_alu instid0(SALU_CYCLE_1)
	s_or_b32 s38, s38, s40
	s_or_b32 exec_lo, exec_lo, s2
	s_and_saveexec_b32 s2, s38
	s_cbranch_execnz .LBB167_296
	s_branch .LBB167_297
.LBB167_312:
	s_mov_b32 s2, -1
                                        ; implicit-def: $vgpr3
	s_branch .LBB167_317
.LBB167_313:
	s_mov_b32 s2, -1
                                        ; implicit-def: $vgpr3
.LBB167_314:
	s_delay_alu instid0(SALU_CYCLE_1)
	s_and_b32 vcc_lo, exec_lo, s2
	s_cbranch_vccz .LBB167_316
; %bb.315:
	global_load_u8 v3, v[1:2], off
	s_waitcnt vmcnt(0)
	v_lshlrev_b32_e32 v3, 24, v3
	s_delay_alu instid0(VALU_DEP_1) | instskip(NEXT) | instid1(VALU_DEP_1)
	v_and_b32_e32 v4, 0x7f000000, v3
	v_clz_i32_u32_e32 v8, v4
	v_add_nc_u32_e32 v10, 0x1000000, v4
	v_cmp_ne_u32_e32 vcc_lo, 0, v4
	s_delay_alu instid0(VALU_DEP_3) | instskip(NEXT) | instid1(VALU_DEP_1)
	v_min_u32_e32 v8, 32, v8
	v_sub_nc_u32_e64 v8, v8, 4 clamp
	s_delay_alu instid0(VALU_DEP_1) | instskip(SKIP_1) | instid1(VALU_DEP_2)
	v_lshlrev_b32_e32 v9, v8, v4
	v_lshlrev_b32_e32 v8, 23, v8
	v_lshrrev_b32_e32 v9, 4, v9
	s_delay_alu instid0(VALU_DEP_1) | instskip(SKIP_1) | instid1(VALU_DEP_2)
	v_sub_nc_u32_e32 v8, v9, v8
	v_ashrrev_i32_e32 v9, 8, v10
	v_add_nc_u32_e32 v8, 0x3c000000, v8
	s_delay_alu instid0(VALU_DEP_1) | instskip(NEXT) | instid1(VALU_DEP_1)
	v_and_or_b32 v8, 0x7f800000, v9, v8
	v_cndmask_b32_e32 v4, 0, v8, vcc_lo
	s_delay_alu instid0(VALU_DEP_1) | instskip(NEXT) | instid1(VALU_DEP_1)
	v_and_or_b32 v3, 0x80000000, v3, v4
	v_trunc_f32_e32 v3, v3
	s_delay_alu instid0(VALU_DEP_1) | instskip(NEXT) | instid1(VALU_DEP_1)
	v_mul_f32_e64 v4, 0x2f800000, |v3|
	v_floor_f32_e32 v4, v4
	s_delay_alu instid0(VALU_DEP_1) | instskip(SKIP_1) | instid1(VALU_DEP_2)
	v_fma_f32 v4, 0xcf800000, v4, |v3|
	v_ashrrev_i32_e32 v3, 31, v3
	v_cvt_u32_f32_e32 v4, v4
	s_delay_alu instid0(VALU_DEP_1) | instskip(NEXT) | instid1(VALU_DEP_1)
	v_xor_b32_e32 v4, v4, v3
	v_sub_nc_u32_e32 v3, v4, v3
.LBB167_316:
	s_mov_b32 s2, 0
.LBB167_317:
	s_delay_alu instid0(SALU_CYCLE_1)
	s_and_not1_b32 vcc_lo, exec_lo, s2
	s_cbranch_vccnz .LBB167_319
; %bb.318:
	global_load_u8 v3, v[1:2], off
	s_waitcnt vmcnt(0)
	v_lshlrev_b32_e32 v4, 25, v3
	v_lshlrev_b16 v3, 8, v3
	s_delay_alu instid0(VALU_DEP_1) | instskip(SKIP_1) | instid1(VALU_DEP_2)
	v_and_or_b32 v9, 0x7f00, v3, 0.5
	v_bfe_i32 v3, v3, 0, 16
	v_add_f32_e32 v9, -0.5, v9
	v_lshrrev_b32_e32 v8, 4, v4
	v_cmp_gt_u32_e32 vcc_lo, 0x8000000, v4
	s_delay_alu instid0(VALU_DEP_2) | instskip(NEXT) | instid1(VALU_DEP_1)
	v_or_b32_e32 v8, 0x70000000, v8
	v_mul_f32_e32 v8, 0x7800000, v8
	s_delay_alu instid0(VALU_DEP_1) | instskip(NEXT) | instid1(VALU_DEP_1)
	v_cndmask_b32_e32 v4, v8, v9, vcc_lo
	v_and_or_b32 v3, 0x80000000, v3, v4
	s_delay_alu instid0(VALU_DEP_1) | instskip(NEXT) | instid1(VALU_DEP_1)
	v_trunc_f32_e32 v3, v3
	v_mul_f32_e64 v4, 0x2f800000, |v3|
	s_delay_alu instid0(VALU_DEP_1) | instskip(NEXT) | instid1(VALU_DEP_1)
	v_floor_f32_e32 v4, v4
	v_fma_f32 v4, 0xcf800000, v4, |v3|
	v_ashrrev_i32_e32 v3, 31, v3
	s_delay_alu instid0(VALU_DEP_2) | instskip(NEXT) | instid1(VALU_DEP_1)
	v_cvt_u32_f32_e32 v4, v4
	v_xor_b32_e32 v4, v4, v3
	s_delay_alu instid0(VALU_DEP_1)
	v_sub_nc_u32_e32 v3, v4, v3
.LBB167_319:
	s_mov_b32 s38, 0
	s_mov_b32 s2, -1
.LBB167_320:
	s_and_not1_b32 vcc_lo, exec_lo, s38
	s_cbranch_vccnz .LBB167_333
; %bb.321:
	v_cmp_lt_i16_e32 vcc_lo, 14, v6
	s_cbranch_vccz .LBB167_324
; %bb.322:
	v_cmp_eq_u16_e32 vcc_lo, 15, v6
	s_cbranch_vccz .LBB167_327
; %bb.323:
	global_load_u16 v3, v[1:2], off
	s_mov_b32 s2, -1
	s_mov_b32 s39, 0
	s_waitcnt vmcnt(0)
	v_lshlrev_b32_e32 v3, 16, v3
	s_delay_alu instid0(VALU_DEP_1) | instskip(NEXT) | instid1(VALU_DEP_1)
	v_trunc_f32_e32 v3, v3
	v_mul_f32_e64 v4, 0x2f800000, |v3|
	s_delay_alu instid0(VALU_DEP_1) | instskip(NEXT) | instid1(VALU_DEP_1)
	v_floor_f32_e32 v4, v4
	v_fma_f32 v4, 0xcf800000, v4, |v3|
	v_ashrrev_i32_e32 v3, 31, v3
	s_delay_alu instid0(VALU_DEP_2) | instskip(NEXT) | instid1(VALU_DEP_1)
	v_cvt_u32_f32_e32 v4, v4
	v_xor_b32_e32 v4, v4, v3
	s_delay_alu instid0(VALU_DEP_1)
	v_sub_nc_u32_e32 v3, v4, v3
	s_branch .LBB167_328
.LBB167_324:
	s_mov_b32 s38, -1
                                        ; implicit-def: $vgpr3
	s_branch .LBB167_329
.LBB167_325:
	s_or_saveexec_b32 s2, s2
	v_mov_b32_e32 v3, s40
	s_xor_b32 exec_lo, exec_lo, s2
	s_cbranch_execz .LBB167_306
.LBB167_326:
	v_cmp_ne_u16_e32 vcc_lo, 0, v4
	v_mov_b32_e32 v3, 0
	s_and_not1_b32 s38, s38, exec_lo
	s_and_b32 s40, vcc_lo, exec_lo
	s_delay_alu instid0(SALU_CYCLE_1)
	s_or_b32 s38, s38, s40
	s_or_b32 exec_lo, exec_lo, s2
	s_and_saveexec_b32 s2, s38
	s_cbranch_execnz .LBB167_307
	s_branch .LBB167_308
.LBB167_327:
	s_mov_b32 s39, -1
                                        ; implicit-def: $vgpr3
.LBB167_328:
	s_mov_b32 s38, 0
.LBB167_329:
	s_delay_alu instid0(SALU_CYCLE_1)
	s_and_b32 vcc_lo, exec_lo, s38
	s_cbranch_vccz .LBB167_333
; %bb.330:
	v_cmp_eq_u16_e32 vcc_lo, 11, v6
	s_cbranch_vccz .LBB167_332
; %bb.331:
	global_load_u8 v3, v[1:2], off
	s_mov_b32 s39, 0
	s_mov_b32 s2, -1
	s_waitcnt vmcnt(0)
	v_cmp_ne_u16_e32 vcc_lo, 0, v3
	v_cndmask_b32_e64 v3, 0, 1, vcc_lo
	s_branch .LBB167_333
.LBB167_332:
	s_mov_b32 s39, -1
                                        ; implicit-def: $vgpr3
.LBB167_333:
	s_branch .LBB167_30
.LBB167_334:
	v_cmp_gt_i16_e32 vcc_lo, 5, v6
	s_cbranch_vccnz .LBB167_339
; %bb.335:
	v_cmp_gt_i16_e32 vcc_lo, 8, v6
	s_cbranch_vccnz .LBB167_340
; %bb.336:
	;; [unrolled: 3-line block ×3, first 2 shown]
	v_cmp_lt_i16_e32 vcc_lo, 9, v6
	s_cbranch_vccz .LBB167_342
; %bb.338:
	global_load_b64 v[3:4], v[1:2], off
	s_mov_b32 s2, 0
	s_waitcnt vmcnt(0)
	v_trunc_f64_e32 v[3:4], v[3:4]
	s_delay_alu instid0(VALU_DEP_1) | instskip(NEXT) | instid1(VALU_DEP_1)
	v_ldexp_f64 v[8:9], v[3:4], 0xffffffe0
	v_floor_f64_e32 v[8:9], v[8:9]
	s_delay_alu instid0(VALU_DEP_1) | instskip(NEXT) | instid1(VALU_DEP_1)
	v_fma_f64 v[3:4], 0xc1f00000, v[8:9], v[3:4]
	v_cvt_u32_f64_e32 v3, v[3:4]
	s_branch .LBB167_343
.LBB167_339:
	s_mov_b32 s2, -1
                                        ; implicit-def: $vgpr3
	s_branch .LBB167_361
.LBB167_340:
	s_mov_b32 s2, -1
                                        ; implicit-def: $vgpr3
	s_branch .LBB167_349
.LBB167_341:
	s_mov_b32 s2, -1
                                        ; implicit-def: $vgpr3
	s_branch .LBB167_346
.LBB167_342:
	s_mov_b32 s2, -1
                                        ; implicit-def: $vgpr3
.LBB167_343:
	s_delay_alu instid0(SALU_CYCLE_1)
	s_and_not1_b32 vcc_lo, exec_lo, s2
	s_cbranch_vccnz .LBB167_345
; %bb.344:
	global_load_b32 v3, v[1:2], off
	s_waitcnt vmcnt(0)
	v_trunc_f32_e32 v3, v3
	s_delay_alu instid0(VALU_DEP_1) | instskip(NEXT) | instid1(VALU_DEP_1)
	v_mul_f32_e64 v4, 0x2f800000, |v3|
	v_floor_f32_e32 v4, v4
	s_delay_alu instid0(VALU_DEP_1) | instskip(SKIP_1) | instid1(VALU_DEP_2)
	v_fma_f32 v4, 0xcf800000, v4, |v3|
	v_ashrrev_i32_e32 v3, 31, v3
	v_cvt_u32_f32_e32 v4, v4
	s_delay_alu instid0(VALU_DEP_1) | instskip(NEXT) | instid1(VALU_DEP_1)
	v_xor_b32_e32 v4, v4, v3
	v_sub_nc_u32_e32 v3, v4, v3
.LBB167_345:
	s_mov_b32 s2, 0
.LBB167_346:
	s_delay_alu instid0(SALU_CYCLE_1)
	s_and_not1_b32 vcc_lo, exec_lo, s2
	s_cbranch_vccnz .LBB167_348
; %bb.347:
	global_load_b32 v3, v[1:2], off
	s_waitcnt vmcnt(0)
	v_cvt_f32_f16_e32 v3, v3
	s_delay_alu instid0(VALU_DEP_1)
	v_cvt_i32_f32_e32 v3, v3
.LBB167_348:
	s_mov_b32 s2, 0
.LBB167_349:
	s_delay_alu instid0(SALU_CYCLE_1)
	s_and_not1_b32 vcc_lo, exec_lo, s2
	s_cbranch_vccnz .LBB167_360
; %bb.350:
	v_cmp_gt_i16_e32 vcc_lo, 6, v6
	s_cbranch_vccnz .LBB167_353
; %bb.351:
	v_cmp_lt_i16_e32 vcc_lo, 6, v6
	s_cbranch_vccz .LBB167_354
; %bb.352:
	global_load_b64 v[3:4], v[1:2], off
	s_mov_b32 s2, 0
	s_waitcnt vmcnt(0)
	v_trunc_f64_e32 v[3:4], v[3:4]
	s_delay_alu instid0(VALU_DEP_1) | instskip(NEXT) | instid1(VALU_DEP_1)
	v_ldexp_f64 v[8:9], v[3:4], 0xffffffe0
	v_floor_f64_e32 v[8:9], v[8:9]
	s_delay_alu instid0(VALU_DEP_1) | instskip(NEXT) | instid1(VALU_DEP_1)
	v_fma_f64 v[3:4], 0xc1f00000, v[8:9], v[3:4]
	v_cvt_u32_f64_e32 v3, v[3:4]
	s_branch .LBB167_355
.LBB167_353:
	s_mov_b32 s2, -1
                                        ; implicit-def: $vgpr3
	s_branch .LBB167_358
.LBB167_354:
	s_mov_b32 s2, -1
                                        ; implicit-def: $vgpr3
.LBB167_355:
	s_delay_alu instid0(SALU_CYCLE_1)
	s_and_not1_b32 vcc_lo, exec_lo, s2
	s_cbranch_vccnz .LBB167_357
; %bb.356:
	global_load_b32 v3, v[1:2], off
	s_waitcnt vmcnt(0)
	v_trunc_f32_e32 v3, v3
	s_delay_alu instid0(VALU_DEP_1) | instskip(NEXT) | instid1(VALU_DEP_1)
	v_mul_f32_e64 v4, 0x2f800000, |v3|
	v_floor_f32_e32 v4, v4
	s_delay_alu instid0(VALU_DEP_1) | instskip(SKIP_1) | instid1(VALU_DEP_2)
	v_fma_f32 v4, 0xcf800000, v4, |v3|
	v_ashrrev_i32_e32 v3, 31, v3
	v_cvt_u32_f32_e32 v4, v4
	s_delay_alu instid0(VALU_DEP_1) | instskip(NEXT) | instid1(VALU_DEP_1)
	v_xor_b32_e32 v4, v4, v3
	v_sub_nc_u32_e32 v3, v4, v3
.LBB167_357:
	s_mov_b32 s2, 0
.LBB167_358:
	s_delay_alu instid0(SALU_CYCLE_1)
	s_and_not1_b32 vcc_lo, exec_lo, s2
	s_cbranch_vccnz .LBB167_360
; %bb.359:
	global_load_u16 v3, v[1:2], off
	s_waitcnt vmcnt(0)
	v_cvt_f32_f16_e32 v3, v3
	s_delay_alu instid0(VALU_DEP_1)
	v_cvt_i32_f32_e32 v3, v3
.LBB167_360:
	s_mov_b32 s2, 0
.LBB167_361:
	s_delay_alu instid0(SALU_CYCLE_1)
	s_and_not1_b32 vcc_lo, exec_lo, s2
	s_cbranch_vccnz .LBB167_381
; %bb.362:
	v_cmp_gt_i16_e32 vcc_lo, 2, v6
	s_cbranch_vccnz .LBB167_366
; %bb.363:
	v_cmp_gt_i16_e32 vcc_lo, 3, v6
	s_cbranch_vccnz .LBB167_367
; %bb.364:
	v_cmp_lt_i16_e32 vcc_lo, 3, v6
	s_cbranch_vccz .LBB167_368
; %bb.365:
	global_load_b64 v[3:4], v[1:2], off
	s_mov_b32 s2, 0
	s_branch .LBB167_369
.LBB167_366:
	s_mov_b32 s2, -1
                                        ; implicit-def: $vgpr3
	s_branch .LBB167_375
.LBB167_367:
	s_mov_b32 s2, -1
                                        ; implicit-def: $vgpr3
	s_branch .LBB167_372
.LBB167_368:
	s_mov_b32 s2, -1
                                        ; implicit-def: $vgpr3
.LBB167_369:
	s_delay_alu instid0(SALU_CYCLE_1)
	s_and_not1_b32 vcc_lo, exec_lo, s2
	s_cbranch_vccnz .LBB167_371
; %bb.370:
	global_load_b32 v3, v[1:2], off
.LBB167_371:
	s_mov_b32 s2, 0
.LBB167_372:
	s_delay_alu instid0(SALU_CYCLE_1)
	s_and_not1_b32 vcc_lo, exec_lo, s2
	s_cbranch_vccnz .LBB167_374
; %bb.373:
	global_load_u16 v3, v[1:2], off
.LBB167_374:
	s_mov_b32 s2, 0
.LBB167_375:
	s_delay_alu instid0(SALU_CYCLE_1)
	s_and_not1_b32 vcc_lo, exec_lo, s2
	s_cbranch_vccnz .LBB167_381
; %bb.376:
	v_cmp_lt_i16_e32 vcc_lo, 0, v6
	s_mov_b32 s2, 0
	s_cbranch_vccz .LBB167_378
; %bb.377:
	global_load_u8 v3, v[1:2], off
	s_branch .LBB167_379
.LBB167_378:
	s_mov_b32 s2, -1
                                        ; implicit-def: $vgpr3
.LBB167_379:
	s_delay_alu instid0(SALU_CYCLE_1)
	s_and_not1_b32 vcc_lo, exec_lo, s2
	s_cbranch_vccnz .LBB167_381
; %bb.380:
	global_load_u8 v3, v[1:2], off
.LBB167_381:
	s_branch .LBB167_31
.LBB167_382:
	s_mov_b32 s2, 0
.LBB167_383:
	s_mov_b32 s43, 0
                                        ; implicit-def: $vgpr7
.LBB167_384:
	s_and_b32 s38, s2, exec_lo
	s_and_b32 s39, s39, exec_lo
	;; [unrolled: 1-line block ×3, first 2 shown]
	s_or_not1_b32 s2, s43, exec_lo
.LBB167_385:
	s_or_b32 exec_lo, exec_lo, s41
	s_mov_b32 s44, 0
	s_mov_b32 s43, 0
                                        ; implicit-def: $vgpr4
                                        ; implicit-def: $vgpr2_vgpr3
                                        ; implicit-def: $vgpr0
                                        ; implicit-def: $vgpr1
                                        ; implicit-def: $vgpr6
	s_and_saveexec_b32 s41, s2
	s_cbranch_execz .LBB167_1269
; %bb.386:
	s_mov_b32 s47, -1
	s_mov_b32 s42, s40
	s_mov_b32 s44, s39
	;; [unrolled: 1-line block ×3, first 2 shown]
	s_mov_b32 s45, exec_lo
	v_cmpx_gt_i32_e64 s36, v7
	s_cbranch_execz .LBB167_703
; %bb.387:
	s_and_not1_b32 vcc_lo, exec_lo, s29
	s_cbranch_vccnz .LBB167_393
; %bb.388:
	v_dual_mov_b32 v0, 0 :: v_dual_mov_b32 v1, 0
	v_mov_b32_e32 v2, 0
	s_and_not1_b32 vcc_lo, exec_lo, s37
	s_mov_b32 s42, 0
	s_cbranch_vccnz .LBB167_394
; %bb.389:
	s_add_i32 s2, s35, 1
	v_dual_mov_b32 v1, 0 :: v_dual_mov_b32 v2, 0
	s_waitcnt vmcnt(0)
	v_dual_mov_b32 v0, 0 :: v_dual_mov_b32 v3, v7
	s_and_b32 s43, s2, 30
	s_add_u32 s2, s20, 0xffffffec
	s_addc_u32 s3, s21, -1
	s_set_inst_prefetch_distance 0x1
	.p2align	6
.LBB167_390:                            ; =>This Inner Loop Header: Depth=1
	s_clause 0x2
	s_load_b128 s[48:51], s[2:3], 0x18
	s_load_b64 s[46:47], s[2:3], 0x28
	s_load_b128 s[52:55], s[2:3], 0xd8
	s_waitcnt lgkmcnt(0)
	v_mul_hi_u32 v4, s49, v3
	s_delay_alu instid0(VALU_DEP_1) | instskip(NEXT) | instid1(VALU_DEP_1)
	v_add_nc_u32_e32 v4, v3, v4
	v_lshrrev_b32_e32 v4, s50, v4
	s_delay_alu instid0(VALU_DEP_1)
	v_mul_hi_u32 v5, s46, v4
	v_mul_lo_u32 v6, v4, s48
	s_load_b64 s[48:49], s[2:3], 0xe8
	s_add_u32 s2, s2, 24
	s_addc_u32 s3, s3, 0
	s_add_i32 s43, s43, -2
	s_delay_alu instid0(SALU_CYCLE_1) | instskip(NEXT) | instid1(VALU_DEP_2)
	s_cmp_eq_u32 s43, 0
	v_add_nc_u32_e32 v5, v4, v5
	s_delay_alu instid0(VALU_DEP_2) | instskip(NEXT) | instid1(VALU_DEP_2)
	v_sub_nc_u32_e32 v6, v3, v6
	v_lshrrev_b32_e32 v3, s47, v5
	s_delay_alu instid0(VALU_DEP_2) | instskip(NEXT) | instid1(VALU_DEP_2)
	v_mul_lo_u32 v8, v6, s52
	v_mul_lo_u32 v5, v3, s51
	s_delay_alu instid0(VALU_DEP_1) | instskip(SKIP_2) | instid1(VALU_DEP_3)
	v_sub_nc_u32_e32 v4, v4, v5
	v_mul_lo_u32 v5, v6, s53
	v_mul_lo_u32 v6, v6, s54
	;; [unrolled: 1-line block ×3, first 2 shown]
	s_waitcnt lgkmcnt(0)
	v_mul_lo_u32 v10, v4, s48
	v_mul_lo_u32 v4, v4, s49
	s_delay_alu instid0(VALU_DEP_3) | instskip(NEXT) | instid1(VALU_DEP_3)
	v_add3_u32 v0, v8, v0, v9
	v_add3_u32 v2, v5, v2, v10
	s_delay_alu instid0(VALU_DEP_3)
	v_add3_u32 v1, v6, v1, v4
	s_cbranch_scc0 .LBB167_390
; %bb.391:
	s_set_inst_prefetch_distance 0x2
	s_bitcmp1_b32 s35, 0
	s_cselect_b32 s43, -1, 0
	s_delay_alu instid0(SALU_CYCLE_1)
	s_and_b32 vcc_lo, exec_lo, s43
	s_cbranch_vccnz .LBB167_394
; %bb.392:
	s_clause 0x3
	s_load_b64 s[46:47], s[2:3], 0x18
	s_load_b32 s43, s[2:3], 0x20
	s_load_b64 s[48:49], s[2:3], 0xd8
	s_load_b32 s2, s[2:3], 0xe0
	s_waitcnt lgkmcnt(0)
	v_mul_hi_u32 v4, s47, v3
	s_delay_alu instid0(VALU_DEP_1) | instskip(NEXT) | instid1(VALU_DEP_1)
	v_add_nc_u32_e32 v4, v3, v4
	v_lshrrev_b32_e32 v4, s43, v4
	s_delay_alu instid0(VALU_DEP_1) | instskip(NEXT) | instid1(VALU_DEP_1)
	v_mul_lo_u32 v4, v4, s46
	v_sub_nc_u32_e32 v8, v3, v4
	s_delay_alu instid0(VALU_DEP_1) | instskip(NEXT) | instid1(VALU_DEP_1)
	v_mad_u64_u32 v[3:4], null, v8, s48, v[0:1]
	v_mad_u64_u32 v[4:5], null, v8, s49, v[2:3]
	;; [unrolled: 1-line block ×3, first 2 shown]
	v_mov_b32_e32 v0, v3
	s_delay_alu instid0(VALU_DEP_2)
	v_dual_mov_b32 v2, v4 :: v_dual_mov_b32 v1, v5
	s_branch .LBB167_394
.LBB167_393:
	s_mov_b32 s42, -1
                                        ; implicit-def: $vgpr0
                                        ; implicit-def: $vgpr2
                                        ; implicit-def: $vgpr1
.LBB167_394:
	s_delay_alu instid0(SALU_CYCLE_1)
	s_and_not1_b32 vcc_lo, exec_lo, s42
	s_cbranch_vccnz .LBB167_397
; %bb.395:
	v_mul_hi_u32 v0, s17, v7
	s_and_not1_b32 vcc_lo, exec_lo, s34
	s_delay_alu instid0(VALU_DEP_1) | instskip(SKIP_1) | instid1(VALU_DEP_1)
	v_add_nc_u32_e32 v0, v7, v0
	s_waitcnt vmcnt(0)
	v_lshrrev_b32_e32 v3, s18, v0
	s_delay_alu instid0(VALU_DEP_1) | instskip(NEXT) | instid1(VALU_DEP_1)
	v_mul_lo_u32 v0, v3, s16
	v_sub_nc_u32_e32 v1, v7, v0
	s_delay_alu instid0(VALU_DEP_1)
	v_mul_lo_u32 v0, v1, s12
	v_mul_lo_u32 v2, v1, s13
	;; [unrolled: 1-line block ×3, first 2 shown]
	s_cbranch_vccnz .LBB167_397
; %bb.396:
	v_mul_hi_u32 v4, s24, v3
	s_delay_alu instid0(VALU_DEP_1) | instskip(NEXT) | instid1(VALU_DEP_1)
	v_add_nc_u32_e32 v4, v3, v4
	v_lshrrev_b32_e32 v4, s25, v4
	s_delay_alu instid0(VALU_DEP_1) | instskip(NEXT) | instid1(VALU_DEP_1)
	v_mul_lo_u32 v4, v4, s19
	v_sub_nc_u32_e32 v8, v3, v4
	s_delay_alu instid0(VALU_DEP_1) | instskip(NEXT) | instid1(VALU_DEP_1)
	v_mad_u64_u32 v[3:4], null, v8, s15, v[0:1]
	v_mad_u64_u32 v[4:5], null, v8, s22, v[2:3]
	;; [unrolled: 1-line block ×3, first 2 shown]
	v_mov_b32_e32 v0, v3
	s_delay_alu instid0(VALU_DEP_2)
	v_dual_mov_b32 v2, v4 :: v_dual_mov_b32 v1, v5
.LBB167_397:
	s_waitcnt vmcnt(0)
	v_and_b32_e64 v4, 0xff, s33
	s_delay_alu instid0(VALU_DEP_2) | instskip(NEXT) | instid1(VALU_DEP_1)
	v_add_co_u32 v2, s2, s6, v2
	v_add_co_ci_u32_e64 v3, null, s7, 0, s2
	s_delay_alu instid0(VALU_DEP_3)
	v_cmp_gt_i16_e32 vcc_lo, 11, v4
	s_mov_b32 s2, 0
	s_cbranch_vccnz .LBB167_404
; %bb.398:
	v_cmp_lt_i16_e32 vcc_lo, 25, v4
	s_cbranch_vccz .LBB167_413
; %bb.399:
	v_cmp_lt_i16_e32 vcc_lo, 28, v4
	s_cbranch_vccz .LBB167_415
	;; [unrolled: 3-line block ×4, first 2 shown]
; %bb.402:
	v_cmp_eq_u16_e32 vcc_lo, 46, v4
	s_mov_b32 s42, 0
	s_cbranch_vccz .LBB167_421
; %bb.403:
	global_load_b32 v5, v[2:3], off
	s_mov_b32 s2, -1
	s_mov_b32 s3, 0
	s_waitcnt vmcnt(0)
	v_lshlrev_b32_e32 v5, 16, v5
	s_delay_alu instid0(VALU_DEP_1)
	v_cvt_f16_f32_e32 v5, v5
	s_branch .LBB167_423
.LBB167_404:
	s_mov_b32 s3, s40
                                        ; implicit-def: $vgpr5
	s_cbranch_execnz .LBB167_489
.LBB167_405:
	s_and_not1_b32 vcc_lo, exec_lo, s2
	s_cbranch_vccnz .LBB167_537
.LBB167_406:
	v_and_b32_e64 v6, 0xff, s31
	v_add_co_u32 v1, s2, s8, v1
	s_delay_alu instid0(VALU_DEP_1) | instskip(NEXT) | instid1(VALU_DEP_3)
	v_add_co_ci_u32_e64 v2, null, s9, 0, s2
	v_cmp_gt_i16_e32 vcc_lo, 11, v6
	s_mov_b32 s2, 0
	s_cbranch_vccnz .LBB167_414
; %bb.407:
	v_cmp_lt_i16_e32 vcc_lo, 25, v6
	s_cbranch_vccz .LBB167_416
; %bb.408:
	v_cmp_lt_i16_e32 vcc_lo, 28, v6
	s_cbranch_vccz .LBB167_418
	;; [unrolled: 3-line block ×4, first 2 shown]
; %bb.411:
	v_cmp_eq_u16_e32 vcc_lo, 46, v6
	s_mov_b32 s43, 0
	s_cbranch_vccz .LBB167_540
; %bb.412:
	global_load_b32 v3, v[1:2], off
	s_mov_b32 s2, -1
	s_mov_b32 s42, 0
	s_waitcnt vmcnt(0)
	v_lshlrev_b32_e32 v3, 16, v3
	s_delay_alu instid0(VALU_DEP_1) | instskip(NEXT) | instid1(VALU_DEP_1)
	v_trunc_f32_e32 v3, v3
	v_mul_f32_e64 v4, 0x2f800000, |v3|
	s_delay_alu instid0(VALU_DEP_1) | instskip(NEXT) | instid1(VALU_DEP_1)
	v_floor_f32_e32 v4, v4
	v_fma_f32 v4, 0xcf800000, v4, |v3|
	v_ashrrev_i32_e32 v3, 31, v3
	s_delay_alu instid0(VALU_DEP_2) | instskip(NEXT) | instid1(VALU_DEP_1)
	v_cvt_u32_f32_e32 v4, v4
	v_xor_b32_e32 v4, v4, v3
	s_delay_alu instid0(VALU_DEP_1)
	v_sub_nc_u32_e32 v3, v4, v3
	s_branch .LBB167_542
.LBB167_413:
	s_mov_b32 s42, -1
	s_mov_b32 s3, s40
                                        ; implicit-def: $vgpr5
	s_branch .LBB167_453
.LBB167_414:
	s_mov_b32 s43, -1
	s_mov_b32 s42, s39
                                        ; implicit-def: $vgpr3
	s_branch .LBB167_603
.LBB167_415:
	s_mov_b32 s42, -1
	s_mov_b32 s3, s40
                                        ; implicit-def: $vgpr5
	s_branch .LBB167_434
.LBB167_416:
	s_mov_b32 s43, -1
	s_mov_b32 s42, s39
                                        ; implicit-def: $vgpr3
	s_branch .LBB167_569
.LBB167_417:
	s_mov_b32 s42, -1
	s_mov_b32 s3, s40
                                        ; implicit-def: $vgpr5
	s_branch .LBB167_429
.LBB167_418:
	s_mov_b32 s43, -1
	s_mov_b32 s42, s39
                                        ; implicit-def: $vgpr3
	s_branch .LBB167_552
.LBB167_419:
	s_mov_b32 s42, -1
	s_mov_b32 s3, s40
	s_branch .LBB167_422
.LBB167_420:
	s_mov_b32 s43, -1
	s_mov_b32 s42, s39
                                        ; implicit-def: $vgpr3
	s_branch .LBB167_547
.LBB167_421:
	s_mov_b32 s3, -1
.LBB167_422:
                                        ; implicit-def: $vgpr5
.LBB167_423:
	s_and_b32 vcc_lo, exec_lo, s42
	s_cbranch_vccz .LBB167_428
; %bb.424:
	v_cmp_eq_u16_e32 vcc_lo, 44, v4
	s_cbranch_vccz .LBB167_427
; %bb.425:
	global_load_u8 v5, v[2:3], off
	s_mov_b32 s3, 0
	s_mov_b32 s2, -1
	s_waitcnt vmcnt(0)
	v_lshlrev_b32_e32 v6, 23, v5
	v_cmp_ne_u32_e32 vcc_lo, 0xff, v5
	s_delay_alu instid0(VALU_DEP_2) | instskip(NEXT) | instid1(VALU_DEP_1)
	v_cvt_f16_f32_e32 v6, v6
	v_cndmask_b32_e32 v6, 0x7e00, v6, vcc_lo
	v_cmp_ne_u32_e32 vcc_lo, 0, v5
	s_delay_alu instid0(VALU_DEP_2)
	v_cndmask_b32_e32 v5, 0, v6, vcc_lo
	s_branch .LBB167_428
.LBB167_426:
	s_mov_b32 s43, -1
	s_mov_b32 s42, s39
	s_branch .LBB167_541
.LBB167_427:
	s_mov_b32 s3, -1
                                        ; implicit-def: $vgpr5
.LBB167_428:
	s_mov_b32 s42, 0
.LBB167_429:
	s_delay_alu instid0(SALU_CYCLE_1)
	s_and_b32 vcc_lo, exec_lo, s42
	s_cbranch_vccz .LBB167_433
; %bb.430:
	v_cmp_eq_u16_e32 vcc_lo, 29, v4
	s_cbranch_vccz .LBB167_432
; %bb.431:
	global_load_b64 v[5:6], v[2:3], off
	s_mov_b32 s2, -1
	s_mov_b32 s3, 0
	s_mov_b32 s42, 0
	s_waitcnt vmcnt(0)
	v_clz_i32_u32_e32 v8, v6
	s_delay_alu instid0(VALU_DEP_1) | instskip(NEXT) | instid1(VALU_DEP_1)
	v_min_u32_e32 v8, 32, v8
	v_lshlrev_b64 v[5:6], v8, v[5:6]
	s_delay_alu instid0(VALU_DEP_1) | instskip(NEXT) | instid1(VALU_DEP_1)
	v_min_u32_e32 v5, 1, v5
	v_or_b32_e32 v5, v6, v5
	v_sub_nc_u32_e32 v6, 32, v8
	s_delay_alu instid0(VALU_DEP_2) | instskip(NEXT) | instid1(VALU_DEP_1)
	v_cvt_f32_u32_e32 v5, v5
	v_ldexp_f32 v5, v5, v6
	s_delay_alu instid0(VALU_DEP_1)
	v_cvt_f16_f32_e32 v5, v5
	s_branch .LBB167_434
.LBB167_432:
	s_mov_b32 s3, -1
                                        ; implicit-def: $vgpr5
.LBB167_433:
	s_mov_b32 s42, 0
.LBB167_434:
	s_delay_alu instid0(SALU_CYCLE_1)
	s_and_b32 vcc_lo, exec_lo, s42
	s_cbranch_vccz .LBB167_452
; %bb.435:
	v_cmp_gt_i16_e32 vcc_lo, 27, v4
	s_cbranch_vccnz .LBB167_438
; %bb.436:
	v_cmp_lt_i16_e32 vcc_lo, 27, v4
	s_cbranch_vccz .LBB167_439
; %bb.437:
	global_load_b32 v5, v[2:3], off
	s_mov_b32 s2, 0
	s_waitcnt vmcnt(0)
	v_cvt_f32_u32_e32 v5, v5
	s_delay_alu instid0(VALU_DEP_1)
	v_cvt_f16_f32_e32 v5, v5
	s_branch .LBB167_440
.LBB167_438:
	s_mov_b32 s2, -1
                                        ; implicit-def: $vgpr5
	s_branch .LBB167_443
.LBB167_439:
	s_mov_b32 s2, -1
                                        ; implicit-def: $vgpr5
.LBB167_440:
	s_delay_alu instid0(SALU_CYCLE_1)
	s_and_not1_b32 vcc_lo, exec_lo, s2
	s_cbranch_vccnz .LBB167_442
; %bb.441:
	global_load_u16 v5, v[2:3], off
	s_waitcnt vmcnt(0)
	v_cvt_f16_u16_e32 v5, v5
.LBB167_442:
	s_mov_b32 s2, 0
.LBB167_443:
	s_delay_alu instid0(SALU_CYCLE_1)
	s_and_not1_b32 vcc_lo, exec_lo, s2
	s_cbranch_vccnz .LBB167_451
; %bb.444:
	global_load_u8 v6, v[2:3], off
	s_mov_b32 s2, 0
	s_mov_b32 s43, exec_lo
                                        ; implicit-def: $sgpr42
	s_waitcnt vmcnt(0)
	v_cmpx_lt_i16_e32 0x7f, v6
	s_xor_b32 s43, exec_lo, s43
	s_cbranch_execz .LBB167_465
; %bb.445:
	s_mov_b32 s2, -1
	s_mov_b32 s44, exec_lo
                                        ; implicit-def: $sgpr42
	v_cmpx_eq_u16_e32 0x80, v6
; %bb.446:
	s_movk_i32 s42, 0x7e00
	s_xor_b32 s2, exec_lo, -1
; %bb.447:
	s_or_b32 exec_lo, exec_lo, s44
	s_delay_alu instid0(SALU_CYCLE_1)
	s_and_b32 s2, s2, exec_lo
	s_or_saveexec_b32 s43, s43
	v_mov_b32_e32 v5, s42
	s_xor_b32 exec_lo, exec_lo, s43
	s_cbranch_execnz .LBB167_466
.LBB167_448:
	s_or_b32 exec_lo, exec_lo, s43
	s_and_saveexec_b32 s42, s2
	s_cbranch_execz .LBB167_450
.LBB167_449:
	v_and_b32_e32 v5, 0xffff, v6
	v_lshlrev_b32_e32 v6, 24, v6
	s_delay_alu instid0(VALU_DEP_2) | instskip(NEXT) | instid1(VALU_DEP_2)
	v_and_b32_e32 v8, 7, v5
	v_and_b32_e32 v6, 0x80000000, v6
	s_delay_alu instid0(VALU_DEP_2) | instskip(NEXT) | instid1(VALU_DEP_1)
	v_clz_i32_u32_e32 v9, v8
	v_min_u32_e32 v9, 32, v9
	s_delay_alu instid0(VALU_DEP_1) | instskip(SKIP_1) | instid1(VALU_DEP_2)
	v_subrev_nc_u32_e32 v10, 28, v9
	v_sub_nc_u32_e32 v9, 29, v9
	v_lshlrev_b32_e32 v10, v10, v5
	v_bfe_u32 v5, v5, 3, 4
	s_delay_alu instid0(VALU_DEP_1) | instskip(NEXT) | instid1(VALU_DEP_3)
	v_cmp_eq_u32_e32 vcc_lo, 0, v5
	v_dual_cndmask_b32 v5, v5, v9 :: v_dual_and_b32 v10, 7, v10
	s_delay_alu instid0(VALU_DEP_1) | instskip(NEXT) | instid1(VALU_DEP_2)
	v_cndmask_b32_e32 v8, v8, v10, vcc_lo
	v_lshl_add_u32 v5, v5, 23, 0x3b800000
	s_delay_alu instid0(VALU_DEP_2) | instskip(NEXT) | instid1(VALU_DEP_1)
	v_lshlrev_b32_e32 v8, 20, v8
	v_or3_b32 v5, v6, v5, v8
	s_delay_alu instid0(VALU_DEP_1)
	v_cvt_f16_f32_e32 v5, v5
.LBB167_450:
	s_or_b32 exec_lo, exec_lo, s42
.LBB167_451:
	s_mov_b32 s2, -1
.LBB167_452:
	s_mov_b32 s42, 0
.LBB167_453:
	s_delay_alu instid0(SALU_CYCLE_1)
	s_and_b32 vcc_lo, exec_lo, s42
	s_cbranch_vccz .LBB167_488
; %bb.454:
	v_cmp_lt_i16_e32 vcc_lo, 22, v4
	s_cbranch_vccz .LBB167_464
; %bb.455:
	v_cmp_gt_i16_e32 vcc_lo, 24, v4
	s_cbranch_vccnz .LBB167_467
; %bb.456:
	v_cmp_lt_i16_e32 vcc_lo, 24, v4
	s_cbranch_vccz .LBB167_468
; %bb.457:
	global_load_u8 v6, v[2:3], off
	s_mov_b32 s2, 0
	s_mov_b32 s43, exec_lo
                                        ; implicit-def: $sgpr42
	s_waitcnt vmcnt(0)
	v_cmpx_lt_i16_e32 0x7f, v6
	s_xor_b32 s43, exec_lo, s43
	s_cbranch_execz .LBB167_480
; %bb.458:
	s_mov_b32 s2, -1
	s_mov_b32 s44, exec_lo
                                        ; implicit-def: $sgpr42
	v_cmpx_eq_u16_e32 0x80, v6
; %bb.459:
	s_movk_i32 s42, 0x7e00
	s_xor_b32 s2, exec_lo, -1
; %bb.460:
	s_or_b32 exec_lo, exec_lo, s44
	s_delay_alu instid0(SALU_CYCLE_1)
	s_and_b32 s2, s2, exec_lo
	s_or_saveexec_b32 s43, s43
	v_mov_b32_e32 v5, s42
	s_xor_b32 exec_lo, exec_lo, s43
	s_cbranch_execnz .LBB167_481
.LBB167_461:
	s_or_b32 exec_lo, exec_lo, s43
	s_and_saveexec_b32 s42, s2
	s_cbranch_execz .LBB167_463
.LBB167_462:
	v_and_b32_e32 v5, 0xffff, v6
	v_lshlrev_b32_e32 v6, 24, v6
	s_delay_alu instid0(VALU_DEP_2) | instskip(NEXT) | instid1(VALU_DEP_2)
	v_and_b32_e32 v8, 3, v5
	v_and_b32_e32 v6, 0x80000000, v6
	s_delay_alu instid0(VALU_DEP_2) | instskip(NEXT) | instid1(VALU_DEP_1)
	v_clz_i32_u32_e32 v9, v8
	v_min_u32_e32 v9, 32, v9
	s_delay_alu instid0(VALU_DEP_1) | instskip(SKIP_1) | instid1(VALU_DEP_2)
	v_subrev_nc_u32_e32 v10, 29, v9
	v_sub_nc_u32_e32 v9, 30, v9
	v_lshlrev_b32_e32 v10, v10, v5
	v_bfe_u32 v5, v5, 2, 5
	s_delay_alu instid0(VALU_DEP_1) | instskip(NEXT) | instid1(VALU_DEP_3)
	v_cmp_eq_u32_e32 vcc_lo, 0, v5
	v_dual_cndmask_b32 v5, v5, v9 :: v_dual_and_b32 v10, 3, v10
	s_delay_alu instid0(VALU_DEP_1) | instskip(NEXT) | instid1(VALU_DEP_2)
	v_cndmask_b32_e32 v8, v8, v10, vcc_lo
	v_lshl_add_u32 v5, v5, 23, 0x37800000
	s_delay_alu instid0(VALU_DEP_2) | instskip(NEXT) | instid1(VALU_DEP_1)
	v_lshlrev_b32_e32 v8, 21, v8
	v_or3_b32 v5, v6, v5, v8
	s_delay_alu instid0(VALU_DEP_1)
	v_cvt_f16_f32_e32 v5, v5
.LBB167_463:
	s_or_b32 exec_lo, exec_lo, s42
	s_mov_b32 s2, 0
	s_branch .LBB167_469
.LBB167_464:
	s_mov_b32 s42, -1
                                        ; implicit-def: $vgpr5
	s_branch .LBB167_475
.LBB167_465:
	s_or_saveexec_b32 s43, s43
	v_mov_b32_e32 v5, s42
	s_xor_b32 exec_lo, exec_lo, s43
	s_cbranch_execz .LBB167_448
.LBB167_466:
	v_cmp_ne_u16_e32 vcc_lo, 0, v6
	v_mov_b32_e32 v5, v6
	s_and_not1_b32 s2, s2, exec_lo
	s_and_b32 s42, vcc_lo, exec_lo
	s_delay_alu instid0(SALU_CYCLE_1)
	s_or_b32 s2, s2, s42
	s_or_b32 exec_lo, exec_lo, s43
	s_and_saveexec_b32 s42, s2
	s_cbranch_execnz .LBB167_449
	s_branch .LBB167_450
.LBB167_467:
	s_mov_b32 s2, -1
                                        ; implicit-def: $vgpr5
	s_branch .LBB167_472
.LBB167_468:
	s_mov_b32 s2, -1
                                        ; implicit-def: $vgpr5
.LBB167_469:
	s_delay_alu instid0(SALU_CYCLE_1)
	s_and_b32 vcc_lo, exec_lo, s2
	s_cbranch_vccz .LBB167_471
; %bb.470:
	global_load_u8 v5, v[2:3], off
	s_waitcnt vmcnt(0)
	v_lshlrev_b32_e32 v5, 24, v5
	s_delay_alu instid0(VALU_DEP_1) | instskip(NEXT) | instid1(VALU_DEP_1)
	v_and_b32_e32 v6, 0x7f000000, v5
	v_clz_i32_u32_e32 v8, v6
	v_add_nc_u32_e32 v10, 0x1000000, v6
	v_cmp_ne_u32_e32 vcc_lo, 0, v6
	s_delay_alu instid0(VALU_DEP_3) | instskip(NEXT) | instid1(VALU_DEP_1)
	v_min_u32_e32 v8, 32, v8
	v_sub_nc_u32_e64 v8, v8, 4 clamp
	s_delay_alu instid0(VALU_DEP_1) | instskip(SKIP_1) | instid1(VALU_DEP_2)
	v_lshlrev_b32_e32 v9, v8, v6
	v_lshlrev_b32_e32 v8, 23, v8
	v_lshrrev_b32_e32 v9, 4, v9
	s_delay_alu instid0(VALU_DEP_1) | instskip(SKIP_1) | instid1(VALU_DEP_2)
	v_sub_nc_u32_e32 v8, v9, v8
	v_ashrrev_i32_e32 v9, 8, v10
	v_add_nc_u32_e32 v8, 0x3c000000, v8
	s_delay_alu instid0(VALU_DEP_1) | instskip(NEXT) | instid1(VALU_DEP_1)
	v_and_or_b32 v8, 0x7f800000, v9, v8
	v_cndmask_b32_e32 v6, 0, v8, vcc_lo
	s_delay_alu instid0(VALU_DEP_1) | instskip(NEXT) | instid1(VALU_DEP_1)
	v_and_or_b32 v5, 0x80000000, v5, v6
	v_cvt_f16_f32_e32 v5, v5
.LBB167_471:
	s_mov_b32 s2, 0
.LBB167_472:
	s_delay_alu instid0(SALU_CYCLE_1)
	s_and_not1_b32 vcc_lo, exec_lo, s2
	s_cbranch_vccnz .LBB167_474
; %bb.473:
	global_load_u8 v5, v[2:3], off
	s_waitcnt vmcnt(0)
	v_lshlrev_b32_e32 v6, 25, v5
	v_lshlrev_b16 v5, 8, v5
	s_delay_alu instid0(VALU_DEP_2) | instskip(NEXT) | instid1(VALU_DEP_2)
	v_lshrrev_b32_e32 v8, 4, v6
	v_and_or_b32 v9, 0x7f00, v5, 0.5
	v_cmp_gt_u32_e32 vcc_lo, 0x8000000, v6
	v_bfe_i32 v5, v5, 0, 16
	s_delay_alu instid0(VALU_DEP_4) | instskip(NEXT) | instid1(VALU_DEP_1)
	v_or_b32_e32 v8, 0x70000000, v8
	v_dual_add_f32 v9, -0.5, v9 :: v_dual_mul_f32 v8, 0x7800000, v8
	s_delay_alu instid0(VALU_DEP_1) | instskip(NEXT) | instid1(VALU_DEP_1)
	v_cndmask_b32_e32 v6, v8, v9, vcc_lo
	v_and_or_b32 v5, 0x80000000, v5, v6
	s_delay_alu instid0(VALU_DEP_1)
	v_cvt_f16_f32_e32 v5, v5
.LBB167_474:
	s_mov_b32 s42, 0
	s_mov_b32 s2, -1
.LBB167_475:
	s_and_not1_b32 vcc_lo, exec_lo, s42
	s_cbranch_vccnz .LBB167_488
; %bb.476:
	v_cmp_lt_i16_e32 vcc_lo, 14, v4
	s_cbranch_vccz .LBB167_479
; %bb.477:
	v_cmp_eq_u16_e32 vcc_lo, 15, v4
	s_cbranch_vccz .LBB167_482
; %bb.478:
	global_load_u16 v5, v[2:3], off
	s_mov_b32 s2, -1
	s_mov_b32 s3, 0
	s_waitcnt vmcnt(0)
	v_lshlrev_b32_e32 v5, 16, v5
	s_delay_alu instid0(VALU_DEP_1)
	v_cvt_f16_f32_e32 v5, v5
	s_branch .LBB167_483
.LBB167_479:
	s_mov_b32 s42, -1
                                        ; implicit-def: $vgpr5
	s_branch .LBB167_484
.LBB167_480:
	s_or_saveexec_b32 s43, s43
	v_mov_b32_e32 v5, s42
	s_xor_b32 exec_lo, exec_lo, s43
	s_cbranch_execz .LBB167_461
.LBB167_481:
	v_cmp_ne_u16_e32 vcc_lo, 0, v6
	v_mov_b32_e32 v5, v6
	s_and_not1_b32 s2, s2, exec_lo
	s_and_b32 s42, vcc_lo, exec_lo
	s_delay_alu instid0(SALU_CYCLE_1)
	s_or_b32 s2, s2, s42
	s_or_b32 exec_lo, exec_lo, s43
	s_and_saveexec_b32 s42, s2
	s_cbranch_execnz .LBB167_462
	s_branch .LBB167_463
.LBB167_482:
	s_mov_b32 s3, -1
                                        ; implicit-def: $vgpr5
.LBB167_483:
	s_mov_b32 s42, 0
.LBB167_484:
	s_delay_alu instid0(SALU_CYCLE_1)
	s_and_b32 vcc_lo, exec_lo, s42
	s_cbranch_vccz .LBB167_488
; %bb.485:
	v_cmp_eq_u16_e32 vcc_lo, 11, v4
	s_cbranch_vccz .LBB167_487
; %bb.486:
	global_load_u8 v5, v[2:3], off
	s_mov_b32 s3, 0
	s_mov_b32 s2, -1
	s_waitcnt vmcnt(0)
	v_cmp_ne_u16_e32 vcc_lo, 0, v5
	v_cndmask_b32_e64 v5, 0, 0x3c00, vcc_lo
	s_branch .LBB167_488
.LBB167_487:
	s_mov_b32 s3, -1
                                        ; implicit-def: $vgpr5
.LBB167_488:
	s_branch .LBB167_405
.LBB167_489:
	v_cmp_gt_i16_e32 vcc_lo, 5, v4
	s_cbranch_vccnz .LBB167_494
; %bb.490:
	v_cmp_gt_i16_e32 vcc_lo, 8, v4
	s_cbranch_vccnz .LBB167_495
; %bb.491:
	;; [unrolled: 3-line block ×3, first 2 shown]
	v_cmp_lt_i16_e32 vcc_lo, 9, v4
	s_cbranch_vccz .LBB167_497
; %bb.493:
	global_load_b64 v[5:6], v[2:3], off
	s_mov_b32 s2, 0
	s_waitcnt vmcnt(0)
	v_cvt_f32_f64_e32 v5, v[5:6]
	s_delay_alu instid0(VALU_DEP_1)
	v_cvt_f16_f32_e32 v5, v5
	s_branch .LBB167_498
.LBB167_494:
	s_mov_b32 s2, -1
                                        ; implicit-def: $vgpr5
	s_branch .LBB167_516
.LBB167_495:
	s_mov_b32 s2, -1
                                        ; implicit-def: $vgpr5
	s_branch .LBB167_504
.LBB167_496:
	s_mov_b32 s2, -1
                                        ; implicit-def: $vgpr5
	s_branch .LBB167_501
.LBB167_497:
	s_mov_b32 s2, -1
                                        ; implicit-def: $vgpr5
.LBB167_498:
	s_delay_alu instid0(SALU_CYCLE_1)
	s_and_not1_b32 vcc_lo, exec_lo, s2
	s_cbranch_vccnz .LBB167_500
; %bb.499:
	global_load_b32 v5, v[2:3], off
	s_waitcnt vmcnt(0)
	v_cvt_f16_f32_e32 v5, v5
.LBB167_500:
	s_mov_b32 s2, 0
.LBB167_501:
	s_delay_alu instid0(SALU_CYCLE_1)
	s_and_not1_b32 vcc_lo, exec_lo, s2
	s_cbranch_vccnz .LBB167_503
; %bb.502:
	global_load_b32 v5, v[2:3], off
.LBB167_503:
	s_mov_b32 s2, 0
.LBB167_504:
	s_delay_alu instid0(SALU_CYCLE_1)
	s_and_not1_b32 vcc_lo, exec_lo, s2
	s_cbranch_vccnz .LBB167_515
; %bb.505:
	v_cmp_gt_i16_e32 vcc_lo, 6, v4
	s_cbranch_vccnz .LBB167_508
; %bb.506:
	v_cmp_lt_i16_e32 vcc_lo, 6, v4
	s_cbranch_vccz .LBB167_509
; %bb.507:
	global_load_b64 v[5:6], v[2:3], off
	s_mov_b32 s2, 0
	s_waitcnt vmcnt(0)
	v_cvt_f32_f64_e32 v5, v[5:6]
	s_delay_alu instid0(VALU_DEP_1)
	v_cvt_f16_f32_e32 v5, v5
	s_branch .LBB167_510
.LBB167_508:
	s_mov_b32 s2, -1
                                        ; implicit-def: $vgpr5
	s_branch .LBB167_513
.LBB167_509:
	s_mov_b32 s2, -1
                                        ; implicit-def: $vgpr5
.LBB167_510:
	s_delay_alu instid0(SALU_CYCLE_1)
	s_and_not1_b32 vcc_lo, exec_lo, s2
	s_cbranch_vccnz .LBB167_512
; %bb.511:
	global_load_b32 v5, v[2:3], off
	s_waitcnt vmcnt(0)
	v_cvt_f16_f32_e32 v5, v5
.LBB167_512:
	s_mov_b32 s2, 0
.LBB167_513:
	s_delay_alu instid0(SALU_CYCLE_1)
	s_and_not1_b32 vcc_lo, exec_lo, s2
	s_cbranch_vccnz .LBB167_515
; %bb.514:
	global_load_u16 v5, v[2:3], off
.LBB167_515:
	s_mov_b32 s2, 0
.LBB167_516:
	s_delay_alu instid0(SALU_CYCLE_1)
	s_and_not1_b32 vcc_lo, exec_lo, s2
	s_cbranch_vccnz .LBB167_536
; %bb.517:
	v_cmp_gt_i16_e32 vcc_lo, 2, v4
	s_cbranch_vccnz .LBB167_521
; %bb.518:
	v_cmp_gt_i16_e32 vcc_lo, 3, v4
	s_cbranch_vccnz .LBB167_522
; %bb.519:
	v_cmp_lt_i16_e32 vcc_lo, 3, v4
	s_cbranch_vccz .LBB167_523
; %bb.520:
	global_load_b64 v[5:6], v[2:3], off
	s_mov_b32 s2, 0
	s_waitcnt vmcnt(0)
	v_xor_b32_e32 v8, v5, v6
	v_cls_i32_e32 v9, v6
	s_delay_alu instid0(VALU_DEP_2) | instskip(NEXT) | instid1(VALU_DEP_2)
	v_ashrrev_i32_e32 v8, 31, v8
	v_add_nc_u32_e32 v9, -1, v9
	s_delay_alu instid0(VALU_DEP_2) | instskip(NEXT) | instid1(VALU_DEP_1)
	v_add_nc_u32_e32 v8, 32, v8
	v_min_u32_e32 v8, v9, v8
	s_delay_alu instid0(VALU_DEP_1) | instskip(NEXT) | instid1(VALU_DEP_1)
	v_lshlrev_b64 v[5:6], v8, v[5:6]
	v_min_u32_e32 v5, 1, v5
	s_delay_alu instid0(VALU_DEP_1) | instskip(SKIP_1) | instid1(VALU_DEP_2)
	v_or_b32_e32 v5, v6, v5
	v_sub_nc_u32_e32 v6, 32, v8
	v_cvt_f32_i32_e32 v5, v5
	s_delay_alu instid0(VALU_DEP_1) | instskip(NEXT) | instid1(VALU_DEP_1)
	v_ldexp_f32 v5, v5, v6
	v_cvt_f16_f32_e32 v5, v5
	s_branch .LBB167_524
.LBB167_521:
	s_mov_b32 s2, -1
                                        ; implicit-def: $vgpr5
	s_branch .LBB167_530
.LBB167_522:
	s_mov_b32 s2, -1
                                        ; implicit-def: $vgpr5
	s_branch .LBB167_527
.LBB167_523:
	s_mov_b32 s2, -1
                                        ; implicit-def: $vgpr5
.LBB167_524:
	s_delay_alu instid0(SALU_CYCLE_1)
	s_and_not1_b32 vcc_lo, exec_lo, s2
	s_cbranch_vccnz .LBB167_526
; %bb.525:
	global_load_b32 v5, v[2:3], off
	s_waitcnt vmcnt(0)
	v_cvt_f32_i32_e32 v5, v5
	s_delay_alu instid0(VALU_DEP_1)
	v_cvt_f16_f32_e32 v5, v5
.LBB167_526:
	s_mov_b32 s2, 0
.LBB167_527:
	s_delay_alu instid0(SALU_CYCLE_1)
	s_and_not1_b32 vcc_lo, exec_lo, s2
	s_cbranch_vccnz .LBB167_529
; %bb.528:
	global_load_u16 v5, v[2:3], off
	s_waitcnt vmcnt(0)
	v_cvt_f16_i16_e32 v5, v5
.LBB167_529:
	s_mov_b32 s2, 0
.LBB167_530:
	s_delay_alu instid0(SALU_CYCLE_1)
	s_and_not1_b32 vcc_lo, exec_lo, s2
	s_cbranch_vccnz .LBB167_536
; %bb.531:
	v_cmp_lt_i16_e32 vcc_lo, 0, v4
	s_mov_b32 s2, 0
	s_cbranch_vccz .LBB167_533
; %bb.532:
	global_load_i8 v4, v[2:3], off
	s_waitcnt vmcnt(0)
	v_cvt_f16_i16_e32 v5, v4
	s_branch .LBB167_534
.LBB167_533:
	s_mov_b32 s2, -1
                                        ; implicit-def: $vgpr5
.LBB167_534:
	s_delay_alu instid0(SALU_CYCLE_1)
	s_and_not1_b32 vcc_lo, exec_lo, s2
	s_cbranch_vccnz .LBB167_536
; %bb.535:
	global_load_u8 v2, v[2:3], off
	s_waitcnt vmcnt(0)
	v_cvt_f16_u16_e32 v5, v2
.LBB167_536:
	s_branch .LBB167_406
.LBB167_537:
	s_mov_b32 s46, 0
	s_mov_b32 s2, s38
	;; [unrolled: 1-line block ×3, first 2 shown]
	s_branch .LBB167_701
.LBB167_538:
	s_or_saveexec_b32 s43, s43
                                        ; implicit-def: $sgpr44
	s_delay_alu instid0(SALU_CYCLE_1)
	s_xor_b32 exec_lo, exec_lo, s43
	s_cbranch_execz .LBB167_72
.LBB167_539:
	v_add_f32_e64 v5, 0x42800000, |v4|
	s_and_not1_b32 s40, s40, exec_lo
	s_mov_b32 s44, 0
	s_delay_alu instid0(VALU_DEP_1) | instskip(NEXT) | instid1(VALU_DEP_1)
	v_and_b32_e32 v5, 0xff, v5
	v_cmp_ne_u32_e32 vcc_lo, 0, v5
	s_and_b32 s45, vcc_lo, exec_lo
	s_delay_alu instid0(SALU_CYCLE_1)
	s_or_b32 s40, s40, s45
	s_or_b32 exec_lo, exec_lo, s43
	v_mov_b32_e32 v6, s44
	s_and_saveexec_b32 s43, s40
	s_cbranch_execnz .LBB167_73
	s_branch .LBB167_74
.LBB167_540:
	s_mov_b32 s42, -1
.LBB167_541:
                                        ; implicit-def: $vgpr3
.LBB167_542:
	s_and_b32 vcc_lo, exec_lo, s43
	s_cbranch_vccz .LBB167_546
; %bb.543:
	v_cmp_eq_u16_e32 vcc_lo, 44, v6
	s_cbranch_vccz .LBB167_545
; %bb.544:
	global_load_u8 v3, v[1:2], off
	s_mov_b32 s42, 0
	s_mov_b32 s2, -1
	s_waitcnt vmcnt(0)
	v_lshlrev_b32_e32 v4, 23, v3
	v_cmp_ne_u32_e32 vcc_lo, 0, v3
	s_delay_alu instid0(VALU_DEP_2) | instskip(NEXT) | instid1(VALU_DEP_1)
	v_trunc_f32_e32 v4, v4
	v_mul_f32_e64 v8, 0x2f800000, |v4|
	s_delay_alu instid0(VALU_DEP_1) | instskip(NEXT) | instid1(VALU_DEP_1)
	v_floor_f32_e32 v8, v8
	v_fma_f32 v8, 0xcf800000, v8, |v4|
	v_ashrrev_i32_e32 v4, 31, v4
	s_delay_alu instid0(VALU_DEP_2) | instskip(NEXT) | instid1(VALU_DEP_1)
	v_cvt_u32_f32_e32 v8, v8
	v_xor_b32_e32 v8, v8, v4
	s_delay_alu instid0(VALU_DEP_1) | instskip(NEXT) | instid1(VALU_DEP_1)
	v_sub_nc_u32_e32 v4, v8, v4
	v_cndmask_b32_e32 v3, 0, v4, vcc_lo
	s_branch .LBB167_546
.LBB167_545:
	s_mov_b32 s42, -1
                                        ; implicit-def: $vgpr3
.LBB167_546:
	s_mov_b32 s43, 0
.LBB167_547:
	s_delay_alu instid0(SALU_CYCLE_1)
	s_and_b32 vcc_lo, exec_lo, s43
	s_cbranch_vccz .LBB167_551
; %bb.548:
	v_cmp_eq_u16_e32 vcc_lo, 29, v6
	s_cbranch_vccz .LBB167_550
; %bb.549:
	global_load_b64 v[3:4], v[1:2], off
	s_mov_b32 s2, -1
	s_mov_b32 s42, 0
	s_branch .LBB167_551
.LBB167_550:
	s_mov_b32 s42, -1
                                        ; implicit-def: $vgpr3
.LBB167_551:
	s_mov_b32 s43, 0
.LBB167_552:
	s_delay_alu instid0(SALU_CYCLE_1)
	s_and_b32 vcc_lo, exec_lo, s43
	s_cbranch_vccz .LBB167_568
; %bb.553:
	v_cmp_gt_i16_e32 vcc_lo, 27, v6
	s_cbranch_vccnz .LBB167_556
; %bb.554:
	v_cmp_lt_i16_e32 vcc_lo, 27, v6
	s_cbranch_vccz .LBB167_557
; %bb.555:
	global_load_b32 v3, v[1:2], off
	s_mov_b32 s2, 0
	s_branch .LBB167_558
.LBB167_556:
	s_mov_b32 s2, -1
                                        ; implicit-def: $vgpr3
	s_branch .LBB167_561
.LBB167_557:
	s_mov_b32 s2, -1
                                        ; implicit-def: $vgpr3
.LBB167_558:
	s_delay_alu instid0(SALU_CYCLE_1)
	s_and_not1_b32 vcc_lo, exec_lo, s2
	s_cbranch_vccnz .LBB167_560
; %bb.559:
	global_load_u16 v3, v[1:2], off
.LBB167_560:
	s_mov_b32 s2, 0
.LBB167_561:
	s_delay_alu instid0(SALU_CYCLE_1)
	s_and_not1_b32 vcc_lo, exec_lo, s2
	s_cbranch_vccnz .LBB167_567
; %bb.562:
	global_load_u8 v4, v[1:2], off
	s_mov_b32 s43, 0
	s_mov_b32 s2, exec_lo
                                        ; implicit-def: $sgpr44
	s_waitcnt vmcnt(0)
	v_cmpx_lt_i16_e32 0x7f, v4
	s_xor_b32 s2, exec_lo, s2
	s_cbranch_execz .LBB167_579
; %bb.563:
	v_cmp_ne_u16_e32 vcc_lo, 0x80, v4
	s_mov_b32 s44, 0
	s_and_b32 s43, vcc_lo, exec_lo
	s_or_saveexec_b32 s2, s2
	v_mov_b32_e32 v3, s44
	s_xor_b32 exec_lo, exec_lo, s2
	s_cbranch_execnz .LBB167_580
.LBB167_564:
	s_or_b32 exec_lo, exec_lo, s2
	s_and_saveexec_b32 s2, s43
	s_cbranch_execz .LBB167_566
.LBB167_565:
	v_and_b32_e32 v3, 0xffff, v4
	v_lshlrev_b32_e32 v4, 24, v4
	s_delay_alu instid0(VALU_DEP_2) | instskip(NEXT) | instid1(VALU_DEP_2)
	v_and_b32_e32 v8, 7, v3
	v_and_b32_e32 v4, 0x80000000, v4
	s_delay_alu instid0(VALU_DEP_2) | instskip(NEXT) | instid1(VALU_DEP_1)
	v_clz_i32_u32_e32 v9, v8
	v_min_u32_e32 v9, 32, v9
	s_delay_alu instid0(VALU_DEP_1) | instskip(SKIP_1) | instid1(VALU_DEP_2)
	v_subrev_nc_u32_e32 v10, 28, v9
	v_sub_nc_u32_e32 v9, 29, v9
	v_lshlrev_b32_e32 v10, v10, v3
	v_bfe_u32 v3, v3, 3, 4
	s_delay_alu instid0(VALU_DEP_2) | instskip(NEXT) | instid1(VALU_DEP_2)
	v_and_b32_e32 v10, 7, v10
	v_cmp_eq_u32_e32 vcc_lo, 0, v3
	s_delay_alu instid0(VALU_DEP_2) | instskip(NEXT) | instid1(VALU_DEP_1)
	v_dual_cndmask_b32 v3, v3, v9 :: v_dual_cndmask_b32 v8, v8, v10
	v_lshl_add_u32 v3, v3, 23, 0x3b800000
	s_delay_alu instid0(VALU_DEP_2) | instskip(NEXT) | instid1(VALU_DEP_1)
	v_lshlrev_b32_e32 v8, 20, v8
	v_or3_b32 v3, v4, v3, v8
	s_delay_alu instid0(VALU_DEP_1) | instskip(NEXT) | instid1(VALU_DEP_1)
	v_trunc_f32_e32 v3, v3
	v_mul_f32_e64 v4, 0x2f800000, |v3|
	s_delay_alu instid0(VALU_DEP_1) | instskip(NEXT) | instid1(VALU_DEP_1)
	v_floor_f32_e32 v4, v4
	v_fma_f32 v4, 0xcf800000, v4, |v3|
	v_ashrrev_i32_e32 v3, 31, v3
	s_delay_alu instid0(VALU_DEP_2) | instskip(NEXT) | instid1(VALU_DEP_1)
	v_cvt_u32_f32_e32 v4, v4
	v_xor_b32_e32 v4, v4, v3
	s_delay_alu instid0(VALU_DEP_1)
	v_sub_nc_u32_e32 v3, v4, v3
.LBB167_566:
	s_or_b32 exec_lo, exec_lo, s2
.LBB167_567:
	s_mov_b32 s2, -1
.LBB167_568:
	s_mov_b32 s43, 0
.LBB167_569:
	s_delay_alu instid0(SALU_CYCLE_1)
	s_and_b32 vcc_lo, exec_lo, s43
	s_cbranch_vccz .LBB167_602
; %bb.570:
	v_cmp_lt_i16_e32 vcc_lo, 22, v6
	s_cbranch_vccz .LBB167_578
; %bb.571:
	v_cmp_gt_i16_e32 vcc_lo, 24, v6
	s_cbranch_vccnz .LBB167_581
; %bb.572:
	v_cmp_lt_i16_e32 vcc_lo, 24, v6
	s_cbranch_vccz .LBB167_582
; %bb.573:
	global_load_u8 v4, v[1:2], off
	s_mov_b32 s43, 0
	s_mov_b32 s2, exec_lo
                                        ; implicit-def: $sgpr44
	s_waitcnt vmcnt(0)
	v_cmpx_lt_i16_e32 0x7f, v4
	s_xor_b32 s2, exec_lo, s2
	s_cbranch_execz .LBB167_594
; %bb.574:
	v_cmp_ne_u16_e32 vcc_lo, 0x80, v4
	s_mov_b32 s44, 0
	s_and_b32 s43, vcc_lo, exec_lo
	s_or_saveexec_b32 s2, s2
	v_mov_b32_e32 v3, s44
	s_xor_b32 exec_lo, exec_lo, s2
	s_cbranch_execnz .LBB167_595
.LBB167_575:
	s_or_b32 exec_lo, exec_lo, s2
	s_and_saveexec_b32 s2, s43
	s_cbranch_execz .LBB167_577
.LBB167_576:
	v_and_b32_e32 v3, 0xffff, v4
	v_lshlrev_b32_e32 v4, 24, v4
	s_delay_alu instid0(VALU_DEP_2) | instskip(NEXT) | instid1(VALU_DEP_2)
	v_and_b32_e32 v8, 3, v3
	v_and_b32_e32 v4, 0x80000000, v4
	s_delay_alu instid0(VALU_DEP_2) | instskip(NEXT) | instid1(VALU_DEP_1)
	v_clz_i32_u32_e32 v9, v8
	v_min_u32_e32 v9, 32, v9
	s_delay_alu instid0(VALU_DEP_1) | instskip(SKIP_1) | instid1(VALU_DEP_2)
	v_subrev_nc_u32_e32 v10, 29, v9
	v_sub_nc_u32_e32 v9, 30, v9
	v_lshlrev_b32_e32 v10, v10, v3
	v_bfe_u32 v3, v3, 2, 5
	s_delay_alu instid0(VALU_DEP_2) | instskip(NEXT) | instid1(VALU_DEP_2)
	v_and_b32_e32 v10, 3, v10
	v_cmp_eq_u32_e32 vcc_lo, 0, v3
	s_delay_alu instid0(VALU_DEP_2) | instskip(NEXT) | instid1(VALU_DEP_1)
	v_dual_cndmask_b32 v3, v3, v9 :: v_dual_cndmask_b32 v8, v8, v10
	v_lshl_add_u32 v3, v3, 23, 0x37800000
	s_delay_alu instid0(VALU_DEP_2) | instskip(NEXT) | instid1(VALU_DEP_1)
	v_lshlrev_b32_e32 v8, 21, v8
	v_or3_b32 v3, v4, v3, v8
	s_delay_alu instid0(VALU_DEP_1) | instskip(NEXT) | instid1(VALU_DEP_1)
	v_trunc_f32_e32 v3, v3
	v_mul_f32_e64 v4, 0x2f800000, |v3|
	s_delay_alu instid0(VALU_DEP_1) | instskip(NEXT) | instid1(VALU_DEP_1)
	v_floor_f32_e32 v4, v4
	v_fma_f32 v4, 0xcf800000, v4, |v3|
	v_ashrrev_i32_e32 v3, 31, v3
	s_delay_alu instid0(VALU_DEP_2) | instskip(NEXT) | instid1(VALU_DEP_1)
	v_cvt_u32_f32_e32 v4, v4
	v_xor_b32_e32 v4, v4, v3
	s_delay_alu instid0(VALU_DEP_1)
	v_sub_nc_u32_e32 v3, v4, v3
.LBB167_577:
	s_or_b32 exec_lo, exec_lo, s2
	s_mov_b32 s2, 0
	s_branch .LBB167_583
.LBB167_578:
	s_mov_b32 s43, -1
                                        ; implicit-def: $vgpr3
	s_branch .LBB167_589
.LBB167_579:
	s_or_saveexec_b32 s2, s2
	v_mov_b32_e32 v3, s44
	s_xor_b32 exec_lo, exec_lo, s2
	s_cbranch_execz .LBB167_564
.LBB167_580:
	v_cmp_ne_u16_e32 vcc_lo, 0, v4
	v_mov_b32_e32 v3, 0
	s_and_not1_b32 s43, s43, exec_lo
	s_and_b32 s44, vcc_lo, exec_lo
	s_delay_alu instid0(SALU_CYCLE_1)
	s_or_b32 s43, s43, s44
	s_or_b32 exec_lo, exec_lo, s2
	s_and_saveexec_b32 s2, s43
	s_cbranch_execnz .LBB167_565
	s_branch .LBB167_566
.LBB167_581:
	s_mov_b32 s2, -1
                                        ; implicit-def: $vgpr3
	s_branch .LBB167_586
.LBB167_582:
	s_mov_b32 s2, -1
                                        ; implicit-def: $vgpr3
.LBB167_583:
	s_delay_alu instid0(SALU_CYCLE_1)
	s_and_b32 vcc_lo, exec_lo, s2
	s_cbranch_vccz .LBB167_585
; %bb.584:
	global_load_u8 v3, v[1:2], off
	s_waitcnt vmcnt(0)
	v_lshlrev_b32_e32 v3, 24, v3
	s_delay_alu instid0(VALU_DEP_1) | instskip(NEXT) | instid1(VALU_DEP_1)
	v_and_b32_e32 v4, 0x7f000000, v3
	v_clz_i32_u32_e32 v8, v4
	v_add_nc_u32_e32 v10, 0x1000000, v4
	v_cmp_ne_u32_e32 vcc_lo, 0, v4
	s_delay_alu instid0(VALU_DEP_3) | instskip(NEXT) | instid1(VALU_DEP_1)
	v_min_u32_e32 v8, 32, v8
	v_sub_nc_u32_e64 v8, v8, 4 clamp
	s_delay_alu instid0(VALU_DEP_1) | instskip(SKIP_1) | instid1(VALU_DEP_2)
	v_lshlrev_b32_e32 v9, v8, v4
	v_lshlrev_b32_e32 v8, 23, v8
	v_lshrrev_b32_e32 v9, 4, v9
	s_delay_alu instid0(VALU_DEP_1) | instskip(SKIP_1) | instid1(VALU_DEP_2)
	v_sub_nc_u32_e32 v8, v9, v8
	v_ashrrev_i32_e32 v9, 8, v10
	v_add_nc_u32_e32 v8, 0x3c000000, v8
	s_delay_alu instid0(VALU_DEP_1) | instskip(NEXT) | instid1(VALU_DEP_1)
	v_and_or_b32 v8, 0x7f800000, v9, v8
	v_cndmask_b32_e32 v4, 0, v8, vcc_lo
	s_delay_alu instid0(VALU_DEP_1) | instskip(NEXT) | instid1(VALU_DEP_1)
	v_and_or_b32 v3, 0x80000000, v3, v4
	v_trunc_f32_e32 v3, v3
	s_delay_alu instid0(VALU_DEP_1) | instskip(NEXT) | instid1(VALU_DEP_1)
	v_mul_f32_e64 v4, 0x2f800000, |v3|
	v_floor_f32_e32 v4, v4
	s_delay_alu instid0(VALU_DEP_1) | instskip(SKIP_1) | instid1(VALU_DEP_2)
	v_fma_f32 v4, 0xcf800000, v4, |v3|
	v_ashrrev_i32_e32 v3, 31, v3
	v_cvt_u32_f32_e32 v4, v4
	s_delay_alu instid0(VALU_DEP_1) | instskip(NEXT) | instid1(VALU_DEP_1)
	v_xor_b32_e32 v4, v4, v3
	v_sub_nc_u32_e32 v3, v4, v3
.LBB167_585:
	s_mov_b32 s2, 0
.LBB167_586:
	s_delay_alu instid0(SALU_CYCLE_1)
	s_and_not1_b32 vcc_lo, exec_lo, s2
	s_cbranch_vccnz .LBB167_588
; %bb.587:
	global_load_u8 v3, v[1:2], off
	s_waitcnt vmcnt(0)
	v_lshlrev_b32_e32 v4, 25, v3
	v_lshlrev_b16 v3, 8, v3
	s_delay_alu instid0(VALU_DEP_1) | instskip(SKIP_1) | instid1(VALU_DEP_2)
	v_and_or_b32 v9, 0x7f00, v3, 0.5
	v_bfe_i32 v3, v3, 0, 16
	v_add_f32_e32 v9, -0.5, v9
	v_lshrrev_b32_e32 v8, 4, v4
	v_cmp_gt_u32_e32 vcc_lo, 0x8000000, v4
	s_delay_alu instid0(VALU_DEP_2) | instskip(NEXT) | instid1(VALU_DEP_1)
	v_or_b32_e32 v8, 0x70000000, v8
	v_mul_f32_e32 v8, 0x7800000, v8
	s_delay_alu instid0(VALU_DEP_1) | instskip(NEXT) | instid1(VALU_DEP_1)
	v_cndmask_b32_e32 v4, v8, v9, vcc_lo
	v_and_or_b32 v3, 0x80000000, v3, v4
	s_delay_alu instid0(VALU_DEP_1) | instskip(NEXT) | instid1(VALU_DEP_1)
	v_trunc_f32_e32 v3, v3
	v_mul_f32_e64 v4, 0x2f800000, |v3|
	s_delay_alu instid0(VALU_DEP_1) | instskip(NEXT) | instid1(VALU_DEP_1)
	v_floor_f32_e32 v4, v4
	v_fma_f32 v4, 0xcf800000, v4, |v3|
	v_ashrrev_i32_e32 v3, 31, v3
	s_delay_alu instid0(VALU_DEP_2) | instskip(NEXT) | instid1(VALU_DEP_1)
	v_cvt_u32_f32_e32 v4, v4
	v_xor_b32_e32 v4, v4, v3
	s_delay_alu instid0(VALU_DEP_1)
	v_sub_nc_u32_e32 v3, v4, v3
.LBB167_588:
	s_mov_b32 s43, 0
	s_mov_b32 s2, -1
.LBB167_589:
	s_and_not1_b32 vcc_lo, exec_lo, s43
	s_cbranch_vccnz .LBB167_602
; %bb.590:
	v_cmp_lt_i16_e32 vcc_lo, 14, v6
	s_cbranch_vccz .LBB167_593
; %bb.591:
	v_cmp_eq_u16_e32 vcc_lo, 15, v6
	s_cbranch_vccz .LBB167_596
; %bb.592:
	global_load_u16 v3, v[1:2], off
	s_mov_b32 s2, -1
	s_mov_b32 s42, 0
	s_waitcnt vmcnt(0)
	v_lshlrev_b32_e32 v3, 16, v3
	s_delay_alu instid0(VALU_DEP_1) | instskip(NEXT) | instid1(VALU_DEP_1)
	v_trunc_f32_e32 v3, v3
	v_mul_f32_e64 v4, 0x2f800000, |v3|
	s_delay_alu instid0(VALU_DEP_1) | instskip(NEXT) | instid1(VALU_DEP_1)
	v_floor_f32_e32 v4, v4
	v_fma_f32 v4, 0xcf800000, v4, |v3|
	v_ashrrev_i32_e32 v3, 31, v3
	s_delay_alu instid0(VALU_DEP_2) | instskip(NEXT) | instid1(VALU_DEP_1)
	v_cvt_u32_f32_e32 v4, v4
	v_xor_b32_e32 v4, v4, v3
	s_delay_alu instid0(VALU_DEP_1)
	v_sub_nc_u32_e32 v3, v4, v3
	s_branch .LBB167_597
.LBB167_593:
	s_mov_b32 s43, -1
                                        ; implicit-def: $vgpr3
	s_branch .LBB167_598
.LBB167_594:
	s_or_saveexec_b32 s2, s2
	v_mov_b32_e32 v3, s44
	s_xor_b32 exec_lo, exec_lo, s2
	s_cbranch_execz .LBB167_575
.LBB167_595:
	v_cmp_ne_u16_e32 vcc_lo, 0, v4
	v_mov_b32_e32 v3, 0
	s_and_not1_b32 s43, s43, exec_lo
	s_and_b32 s44, vcc_lo, exec_lo
	s_delay_alu instid0(SALU_CYCLE_1)
	s_or_b32 s43, s43, s44
	s_or_b32 exec_lo, exec_lo, s2
	s_and_saveexec_b32 s2, s43
	s_cbranch_execnz .LBB167_576
	s_branch .LBB167_577
.LBB167_596:
	s_mov_b32 s42, -1
                                        ; implicit-def: $vgpr3
.LBB167_597:
	s_mov_b32 s43, 0
.LBB167_598:
	s_delay_alu instid0(SALU_CYCLE_1)
	s_and_b32 vcc_lo, exec_lo, s43
	s_cbranch_vccz .LBB167_602
; %bb.599:
	v_cmp_eq_u16_e32 vcc_lo, 11, v6
	s_cbranch_vccz .LBB167_601
; %bb.600:
	global_load_u8 v3, v[1:2], off
	s_mov_b32 s42, 0
	s_mov_b32 s2, -1
	s_waitcnt vmcnt(0)
	v_cmp_ne_u16_e32 vcc_lo, 0, v3
	v_cndmask_b32_e64 v3, 0, 1, vcc_lo
	s_branch .LBB167_602
.LBB167_601:
	s_mov_b32 s42, -1
                                        ; implicit-def: $vgpr3
.LBB167_602:
	s_mov_b32 s43, 0
.LBB167_603:
	s_delay_alu instid0(SALU_CYCLE_1)
	s_and_b32 vcc_lo, exec_lo, s43
	s_cbranch_vccz .LBB167_652
; %bb.604:
	v_cmp_gt_i16_e32 vcc_lo, 5, v6
	s_cbranch_vccnz .LBB167_609
; %bb.605:
	v_cmp_gt_i16_e32 vcc_lo, 8, v6
	s_cbranch_vccnz .LBB167_610
	;; [unrolled: 3-line block ×3, first 2 shown]
; %bb.607:
	v_cmp_lt_i16_e32 vcc_lo, 9, v6
	s_cbranch_vccz .LBB167_612
; %bb.608:
	global_load_b64 v[3:4], v[1:2], off
	s_mov_b32 s2, 0
	s_waitcnt vmcnt(0)
	v_trunc_f64_e32 v[3:4], v[3:4]
	s_delay_alu instid0(VALU_DEP_1) | instskip(NEXT) | instid1(VALU_DEP_1)
	v_ldexp_f64 v[8:9], v[3:4], 0xffffffe0
	v_floor_f64_e32 v[8:9], v[8:9]
	s_delay_alu instid0(VALU_DEP_1) | instskip(NEXT) | instid1(VALU_DEP_1)
	v_fma_f64 v[3:4], 0xc1f00000, v[8:9], v[3:4]
	v_cvt_u32_f64_e32 v3, v[3:4]
	s_branch .LBB167_613
.LBB167_609:
	s_mov_b32 s2, -1
                                        ; implicit-def: $vgpr3
	s_branch .LBB167_631
.LBB167_610:
	s_mov_b32 s2, -1
                                        ; implicit-def: $vgpr3
	s_branch .LBB167_619
.LBB167_611:
	s_mov_b32 s2, -1
                                        ; implicit-def: $vgpr3
	s_branch .LBB167_616
.LBB167_612:
	s_mov_b32 s2, -1
                                        ; implicit-def: $vgpr3
.LBB167_613:
	s_delay_alu instid0(SALU_CYCLE_1)
	s_and_not1_b32 vcc_lo, exec_lo, s2
	s_cbranch_vccnz .LBB167_615
; %bb.614:
	global_load_b32 v3, v[1:2], off
	s_waitcnt vmcnt(0)
	v_trunc_f32_e32 v3, v3
	s_delay_alu instid0(VALU_DEP_1) | instskip(NEXT) | instid1(VALU_DEP_1)
	v_mul_f32_e64 v4, 0x2f800000, |v3|
	v_floor_f32_e32 v4, v4
	s_delay_alu instid0(VALU_DEP_1) | instskip(SKIP_1) | instid1(VALU_DEP_2)
	v_fma_f32 v4, 0xcf800000, v4, |v3|
	v_ashrrev_i32_e32 v3, 31, v3
	v_cvt_u32_f32_e32 v4, v4
	s_delay_alu instid0(VALU_DEP_1) | instskip(NEXT) | instid1(VALU_DEP_1)
	v_xor_b32_e32 v4, v4, v3
	v_sub_nc_u32_e32 v3, v4, v3
.LBB167_615:
	s_mov_b32 s2, 0
.LBB167_616:
	s_delay_alu instid0(SALU_CYCLE_1)
	s_and_not1_b32 vcc_lo, exec_lo, s2
	s_cbranch_vccnz .LBB167_618
; %bb.617:
	global_load_b32 v3, v[1:2], off
	s_waitcnt vmcnt(0)
	v_cvt_f32_f16_e32 v3, v3
	s_delay_alu instid0(VALU_DEP_1)
	v_cvt_i32_f32_e32 v3, v3
.LBB167_618:
	s_mov_b32 s2, 0
.LBB167_619:
	s_delay_alu instid0(SALU_CYCLE_1)
	s_and_not1_b32 vcc_lo, exec_lo, s2
	s_cbranch_vccnz .LBB167_630
; %bb.620:
	v_cmp_gt_i16_e32 vcc_lo, 6, v6
	s_cbranch_vccnz .LBB167_623
; %bb.621:
	v_cmp_lt_i16_e32 vcc_lo, 6, v6
	s_cbranch_vccz .LBB167_624
; %bb.622:
	global_load_b64 v[3:4], v[1:2], off
	s_mov_b32 s2, 0
	s_waitcnt vmcnt(0)
	v_trunc_f64_e32 v[3:4], v[3:4]
	s_delay_alu instid0(VALU_DEP_1) | instskip(NEXT) | instid1(VALU_DEP_1)
	v_ldexp_f64 v[8:9], v[3:4], 0xffffffe0
	v_floor_f64_e32 v[8:9], v[8:9]
	s_delay_alu instid0(VALU_DEP_1) | instskip(NEXT) | instid1(VALU_DEP_1)
	v_fma_f64 v[3:4], 0xc1f00000, v[8:9], v[3:4]
	v_cvt_u32_f64_e32 v3, v[3:4]
	s_branch .LBB167_625
.LBB167_623:
	s_mov_b32 s2, -1
                                        ; implicit-def: $vgpr3
	s_branch .LBB167_628
.LBB167_624:
	s_mov_b32 s2, -1
                                        ; implicit-def: $vgpr3
.LBB167_625:
	s_delay_alu instid0(SALU_CYCLE_1)
	s_and_not1_b32 vcc_lo, exec_lo, s2
	s_cbranch_vccnz .LBB167_627
; %bb.626:
	global_load_b32 v3, v[1:2], off
	s_waitcnt vmcnt(0)
	v_trunc_f32_e32 v3, v3
	s_delay_alu instid0(VALU_DEP_1) | instskip(NEXT) | instid1(VALU_DEP_1)
	v_mul_f32_e64 v4, 0x2f800000, |v3|
	v_floor_f32_e32 v4, v4
	s_delay_alu instid0(VALU_DEP_1) | instskip(SKIP_1) | instid1(VALU_DEP_2)
	v_fma_f32 v4, 0xcf800000, v4, |v3|
	v_ashrrev_i32_e32 v3, 31, v3
	v_cvt_u32_f32_e32 v4, v4
	s_delay_alu instid0(VALU_DEP_1) | instskip(NEXT) | instid1(VALU_DEP_1)
	v_xor_b32_e32 v4, v4, v3
	v_sub_nc_u32_e32 v3, v4, v3
.LBB167_627:
	s_mov_b32 s2, 0
.LBB167_628:
	s_delay_alu instid0(SALU_CYCLE_1)
	s_and_not1_b32 vcc_lo, exec_lo, s2
	s_cbranch_vccnz .LBB167_630
; %bb.629:
	global_load_u16 v3, v[1:2], off
	s_waitcnt vmcnt(0)
	v_cvt_f32_f16_e32 v3, v3
	s_delay_alu instid0(VALU_DEP_1)
	v_cvt_i32_f32_e32 v3, v3
.LBB167_630:
	s_mov_b32 s2, 0
.LBB167_631:
	s_delay_alu instid0(SALU_CYCLE_1)
	s_and_not1_b32 vcc_lo, exec_lo, s2
	s_cbranch_vccnz .LBB167_651
; %bb.632:
	v_cmp_gt_i16_e32 vcc_lo, 2, v6
	s_cbranch_vccnz .LBB167_636
; %bb.633:
	v_cmp_gt_i16_e32 vcc_lo, 3, v6
	s_cbranch_vccnz .LBB167_637
; %bb.634:
	v_cmp_lt_i16_e32 vcc_lo, 3, v6
	s_cbranch_vccz .LBB167_638
; %bb.635:
	global_load_b64 v[3:4], v[1:2], off
	s_mov_b32 s2, 0
	s_branch .LBB167_639
.LBB167_636:
	s_mov_b32 s2, -1
                                        ; implicit-def: $vgpr3
	s_branch .LBB167_645
.LBB167_637:
	s_mov_b32 s2, -1
                                        ; implicit-def: $vgpr3
	s_branch .LBB167_642
.LBB167_638:
	s_mov_b32 s2, -1
                                        ; implicit-def: $vgpr3
.LBB167_639:
	s_delay_alu instid0(SALU_CYCLE_1)
	s_and_not1_b32 vcc_lo, exec_lo, s2
	s_cbranch_vccnz .LBB167_641
; %bb.640:
	global_load_b32 v3, v[1:2], off
.LBB167_641:
	s_mov_b32 s2, 0
.LBB167_642:
	s_delay_alu instid0(SALU_CYCLE_1)
	s_and_not1_b32 vcc_lo, exec_lo, s2
	s_cbranch_vccnz .LBB167_644
; %bb.643:
	global_load_u16 v3, v[1:2], off
.LBB167_644:
	s_mov_b32 s2, 0
.LBB167_645:
	s_delay_alu instid0(SALU_CYCLE_1)
	s_and_not1_b32 vcc_lo, exec_lo, s2
	s_cbranch_vccnz .LBB167_651
; %bb.646:
	v_cmp_lt_i16_e32 vcc_lo, 0, v6
	s_mov_b32 s2, 0
	s_cbranch_vccz .LBB167_648
; %bb.647:
	global_load_u8 v3, v[1:2], off
	s_branch .LBB167_649
.LBB167_648:
	s_mov_b32 s2, -1
                                        ; implicit-def: $vgpr3
.LBB167_649:
	s_delay_alu instid0(SALU_CYCLE_1)
	s_and_not1_b32 vcc_lo, exec_lo, s2
	s_cbranch_vccnz .LBB167_651
; %bb.650:
	global_load_u8 v3, v[1:2], off
.LBB167_651:
	s_mov_b32 s2, -1
.LBB167_652:
	s_delay_alu instid0(SALU_CYCLE_1)
	s_and_not1_b32 vcc_lo, exec_lo, s2
	s_cbranch_vccnz .LBB167_660
; %bb.653:
	s_waitcnt vmcnt(0)
	s_delay_alu instid0(VALU_DEP_1) | instskip(SKIP_4) | instid1(VALU_DEP_3)
	v_cvt_f32_ubyte0_e32 v1, v3
	v_cvt_f32_f16_e32 v2, v5
	v_and_b32_e64 v3, 0xff, s11
	v_add_co_u32 v0, s2, s4, v0
	s_mov_b32 s43, 0
	v_mul_f32_e32 v2, v2, v1
	s_delay_alu instid0(VALU_DEP_3) | instskip(SKIP_2) | instid1(VALU_DEP_3)
	v_cmp_gt_i16_e32 vcc_lo, 11, v3
	v_add_co_ci_u32_e64 v1, null, s5, 0, s2
	s_mov_b32 s44, -1
	v_fma_mixlo_f16 v2, s10, v2, 0
	s_mov_b32 s2, s38
	s_cbranch_vccnz .LBB167_661
; %bb.654:
	v_cmp_lt_i16_e32 vcc_lo, 25, v3
	s_cbranch_vccz .LBB167_724
; %bb.655:
	v_cmp_lt_i16_e32 vcc_lo, 28, v3
	s_cbranch_vccz .LBB167_726
	;; [unrolled: 3-line block ×4, first 2 shown]
; %bb.658:
	v_cmp_eq_u16_e32 vcc_lo, 46, v3
	s_mov_b32 s44, 0
	s_mov_b32 s2, -1
	s_cbranch_vccz .LBB167_731
; %bb.659:
	v_cvt_f32_f16_e32 v4, v2
	v_cmp_o_f16_e32 vcc_lo, v2, v2
	s_mov_b32 s43, -1
	s_mov_b32 s2, 0
	s_delay_alu instid0(VALU_DEP_2) | instskip(NEXT) | instid1(VALU_DEP_1)
	v_bfe_u32 v5, v4, 16, 1
	v_add3_u32 v4, v4, v5, 0x7fff
	s_delay_alu instid0(VALU_DEP_1) | instskip(NEXT) | instid1(VALU_DEP_1)
	v_lshrrev_b32_e32 v4, 16, v4
	v_cndmask_b32_e32 v4, 0x7fc0, v4, vcc_lo
	global_store_b32 v[0:1], v4, off
	s_branch .LBB167_731
.LBB167_660:
	s_mov_b32 s46, 0
	s_mov_b32 s2, s38
	s_branch .LBB167_701
.LBB167_661:
	s_and_b32 vcc_lo, exec_lo, s44
	s_cbranch_vccz .LBB167_800
; %bb.662:
	v_cmp_gt_i16_e32 vcc_lo, 5, v3
	s_mov_b32 s43, -1
	s_cbranch_vccnz .LBB167_683
; %bb.663:
	v_cmp_gt_i16_e32 vcc_lo, 8, v3
	s_cbranch_vccnz .LBB167_673
; %bb.664:
	v_cmp_gt_i16_e32 vcc_lo, 9, v3
	s_cbranch_vccnz .LBB167_670
; %bb.665:
	v_cmp_lt_i16_e32 vcc_lo, 9, v3
	s_cbranch_vccz .LBB167_667
; %bb.666:
	v_cvt_f32_f16_e32 v4, v2
	v_mov_b32_e32 v10, 0
	s_mov_b32 s43, 0
	s_delay_alu instid0(VALU_DEP_2) | instskip(NEXT) | instid1(VALU_DEP_2)
	v_cvt_f64_f32_e32 v[8:9], v4
	v_mov_b32_e32 v11, v10
	global_store_b128 v[0:1], v[8:11], off
.LBB167_667:
	s_and_not1_b32 vcc_lo, exec_lo, s43
	s_cbranch_vccnz .LBB167_669
; %bb.668:
	v_cvt_f32_f16_e32 v4, v2
	v_mov_b32_e32 v5, 0
	global_store_b64 v[0:1], v[4:5], off
.LBB167_669:
	s_mov_b32 s43, 0
.LBB167_670:
	s_delay_alu instid0(SALU_CYCLE_1)
	s_and_not1_b32 vcc_lo, exec_lo, s43
	s_cbranch_vccnz .LBB167_672
; %bb.671:
	v_and_b32_e32 v4, 0xffff, v2
	global_store_b32 v[0:1], v4, off
.LBB167_672:
	s_mov_b32 s43, 0
.LBB167_673:
	s_delay_alu instid0(SALU_CYCLE_1)
	s_and_not1_b32 vcc_lo, exec_lo, s43
	s_cbranch_vccnz .LBB167_682
; %bb.674:
	v_cmp_gt_i16_e32 vcc_lo, 6, v3
	s_mov_b32 s43, -1
	s_cbranch_vccnz .LBB167_680
; %bb.675:
	v_cmp_lt_i16_e32 vcc_lo, 6, v3
	s_cbranch_vccz .LBB167_677
; %bb.676:
	v_cvt_f32_f16_e32 v4, v2
	s_mov_b32 s43, 0
	s_delay_alu instid0(VALU_DEP_1)
	v_cvt_f64_f32_e32 v[4:5], v4
	global_store_b64 v[0:1], v[4:5], off
.LBB167_677:
	s_and_not1_b32 vcc_lo, exec_lo, s43
	s_cbranch_vccnz .LBB167_679
; %bb.678:
	v_cvt_f32_f16_e32 v4, v2
	global_store_b32 v[0:1], v4, off
.LBB167_679:
	s_mov_b32 s43, 0
.LBB167_680:
	s_delay_alu instid0(SALU_CYCLE_1)
	s_and_not1_b32 vcc_lo, exec_lo, s43
	s_cbranch_vccnz .LBB167_682
; %bb.681:
	global_store_b16 v[0:1], v2, off
.LBB167_682:
	s_mov_b32 s43, 0
.LBB167_683:
	s_delay_alu instid0(SALU_CYCLE_1)
	s_and_not1_b32 vcc_lo, exec_lo, s43
	s_cbranch_vccnz .LBB167_699
; %bb.684:
	v_cmp_gt_i16_e32 vcc_lo, 2, v3
	s_mov_b32 s43, -1
	s_cbranch_vccnz .LBB167_694
; %bb.685:
	v_cmp_gt_i16_e32 vcc_lo, 3, v3
	s_cbranch_vccnz .LBB167_691
; %bb.686:
	v_cmp_lt_i16_e32 vcc_lo, 3, v3
	s_cbranch_vccz .LBB167_688
; %bb.687:
	v_cvt_f32_f16_e32 v4, v2
	s_mov_b32 s43, 0
	s_delay_alu instid0(VALU_DEP_1) | instskip(NEXT) | instid1(VALU_DEP_1)
	v_cvt_i32_f32_e32 v4, v4
	v_ashrrev_i32_e32 v5, 31, v4
	global_store_b64 v[0:1], v[4:5], off
.LBB167_688:
	s_and_not1_b32 vcc_lo, exec_lo, s43
	s_cbranch_vccnz .LBB167_690
; %bb.689:
	v_cvt_f32_f16_e32 v4, v2
	s_delay_alu instid0(VALU_DEP_1)
	v_cvt_i32_f32_e32 v4, v4
	global_store_b32 v[0:1], v4, off
.LBB167_690:
	s_mov_b32 s43, 0
.LBB167_691:
	s_delay_alu instid0(SALU_CYCLE_1)
	s_and_not1_b32 vcc_lo, exec_lo, s43
	s_cbranch_vccnz .LBB167_693
; %bb.692:
	v_cvt_i16_f16_e32 v4, v2
	global_store_b16 v[0:1], v4, off
.LBB167_693:
	s_mov_b32 s43, 0
.LBB167_694:
	s_delay_alu instid0(SALU_CYCLE_1)
	s_and_not1_b32 vcc_lo, exec_lo, s43
	s_cbranch_vccnz .LBB167_699
; %bb.695:
	v_cmp_lt_i16_e32 vcc_lo, 0, v3
	s_mov_b32 s43, -1
	s_cbranch_vccz .LBB167_697
; %bb.696:
	v_cvt_i16_f16_e32 v3, v2
	s_mov_b32 s43, 0
	global_store_b8 v[0:1], v3, off
.LBB167_697:
	s_and_not1_b32 vcc_lo, exec_lo, s43
	s_cbranch_vccnz .LBB167_699
; %bb.698:
	v_cvt_f32_f16_e32 v2, v2
	s_delay_alu instid0(VALU_DEP_1)
	v_cvt_i32_f32_e32 v2, v2
	global_store_b8 v[0:1], v2, off
.LBB167_699:
	s_branch .LBB167_801
.LBB167_700:
	s_mov_b32 s46, 0
.LBB167_701:
                                        ; implicit-def: $vgpr7
.LBB167_702:
	s_and_not1_b32 s43, s38, exec_lo
	s_and_b32 s2, s2, exec_lo
	s_and_b32 s42, s42, exec_lo
	s_or_b32 s43, s43, s2
	s_and_not1_b32 s2, s39, exec_lo
	s_and_not1_b32 s47, s40, exec_lo
	s_and_b32 s3, s3, exec_lo
	s_or_b32 s44, s2, s42
	s_or_b32 s42, s47, s3
	s_or_not1_b32 s47, s46, exec_lo
.LBB167_703:
	s_or_b32 exec_lo, exec_lo, s45
	s_mov_b32 s2, 0
	s_mov_b32 s3, 0
	;; [unrolled: 1-line block ×3, first 2 shown]
                                        ; implicit-def: $vgpr4
                                        ; implicit-def: $vgpr2_vgpr3
                                        ; implicit-def: $vgpr0
                                        ; implicit-def: $vgpr1
                                        ; implicit-def: $vgpr6
	s_and_saveexec_b32 s45, s47
	s_cbranch_execz .LBB167_1268
; %bb.704:
	s_mov_b32 s51, -1
	s_mov_b32 s47, s42
	s_mov_b32 s49, s44
	s_mov_b32 s48, s43
	s_mov_b32 s46, exec_lo
	v_cmpx_gt_i32_e64 s36, v7
	s_cbranch_execz .LBB167_1099
; %bb.705:
	s_and_not1_b32 vcc_lo, exec_lo, s29
	s_cbranch_vccnz .LBB167_711
; %bb.706:
	v_dual_mov_b32 v0, 0 :: v_dual_mov_b32 v1, 0
	v_mov_b32_e32 v2, 0
	s_and_not1_b32 vcc_lo, exec_lo, s37
	s_mov_b32 s47, 0
	s_cbranch_vccnz .LBB167_712
; %bb.707:
	s_add_i32 s2, s35, 1
	v_dual_mov_b32 v1, 0 :: v_dual_mov_b32 v2, 0
	s_waitcnt vmcnt(0)
	v_dual_mov_b32 v0, 0 :: v_dual_mov_b32 v3, v7
	s_and_b32 s48, s2, 30
	s_add_u32 s2, s20, 0xffffffec
	s_addc_u32 s3, s21, -1
	s_set_inst_prefetch_distance 0x1
	.p2align	6
.LBB167_708:                            ; =>This Inner Loop Header: Depth=1
	s_clause 0x2
	s_load_b128 s[52:55], s[2:3], 0x18
	s_load_b64 s[50:51], s[2:3], 0x28
	s_load_b128 s[56:59], s[2:3], 0xd8
	s_waitcnt lgkmcnt(0)
	v_mul_hi_u32 v4, s53, v3
	s_delay_alu instid0(VALU_DEP_1) | instskip(NEXT) | instid1(VALU_DEP_1)
	v_add_nc_u32_e32 v4, v3, v4
	v_lshrrev_b32_e32 v4, s54, v4
	s_delay_alu instid0(VALU_DEP_1)
	v_mul_hi_u32 v5, s50, v4
	v_mul_lo_u32 v6, v4, s52
	s_load_b64 s[52:53], s[2:3], 0xe8
	s_add_u32 s2, s2, 24
	s_addc_u32 s3, s3, 0
	s_add_i32 s48, s48, -2
	s_delay_alu instid0(SALU_CYCLE_1) | instskip(NEXT) | instid1(VALU_DEP_2)
	s_cmp_eq_u32 s48, 0
	v_add_nc_u32_e32 v5, v4, v5
	s_delay_alu instid0(VALU_DEP_2) | instskip(NEXT) | instid1(VALU_DEP_2)
	v_sub_nc_u32_e32 v6, v3, v6
	v_lshrrev_b32_e32 v3, s51, v5
	s_delay_alu instid0(VALU_DEP_2) | instskip(NEXT) | instid1(VALU_DEP_2)
	v_mul_lo_u32 v8, v6, s56
	v_mul_lo_u32 v5, v3, s55
	s_delay_alu instid0(VALU_DEP_1) | instskip(SKIP_2) | instid1(VALU_DEP_3)
	v_sub_nc_u32_e32 v4, v4, v5
	v_mul_lo_u32 v5, v6, s57
	v_mul_lo_u32 v6, v6, s58
	;; [unrolled: 1-line block ×3, first 2 shown]
	s_waitcnt lgkmcnt(0)
	v_mul_lo_u32 v10, v4, s52
	v_mul_lo_u32 v4, v4, s53
	s_delay_alu instid0(VALU_DEP_3) | instskip(NEXT) | instid1(VALU_DEP_3)
	v_add3_u32 v0, v8, v0, v9
	v_add3_u32 v2, v5, v2, v10
	s_delay_alu instid0(VALU_DEP_3)
	v_add3_u32 v1, v6, v1, v4
	s_cbranch_scc0 .LBB167_708
; %bb.709:
	s_set_inst_prefetch_distance 0x2
	s_bitcmp1_b32 s35, 0
	s_cselect_b32 s48, -1, 0
	s_delay_alu instid0(SALU_CYCLE_1)
	s_and_b32 vcc_lo, exec_lo, s48
	s_cbranch_vccnz .LBB167_712
; %bb.710:
	s_clause 0x3
	s_load_b64 s[48:49], s[2:3], 0x18
	s_load_b32 s52, s[2:3], 0x20
	s_load_b64 s[50:51], s[2:3], 0xd8
	s_load_b32 s2, s[2:3], 0xe0
	s_waitcnt lgkmcnt(0)
	v_mul_hi_u32 v4, s49, v3
	s_delay_alu instid0(VALU_DEP_1) | instskip(NEXT) | instid1(VALU_DEP_1)
	v_add_nc_u32_e32 v4, v3, v4
	v_lshrrev_b32_e32 v4, s52, v4
	s_delay_alu instid0(VALU_DEP_1) | instskip(NEXT) | instid1(VALU_DEP_1)
	v_mul_lo_u32 v4, v4, s48
	v_sub_nc_u32_e32 v8, v3, v4
	s_delay_alu instid0(VALU_DEP_1) | instskip(NEXT) | instid1(VALU_DEP_1)
	v_mad_u64_u32 v[3:4], null, v8, s50, v[0:1]
	v_mad_u64_u32 v[4:5], null, v8, s51, v[2:3]
	;; [unrolled: 1-line block ×3, first 2 shown]
	v_mov_b32_e32 v0, v3
	s_delay_alu instid0(VALU_DEP_2)
	v_dual_mov_b32 v2, v4 :: v_dual_mov_b32 v1, v5
	s_branch .LBB167_712
.LBB167_711:
	s_mov_b32 s47, -1
                                        ; implicit-def: $vgpr0
                                        ; implicit-def: $vgpr2
                                        ; implicit-def: $vgpr1
.LBB167_712:
	s_delay_alu instid0(SALU_CYCLE_1)
	s_and_not1_b32 vcc_lo, exec_lo, s47
	s_cbranch_vccnz .LBB167_715
; %bb.713:
	v_mul_hi_u32 v0, s17, v7
	s_and_not1_b32 vcc_lo, exec_lo, s34
	s_delay_alu instid0(VALU_DEP_1) | instskip(SKIP_1) | instid1(VALU_DEP_1)
	v_add_nc_u32_e32 v0, v7, v0
	s_waitcnt vmcnt(0)
	v_lshrrev_b32_e32 v3, s18, v0
	s_delay_alu instid0(VALU_DEP_1) | instskip(NEXT) | instid1(VALU_DEP_1)
	v_mul_lo_u32 v0, v3, s16
	v_sub_nc_u32_e32 v1, v7, v0
	s_delay_alu instid0(VALU_DEP_1)
	v_mul_lo_u32 v0, v1, s12
	v_mul_lo_u32 v2, v1, s13
	;; [unrolled: 1-line block ×3, first 2 shown]
	s_cbranch_vccnz .LBB167_715
; %bb.714:
	v_mul_hi_u32 v4, s24, v3
	s_delay_alu instid0(VALU_DEP_1) | instskip(NEXT) | instid1(VALU_DEP_1)
	v_add_nc_u32_e32 v4, v3, v4
	v_lshrrev_b32_e32 v4, s25, v4
	s_delay_alu instid0(VALU_DEP_1) | instskip(NEXT) | instid1(VALU_DEP_1)
	v_mul_lo_u32 v4, v4, s19
	v_sub_nc_u32_e32 v8, v3, v4
	s_delay_alu instid0(VALU_DEP_1) | instskip(NEXT) | instid1(VALU_DEP_1)
	v_mad_u64_u32 v[3:4], null, v8, s15, v[0:1]
	v_mad_u64_u32 v[4:5], null, v8, s22, v[2:3]
	;; [unrolled: 1-line block ×3, first 2 shown]
	v_mov_b32_e32 v0, v3
	s_delay_alu instid0(VALU_DEP_2)
	v_dual_mov_b32 v2, v4 :: v_dual_mov_b32 v1, v5
.LBB167_715:
	s_waitcnt vmcnt(0)
	v_and_b32_e64 v4, 0xff, s33
	s_delay_alu instid0(VALU_DEP_2) | instskip(NEXT) | instid1(VALU_DEP_1)
	v_add_co_u32 v2, s2, s6, v2
	v_add_co_ci_u32_e64 v3, null, s7, 0, s2
	s_delay_alu instid0(VALU_DEP_3)
	v_cmp_gt_i16_e32 vcc_lo, 11, v4
	s_mov_b32 s2, 0
	s_cbranch_vccnz .LBB167_722
; %bb.716:
	v_cmp_lt_i16_e32 vcc_lo, 25, v4
	s_cbranch_vccz .LBB167_723
; %bb.717:
	v_cmp_lt_i16_e32 vcc_lo, 28, v4
	s_cbranch_vccz .LBB167_725
	;; [unrolled: 3-line block ×4, first 2 shown]
; %bb.720:
	v_cmp_eq_u16_e32 vcc_lo, 46, v4
	s_mov_b32 s47, 0
	s_cbranch_vccz .LBB167_802
; %bb.721:
	global_load_b32 v5, v[2:3], off
	s_mov_b32 s2, -1
	s_mov_b32 s3, 0
	s_waitcnt vmcnt(0)
	v_lshlrev_b32_e32 v5, 16, v5
	s_delay_alu instid0(VALU_DEP_1)
	v_cvt_f16_f32_e32 v5, v5
	s_branch .LBB167_804
.LBB167_722:
	s_mov_b32 s47, -1
	s_mov_b32 s3, s42
                                        ; implicit-def: $vgpr5
	s_branch .LBB167_871
.LBB167_723:
	s_mov_b32 s47, -1
	s_mov_b32 s3, s42
                                        ; implicit-def: $vgpr5
	s_branch .LBB167_835
.LBB167_724:
	s_mov_b32 s2, s38
	s_branch .LBB167_758
.LBB167_725:
	s_mov_b32 s47, -1
	s_mov_b32 s3, s42
                                        ; implicit-def: $vgpr5
	s_branch .LBB167_816
.LBB167_726:
	s_mov_b32 s2, s38
	s_branch .LBB167_741
.LBB167_727:
	s_mov_b32 s47, -1
	s_mov_b32 s3, s42
                                        ; implicit-def: $vgpr5
	s_branch .LBB167_811
.LBB167_728:
	s_mov_b32 s2, s38
	s_branch .LBB167_737
.LBB167_729:
	s_mov_b32 s47, -1
	s_mov_b32 s3, s42
	s_branch .LBB167_803
.LBB167_730:
	s_mov_b32 s2, s38
.LBB167_731:
	s_and_b32 vcc_lo, exec_lo, s44
	s_cbranch_vccz .LBB167_736
; %bb.732:
	v_cmp_eq_u16_e32 vcc_lo, 44, v3
	s_mov_b32 s2, -1
	s_cbranch_vccz .LBB167_736
; %bb.733:
	v_cvt_f32_f16_e32 v4, v2
	v_mov_b32_e32 v5, 0xff
	s_mov_b32 s43, exec_lo
	s_delay_alu instid0(VALU_DEP_2) | instskip(NEXT) | instid1(VALU_DEP_1)
	v_bfe_u32 v6, v4, 23, 8
	v_cmpx_ne_u32_e32 0xff, v6
; %bb.734:
	v_and_b32_e32 v5, 0x400000, v4
	v_and_or_b32 v6, 0x3fffff, v4, v6
	v_lshrrev_b32_e32 v4, 23, v4
	s_delay_alu instid0(VALU_DEP_3) | instskip(NEXT) | instid1(VALU_DEP_3)
	v_cmp_ne_u32_e32 vcc_lo, 0, v5
	v_cmp_ne_u32_e64 s2, 0, v6
	s_delay_alu instid0(VALU_DEP_1) | instskip(NEXT) | instid1(SALU_CYCLE_1)
	s_and_b32 s2, vcc_lo, s2
	v_cndmask_b32_e64 v5, 0, 1, s2
	s_delay_alu instid0(VALU_DEP_1)
	v_add_nc_u32_e32 v5, v4, v5
; %bb.735:
	s_or_b32 exec_lo, exec_lo, s43
	s_mov_b32 s43, -1
	s_mov_b32 s2, 0
	global_store_b8 v[0:1], v5, off
.LBB167_736:
	s_mov_b32 s44, 0
.LBB167_737:
	s_delay_alu instid0(SALU_CYCLE_1)
	s_and_b32 vcc_lo, exec_lo, s44
	s_cbranch_vccz .LBB167_740
; %bb.738:
	v_cmp_eq_u16_e32 vcc_lo, 29, v3
	s_mov_b32 s2, -1
	s_cbranch_vccz .LBB167_740
; %bb.739:
	v_cvt_f32_f16_e32 v4, v2
	v_mov_b32_e32 v5, 0
	s_mov_b32 s2, 0
	s_mov_b32 s43, -1
	s_mov_b32 s44, 0
	v_cvt_u32_f32_e32 v4, v4
	global_store_b64 v[0:1], v[4:5], off
	s_branch .LBB167_741
.LBB167_740:
	s_mov_b32 s44, 0
.LBB167_741:
	s_delay_alu instid0(SALU_CYCLE_1)
	s_and_b32 vcc_lo, exec_lo, s44
	s_cbranch_vccz .LBB167_757
; %bb.742:
	v_cmp_gt_i16_e32 vcc_lo, 27, v3
	s_mov_b32 s43, -1
	s_cbranch_vccnz .LBB167_748
; %bb.743:
	v_cmp_lt_i16_e32 vcc_lo, 27, v3
	s_cbranch_vccz .LBB167_745
; %bb.744:
	v_cvt_f32_f16_e32 v4, v2
	s_mov_b32 s43, 0
	s_delay_alu instid0(VALU_DEP_1)
	v_cvt_u32_f32_e32 v4, v4
	global_store_b32 v[0:1], v4, off
.LBB167_745:
	s_and_not1_b32 vcc_lo, exec_lo, s43
	s_cbranch_vccnz .LBB167_747
; %bb.746:
	v_cvt_u16_f16_e32 v4, v2
	global_store_b16 v[0:1], v4, off
.LBB167_747:
	s_mov_b32 s43, 0
.LBB167_748:
	s_delay_alu instid0(SALU_CYCLE_1)
	s_and_not1_b32 vcc_lo, exec_lo, s43
	s_cbranch_vccnz .LBB167_756
; %bb.749:
	v_cvt_f32_f16_e32 v4, v2
	v_mov_b32_e32 v6, 0x80
	s_mov_b32 s43, exec_lo
	s_delay_alu instid0(VALU_DEP_2) | instskip(NEXT) | instid1(VALU_DEP_1)
	v_and_b32_e32 v5, 0x7fffffff, v4
	v_cmpx_gt_u32_e32 0x43800000, v5
	s_cbranch_execz .LBB167_755
; %bb.750:
	v_cmp_lt_u32_e32 vcc_lo, 0x3bffffff, v5
	s_mov_b32 s44, 0
                                        ; implicit-def: $vgpr5
	s_and_saveexec_b32 s46, vcc_lo
	s_delay_alu instid0(SALU_CYCLE_1)
	s_xor_b32 s46, exec_lo, s46
	s_cbranch_execz .LBB167_807
; %bb.751:
	v_bfe_u32 v5, v4, 20, 1
	s_mov_b32 s44, exec_lo
	s_delay_alu instid0(VALU_DEP_1) | instskip(NEXT) | instid1(VALU_DEP_1)
	v_add3_u32 v5, v4, v5, 0x487ffff
	v_lshrrev_b32_e32 v5, 20, v5
	s_or_saveexec_b32 s46, s46
                                        ; implicit-def: $sgpr47
	s_delay_alu instid0(SALU_CYCLE_1)
	s_xor_b32 exec_lo, exec_lo, s46
	s_cbranch_execnz .LBB167_808
.LBB167_752:
	s_or_b32 exec_lo, exec_lo, s46
	v_mov_b32_e32 v6, s47
	s_and_saveexec_b32 s46, s44
.LBB167_753:
	v_lshrrev_b32_e32 v4, 24, v4
	s_delay_alu instid0(VALU_DEP_1)
	v_and_or_b32 v6, 0x80, v4, v5
.LBB167_754:
	s_or_b32 exec_lo, exec_lo, s46
.LBB167_755:
	s_delay_alu instid0(SALU_CYCLE_1)
	s_or_b32 exec_lo, exec_lo, s43
	global_store_b8 v[0:1], v6, off
.LBB167_756:
	s_mov_b32 s43, -1
.LBB167_757:
	s_mov_b32 s44, 0
.LBB167_758:
	s_delay_alu instid0(SALU_CYCLE_1)
	s_and_b32 vcc_lo, exec_lo, s44
	s_cbranch_vccz .LBB167_799
; %bb.759:
	v_cmp_lt_i16_e32 vcc_lo, 22, v3
	s_mov_b32 s44, -1
	s_cbranch_vccz .LBB167_791
; %bb.760:
	v_cmp_gt_i16_e32 vcc_lo, 24, v3
	s_mov_b32 s43, -1
	s_cbranch_vccnz .LBB167_780
; %bb.761:
	v_cmp_lt_i16_e32 vcc_lo, 24, v3
	s_cbranch_vccz .LBB167_769
; %bb.762:
	v_cvt_f32_f16_e32 v4, v2
	v_mov_b32_e32 v6, 0x80
	s_mov_b32 s43, exec_lo
	s_delay_alu instid0(VALU_DEP_2) | instskip(NEXT) | instid1(VALU_DEP_1)
	v_and_b32_e32 v5, 0x7fffffff, v4
	v_cmpx_gt_u32_e32 0x47800000, v5
	s_cbranch_execz .LBB167_768
; %bb.763:
	v_cmp_lt_u32_e32 vcc_lo, 0x37ffffff, v5
	s_mov_b32 s44, 0
                                        ; implicit-def: $vgpr5
	s_and_saveexec_b32 s46, vcc_lo
	s_delay_alu instid0(SALU_CYCLE_1)
	s_xor_b32 s46, exec_lo, s46
	s_cbranch_execz .LBB167_934
; %bb.764:
	v_bfe_u32 v5, v4, 21, 1
	s_mov_b32 s44, exec_lo
	s_delay_alu instid0(VALU_DEP_1) | instskip(NEXT) | instid1(VALU_DEP_1)
	v_add3_u32 v5, v4, v5, 0x88fffff
	v_lshrrev_b32_e32 v5, 21, v5
	s_or_saveexec_b32 s46, s46
                                        ; implicit-def: $sgpr47
	s_delay_alu instid0(SALU_CYCLE_1)
	s_xor_b32 exec_lo, exec_lo, s46
	s_cbranch_execnz .LBB167_935
.LBB167_765:
	s_or_b32 exec_lo, exec_lo, s46
	v_mov_b32_e32 v6, s47
	s_and_saveexec_b32 s46, s44
.LBB167_766:
	v_lshrrev_b32_e32 v4, 24, v4
	s_delay_alu instid0(VALU_DEP_1)
	v_and_or_b32 v6, 0x80, v4, v5
.LBB167_767:
	s_or_b32 exec_lo, exec_lo, s46
.LBB167_768:
	s_delay_alu instid0(SALU_CYCLE_1)
	s_or_b32 exec_lo, exec_lo, s43
	s_mov_b32 s43, 0
	global_store_b8 v[0:1], v6, off
.LBB167_769:
	s_and_b32 vcc_lo, exec_lo, s43
	s_cbranch_vccz .LBB167_779
; %bb.770:
	v_cvt_f32_f16_e32 v4, v2
	s_mov_b32 s43, exec_lo
                                        ; implicit-def: $vgpr5
	s_delay_alu instid0(VALU_DEP_1) | instskip(NEXT) | instid1(VALU_DEP_1)
	v_and_b32_e32 v6, 0x7fffffff, v4
	v_cmpx_gt_u32_e32 0x43f00000, v6
	s_xor_b32 s43, exec_lo, s43
	s_cbranch_execz .LBB167_776
; %bb.771:
	s_mov_b32 s44, exec_lo
                                        ; implicit-def: $vgpr5
	v_cmpx_lt_u32_e32 0x3c7fffff, v6
	s_xor_b32 s44, exec_lo, s44
; %bb.772:
	v_bfe_u32 v5, v4, 20, 1
	s_delay_alu instid0(VALU_DEP_1) | instskip(NEXT) | instid1(VALU_DEP_1)
	v_add3_u32 v5, v4, v5, 0x407ffff
	v_and_b32_e32 v6, 0xff00000, v5
	v_lshrrev_b32_e32 v5, 20, v5
	s_delay_alu instid0(VALU_DEP_2) | instskip(NEXT) | instid1(VALU_DEP_2)
	v_cmp_ne_u32_e32 vcc_lo, 0x7f00000, v6
	v_cndmask_b32_e32 v5, 0x7e, v5, vcc_lo
; %bb.773:
	s_and_not1_saveexec_b32 s44, s44
; %bb.774:
	v_add_f32_e64 v5, 0x46800000, |v4|
; %bb.775:
	s_or_b32 exec_lo, exec_lo, s44
                                        ; implicit-def: $vgpr6
.LBB167_776:
	s_and_not1_saveexec_b32 s43, s43
; %bb.777:
	v_mov_b32_e32 v5, 0x7f
	v_cmp_lt_u32_e32 vcc_lo, 0x7f800000, v6
	s_delay_alu instid0(VALU_DEP_2)
	v_cndmask_b32_e32 v5, 0x7e, v5, vcc_lo
; %bb.778:
	s_or_b32 exec_lo, exec_lo, s43
	v_lshrrev_b32_e32 v4, 24, v4
	s_delay_alu instid0(VALU_DEP_1)
	v_and_or_b32 v4, 0x80, v4, v5
	global_store_b8 v[0:1], v4, off
.LBB167_779:
	s_mov_b32 s43, 0
.LBB167_780:
	s_delay_alu instid0(SALU_CYCLE_1)
	s_and_not1_b32 vcc_lo, exec_lo, s43
	s_cbranch_vccnz .LBB167_790
; %bb.781:
	v_cvt_f32_f16_e32 v4, v2
	s_mov_b32 s43, exec_lo
                                        ; implicit-def: $vgpr5
	s_delay_alu instid0(VALU_DEP_1) | instskip(NEXT) | instid1(VALU_DEP_1)
	v_and_b32_e32 v6, 0x7fffffff, v4
	v_cmpx_gt_u32_e32 0x47800000, v6
	s_xor_b32 s43, exec_lo, s43
	s_cbranch_execz .LBB167_787
; %bb.782:
	s_mov_b32 s44, exec_lo
                                        ; implicit-def: $vgpr5
	v_cmpx_lt_u32_e32 0x387fffff, v6
	s_xor_b32 s44, exec_lo, s44
; %bb.783:
	v_bfe_u32 v5, v4, 21, 1
	s_delay_alu instid0(VALU_DEP_1) | instskip(NEXT) | instid1(VALU_DEP_1)
	v_add3_u32 v5, v4, v5, 0x80fffff
	v_lshrrev_b32_e32 v5, 21, v5
; %bb.784:
	s_and_not1_saveexec_b32 s44, s44
; %bb.785:
	v_add_f32_e64 v5, 0x43000000, |v4|
; %bb.786:
	s_or_b32 exec_lo, exec_lo, s44
                                        ; implicit-def: $vgpr6
.LBB167_787:
	s_and_not1_saveexec_b32 s43, s43
; %bb.788:
	v_mov_b32_e32 v5, 0x7f
	v_cmp_lt_u32_e32 vcc_lo, 0x7f800000, v6
	s_delay_alu instid0(VALU_DEP_2)
	v_cndmask_b32_e32 v5, 0x7c, v5, vcc_lo
; %bb.789:
	s_or_b32 exec_lo, exec_lo, s43
	v_lshrrev_b32_e32 v4, 24, v4
	s_delay_alu instid0(VALU_DEP_1)
	v_and_or_b32 v4, 0x80, v4, v5
	global_store_b8 v[0:1], v4, off
.LBB167_790:
	s_mov_b32 s44, 0
	s_mov_b32 s43, -1
.LBB167_791:
	s_and_not1_b32 vcc_lo, exec_lo, s44
	s_cbranch_vccnz .LBB167_799
; %bb.792:
	v_cmp_lt_i16_e32 vcc_lo, 14, v3
	s_mov_b32 s44, -1
	s_cbranch_vccz .LBB167_796
; %bb.793:
	v_cmp_eq_u16_e32 vcc_lo, 15, v3
	s_mov_b32 s2, -1
	s_cbranch_vccz .LBB167_795
; %bb.794:
	v_cvt_f32_f16_e32 v4, v2
	v_cmp_o_f16_e32 vcc_lo, v2, v2
	s_mov_b32 s43, -1
	s_mov_b32 s2, 0
	s_delay_alu instid0(VALU_DEP_2) | instskip(NEXT) | instid1(VALU_DEP_1)
	v_bfe_u32 v5, v4, 16, 1
	v_add3_u32 v4, v4, v5, 0x7fff
	s_delay_alu instid0(VALU_DEP_1) | instskip(NEXT) | instid1(VALU_DEP_1)
	v_lshrrev_b32_e32 v4, 16, v4
	v_cndmask_b32_e32 v4, 0x7fc0, v4, vcc_lo
	global_store_b16 v[0:1], v4, off
.LBB167_795:
	s_mov_b32 s44, 0
.LBB167_796:
	s_delay_alu instid0(SALU_CYCLE_1)
	s_and_b32 vcc_lo, exec_lo, s44
	s_cbranch_vccz .LBB167_799
; %bb.797:
	v_cmp_eq_u16_e32 vcc_lo, 11, v3
	s_mov_b32 s2, -1
	s_cbranch_vccz .LBB167_799
; %bb.798:
	v_cmp_neq_f16_e32 vcc_lo, 0, v2
	s_mov_b32 s2, 0
	s_mov_b32 s43, -1
	v_cndmask_b32_e64 v4, 0, 1, vcc_lo
	global_store_b8 v[0:1], v4, off
.LBB167_799:
.LBB167_800:
	s_and_not1_b32 vcc_lo, exec_lo, s43
	s_cbranch_vccnz .LBB167_700
.LBB167_801:
	v_add_nc_u32_e32 v7, 0x80, v7
	s_mov_b32 s46, -1
	s_branch .LBB167_702
.LBB167_802:
	s_mov_b32 s3, -1
.LBB167_803:
                                        ; implicit-def: $vgpr5
.LBB167_804:
	s_and_b32 vcc_lo, exec_lo, s47
	s_cbranch_vccz .LBB167_810
; %bb.805:
	v_cmp_eq_u16_e32 vcc_lo, 44, v4
	s_cbranch_vccz .LBB167_809
; %bb.806:
	global_load_u8 v5, v[2:3], off
	s_mov_b32 s3, 0
	s_mov_b32 s2, -1
	s_waitcnt vmcnt(0)
	v_lshlrev_b32_e32 v6, 23, v5
	v_cmp_ne_u32_e32 vcc_lo, 0xff, v5
	s_delay_alu instid0(VALU_DEP_2) | instskip(NEXT) | instid1(VALU_DEP_1)
	v_cvt_f16_f32_e32 v6, v6
	v_cndmask_b32_e32 v6, 0x7e00, v6, vcc_lo
	v_cmp_ne_u32_e32 vcc_lo, 0, v5
	s_delay_alu instid0(VALU_DEP_2)
	v_cndmask_b32_e32 v5, 0, v6, vcc_lo
	s_branch .LBB167_810
.LBB167_807:
	s_or_saveexec_b32 s46, s46
                                        ; implicit-def: $sgpr47
	s_delay_alu instid0(SALU_CYCLE_1)
	s_xor_b32 exec_lo, exec_lo, s46
	s_cbranch_execz .LBB167_752
.LBB167_808:
	v_add_f32_e64 v5, 0x46000000, |v4|
	s_and_not1_b32 s44, s44, exec_lo
	s_mov_b32 s47, 0
	s_delay_alu instid0(VALU_DEP_1) | instskip(NEXT) | instid1(VALU_DEP_1)
	v_and_b32_e32 v5, 0xff, v5
	v_cmp_ne_u32_e32 vcc_lo, 0, v5
	s_and_b32 s48, vcc_lo, exec_lo
	s_delay_alu instid0(SALU_CYCLE_1)
	s_or_b32 s44, s44, s48
	s_or_b32 exec_lo, exec_lo, s46
	v_mov_b32_e32 v6, s47
	s_and_saveexec_b32 s46, s44
	s_cbranch_execnz .LBB167_753
	s_branch .LBB167_754
.LBB167_809:
	s_mov_b32 s3, -1
                                        ; implicit-def: $vgpr5
.LBB167_810:
	s_mov_b32 s47, 0
.LBB167_811:
	s_delay_alu instid0(SALU_CYCLE_1)
	s_and_b32 vcc_lo, exec_lo, s47
	s_cbranch_vccz .LBB167_815
; %bb.812:
	v_cmp_eq_u16_e32 vcc_lo, 29, v4
	s_cbranch_vccz .LBB167_814
; %bb.813:
	global_load_b64 v[5:6], v[2:3], off
	s_mov_b32 s2, -1
	s_mov_b32 s3, 0
	s_mov_b32 s47, 0
	s_waitcnt vmcnt(0)
	v_clz_i32_u32_e32 v8, v6
	s_delay_alu instid0(VALU_DEP_1) | instskip(NEXT) | instid1(VALU_DEP_1)
	v_min_u32_e32 v8, 32, v8
	v_lshlrev_b64 v[5:6], v8, v[5:6]
	s_delay_alu instid0(VALU_DEP_1) | instskip(NEXT) | instid1(VALU_DEP_1)
	v_min_u32_e32 v5, 1, v5
	v_or_b32_e32 v5, v6, v5
	v_sub_nc_u32_e32 v6, 32, v8
	s_delay_alu instid0(VALU_DEP_2) | instskip(NEXT) | instid1(VALU_DEP_1)
	v_cvt_f32_u32_e32 v5, v5
	v_ldexp_f32 v5, v5, v6
	s_delay_alu instid0(VALU_DEP_1)
	v_cvt_f16_f32_e32 v5, v5
	s_branch .LBB167_816
.LBB167_814:
	s_mov_b32 s3, -1
                                        ; implicit-def: $vgpr5
.LBB167_815:
	s_mov_b32 s47, 0
.LBB167_816:
	s_delay_alu instid0(SALU_CYCLE_1)
	s_and_b32 vcc_lo, exec_lo, s47
	s_cbranch_vccz .LBB167_834
; %bb.817:
	v_cmp_gt_i16_e32 vcc_lo, 27, v4
	s_cbranch_vccnz .LBB167_820
; %bb.818:
	v_cmp_lt_i16_e32 vcc_lo, 27, v4
	s_cbranch_vccz .LBB167_821
; %bb.819:
	global_load_b32 v5, v[2:3], off
	s_mov_b32 s2, 0
	s_waitcnt vmcnt(0)
	v_cvt_f32_u32_e32 v5, v5
	s_delay_alu instid0(VALU_DEP_1)
	v_cvt_f16_f32_e32 v5, v5
	s_branch .LBB167_822
.LBB167_820:
	s_mov_b32 s2, -1
                                        ; implicit-def: $vgpr5
	s_branch .LBB167_825
.LBB167_821:
	s_mov_b32 s2, -1
                                        ; implicit-def: $vgpr5
.LBB167_822:
	s_delay_alu instid0(SALU_CYCLE_1)
	s_and_not1_b32 vcc_lo, exec_lo, s2
	s_cbranch_vccnz .LBB167_824
; %bb.823:
	global_load_u16 v5, v[2:3], off
	s_waitcnt vmcnt(0)
	v_cvt_f16_u16_e32 v5, v5
.LBB167_824:
	s_mov_b32 s2, 0
.LBB167_825:
	s_delay_alu instid0(SALU_CYCLE_1)
	s_and_not1_b32 vcc_lo, exec_lo, s2
	s_cbranch_vccnz .LBB167_833
; %bb.826:
	global_load_u8 v6, v[2:3], off
	s_mov_b32 s2, 0
	s_mov_b32 s48, exec_lo
                                        ; implicit-def: $sgpr47
	s_waitcnt vmcnt(0)
	v_cmpx_lt_i16_e32 0x7f, v6
	s_xor_b32 s48, exec_lo, s48
	s_cbranch_execz .LBB167_847
; %bb.827:
	s_mov_b32 s2, -1
	s_mov_b32 s49, exec_lo
                                        ; implicit-def: $sgpr47
	v_cmpx_eq_u16_e32 0x80, v6
; %bb.828:
	s_movk_i32 s47, 0x7e00
	s_xor_b32 s2, exec_lo, -1
; %bb.829:
	s_or_b32 exec_lo, exec_lo, s49
	s_delay_alu instid0(SALU_CYCLE_1)
	s_and_b32 s2, s2, exec_lo
	s_or_saveexec_b32 s48, s48
	v_mov_b32_e32 v5, s47
	s_xor_b32 exec_lo, exec_lo, s48
	s_cbranch_execnz .LBB167_848
.LBB167_830:
	s_or_b32 exec_lo, exec_lo, s48
	s_and_saveexec_b32 s47, s2
	s_cbranch_execz .LBB167_832
.LBB167_831:
	v_and_b32_e32 v5, 0xffff, v6
	v_lshlrev_b32_e32 v6, 24, v6
	s_delay_alu instid0(VALU_DEP_2) | instskip(NEXT) | instid1(VALU_DEP_2)
	v_and_b32_e32 v8, 7, v5
	v_and_b32_e32 v6, 0x80000000, v6
	s_delay_alu instid0(VALU_DEP_2) | instskip(NEXT) | instid1(VALU_DEP_1)
	v_clz_i32_u32_e32 v9, v8
	v_min_u32_e32 v9, 32, v9
	s_delay_alu instid0(VALU_DEP_1) | instskip(SKIP_1) | instid1(VALU_DEP_2)
	v_subrev_nc_u32_e32 v10, 28, v9
	v_sub_nc_u32_e32 v9, 29, v9
	v_lshlrev_b32_e32 v10, v10, v5
	v_bfe_u32 v5, v5, 3, 4
	s_delay_alu instid0(VALU_DEP_1) | instskip(NEXT) | instid1(VALU_DEP_3)
	v_cmp_eq_u32_e32 vcc_lo, 0, v5
	v_dual_cndmask_b32 v5, v5, v9 :: v_dual_and_b32 v10, 7, v10
	s_delay_alu instid0(VALU_DEP_1) | instskip(NEXT) | instid1(VALU_DEP_2)
	v_cndmask_b32_e32 v8, v8, v10, vcc_lo
	v_lshl_add_u32 v5, v5, 23, 0x3b800000
	s_delay_alu instid0(VALU_DEP_2) | instskip(NEXT) | instid1(VALU_DEP_1)
	v_lshlrev_b32_e32 v8, 20, v8
	v_or3_b32 v5, v6, v5, v8
	s_delay_alu instid0(VALU_DEP_1)
	v_cvt_f16_f32_e32 v5, v5
.LBB167_832:
	s_or_b32 exec_lo, exec_lo, s47
.LBB167_833:
	s_mov_b32 s2, -1
.LBB167_834:
	s_mov_b32 s47, 0
.LBB167_835:
	s_delay_alu instid0(SALU_CYCLE_1)
	s_and_b32 vcc_lo, exec_lo, s47
	s_cbranch_vccz .LBB167_870
; %bb.836:
	v_cmp_lt_i16_e32 vcc_lo, 22, v4
	s_cbranch_vccz .LBB167_846
; %bb.837:
	v_cmp_gt_i16_e32 vcc_lo, 24, v4
	s_cbranch_vccnz .LBB167_849
; %bb.838:
	v_cmp_lt_i16_e32 vcc_lo, 24, v4
	s_cbranch_vccz .LBB167_850
; %bb.839:
	global_load_u8 v6, v[2:3], off
	s_mov_b32 s2, 0
	s_mov_b32 s48, exec_lo
                                        ; implicit-def: $sgpr47
	s_waitcnt vmcnt(0)
	v_cmpx_lt_i16_e32 0x7f, v6
	s_xor_b32 s48, exec_lo, s48
	s_cbranch_execz .LBB167_862
; %bb.840:
	s_mov_b32 s2, -1
	s_mov_b32 s49, exec_lo
                                        ; implicit-def: $sgpr47
	v_cmpx_eq_u16_e32 0x80, v6
; %bb.841:
	s_movk_i32 s47, 0x7e00
	s_xor_b32 s2, exec_lo, -1
; %bb.842:
	s_or_b32 exec_lo, exec_lo, s49
	s_delay_alu instid0(SALU_CYCLE_1)
	s_and_b32 s2, s2, exec_lo
	s_or_saveexec_b32 s48, s48
	v_mov_b32_e32 v5, s47
	s_xor_b32 exec_lo, exec_lo, s48
	s_cbranch_execnz .LBB167_863
.LBB167_843:
	s_or_b32 exec_lo, exec_lo, s48
	s_and_saveexec_b32 s47, s2
	s_cbranch_execz .LBB167_845
.LBB167_844:
	v_and_b32_e32 v5, 0xffff, v6
	v_lshlrev_b32_e32 v6, 24, v6
	s_delay_alu instid0(VALU_DEP_2) | instskip(NEXT) | instid1(VALU_DEP_2)
	v_and_b32_e32 v8, 3, v5
	v_and_b32_e32 v6, 0x80000000, v6
	s_delay_alu instid0(VALU_DEP_2) | instskip(NEXT) | instid1(VALU_DEP_1)
	v_clz_i32_u32_e32 v9, v8
	v_min_u32_e32 v9, 32, v9
	s_delay_alu instid0(VALU_DEP_1) | instskip(SKIP_1) | instid1(VALU_DEP_2)
	v_subrev_nc_u32_e32 v10, 29, v9
	v_sub_nc_u32_e32 v9, 30, v9
	v_lshlrev_b32_e32 v10, v10, v5
	v_bfe_u32 v5, v5, 2, 5
	s_delay_alu instid0(VALU_DEP_1) | instskip(NEXT) | instid1(VALU_DEP_3)
	v_cmp_eq_u32_e32 vcc_lo, 0, v5
	v_dual_cndmask_b32 v5, v5, v9 :: v_dual_and_b32 v10, 3, v10
	s_delay_alu instid0(VALU_DEP_1) | instskip(NEXT) | instid1(VALU_DEP_2)
	v_cndmask_b32_e32 v8, v8, v10, vcc_lo
	v_lshl_add_u32 v5, v5, 23, 0x37800000
	s_delay_alu instid0(VALU_DEP_2) | instskip(NEXT) | instid1(VALU_DEP_1)
	v_lshlrev_b32_e32 v8, 21, v8
	v_or3_b32 v5, v6, v5, v8
	s_delay_alu instid0(VALU_DEP_1)
	v_cvt_f16_f32_e32 v5, v5
.LBB167_845:
	s_or_b32 exec_lo, exec_lo, s47
	s_mov_b32 s2, 0
	s_branch .LBB167_851
.LBB167_846:
	s_mov_b32 s47, -1
                                        ; implicit-def: $vgpr5
	s_branch .LBB167_857
.LBB167_847:
	s_or_saveexec_b32 s48, s48
	v_mov_b32_e32 v5, s47
	s_xor_b32 exec_lo, exec_lo, s48
	s_cbranch_execz .LBB167_830
.LBB167_848:
	v_cmp_ne_u16_e32 vcc_lo, 0, v6
	v_mov_b32_e32 v5, v6
	s_and_not1_b32 s2, s2, exec_lo
	s_and_b32 s47, vcc_lo, exec_lo
	s_delay_alu instid0(SALU_CYCLE_1)
	s_or_b32 s2, s2, s47
	s_or_b32 exec_lo, exec_lo, s48
	s_and_saveexec_b32 s47, s2
	s_cbranch_execnz .LBB167_831
	s_branch .LBB167_832
.LBB167_849:
	s_mov_b32 s2, -1
                                        ; implicit-def: $vgpr5
	s_branch .LBB167_854
.LBB167_850:
	s_mov_b32 s2, -1
                                        ; implicit-def: $vgpr5
.LBB167_851:
	s_delay_alu instid0(SALU_CYCLE_1)
	s_and_b32 vcc_lo, exec_lo, s2
	s_cbranch_vccz .LBB167_853
; %bb.852:
	global_load_u8 v5, v[2:3], off
	s_waitcnt vmcnt(0)
	v_lshlrev_b32_e32 v5, 24, v5
	s_delay_alu instid0(VALU_DEP_1) | instskip(NEXT) | instid1(VALU_DEP_1)
	v_and_b32_e32 v6, 0x7f000000, v5
	v_clz_i32_u32_e32 v8, v6
	v_add_nc_u32_e32 v10, 0x1000000, v6
	v_cmp_ne_u32_e32 vcc_lo, 0, v6
	s_delay_alu instid0(VALU_DEP_3) | instskip(NEXT) | instid1(VALU_DEP_1)
	v_min_u32_e32 v8, 32, v8
	v_sub_nc_u32_e64 v8, v8, 4 clamp
	s_delay_alu instid0(VALU_DEP_1) | instskip(SKIP_1) | instid1(VALU_DEP_2)
	v_lshlrev_b32_e32 v9, v8, v6
	v_lshlrev_b32_e32 v8, 23, v8
	v_lshrrev_b32_e32 v9, 4, v9
	s_delay_alu instid0(VALU_DEP_1) | instskip(SKIP_1) | instid1(VALU_DEP_2)
	v_sub_nc_u32_e32 v8, v9, v8
	v_ashrrev_i32_e32 v9, 8, v10
	v_add_nc_u32_e32 v8, 0x3c000000, v8
	s_delay_alu instid0(VALU_DEP_1) | instskip(NEXT) | instid1(VALU_DEP_1)
	v_and_or_b32 v8, 0x7f800000, v9, v8
	v_cndmask_b32_e32 v6, 0, v8, vcc_lo
	s_delay_alu instid0(VALU_DEP_1) | instskip(NEXT) | instid1(VALU_DEP_1)
	v_and_or_b32 v5, 0x80000000, v5, v6
	v_cvt_f16_f32_e32 v5, v5
.LBB167_853:
	s_mov_b32 s2, 0
.LBB167_854:
	s_delay_alu instid0(SALU_CYCLE_1)
	s_and_not1_b32 vcc_lo, exec_lo, s2
	s_cbranch_vccnz .LBB167_856
; %bb.855:
	global_load_u8 v5, v[2:3], off
	s_waitcnt vmcnt(0)
	v_lshlrev_b32_e32 v6, 25, v5
	v_lshlrev_b16 v5, 8, v5
	s_delay_alu instid0(VALU_DEP_2) | instskip(NEXT) | instid1(VALU_DEP_2)
	v_lshrrev_b32_e32 v8, 4, v6
	v_and_or_b32 v9, 0x7f00, v5, 0.5
	v_cmp_gt_u32_e32 vcc_lo, 0x8000000, v6
	v_bfe_i32 v5, v5, 0, 16
	s_delay_alu instid0(VALU_DEP_4) | instskip(NEXT) | instid1(VALU_DEP_1)
	v_or_b32_e32 v8, 0x70000000, v8
	v_dual_add_f32 v9, -0.5, v9 :: v_dual_mul_f32 v8, 0x7800000, v8
	s_delay_alu instid0(VALU_DEP_1) | instskip(NEXT) | instid1(VALU_DEP_1)
	v_cndmask_b32_e32 v6, v8, v9, vcc_lo
	v_and_or_b32 v5, 0x80000000, v5, v6
	s_delay_alu instid0(VALU_DEP_1)
	v_cvt_f16_f32_e32 v5, v5
.LBB167_856:
	s_mov_b32 s47, 0
	s_mov_b32 s2, -1
.LBB167_857:
	s_and_not1_b32 vcc_lo, exec_lo, s47
	s_cbranch_vccnz .LBB167_870
; %bb.858:
	v_cmp_lt_i16_e32 vcc_lo, 14, v4
	s_cbranch_vccz .LBB167_861
; %bb.859:
	v_cmp_eq_u16_e32 vcc_lo, 15, v4
	s_cbranch_vccz .LBB167_864
; %bb.860:
	global_load_u16 v5, v[2:3], off
	s_mov_b32 s2, -1
	s_mov_b32 s3, 0
	s_waitcnt vmcnt(0)
	v_lshlrev_b32_e32 v5, 16, v5
	s_delay_alu instid0(VALU_DEP_1)
	v_cvt_f16_f32_e32 v5, v5
	s_branch .LBB167_865
.LBB167_861:
	s_mov_b32 s47, -1
                                        ; implicit-def: $vgpr5
	s_branch .LBB167_866
.LBB167_862:
	s_or_saveexec_b32 s48, s48
	v_mov_b32_e32 v5, s47
	s_xor_b32 exec_lo, exec_lo, s48
	s_cbranch_execz .LBB167_843
.LBB167_863:
	v_cmp_ne_u16_e32 vcc_lo, 0, v6
	v_mov_b32_e32 v5, v6
	s_and_not1_b32 s2, s2, exec_lo
	s_and_b32 s47, vcc_lo, exec_lo
	s_delay_alu instid0(SALU_CYCLE_1)
	s_or_b32 s2, s2, s47
	s_or_b32 exec_lo, exec_lo, s48
	s_and_saveexec_b32 s47, s2
	s_cbranch_execnz .LBB167_844
	s_branch .LBB167_845
.LBB167_864:
	s_mov_b32 s3, -1
                                        ; implicit-def: $vgpr5
.LBB167_865:
	s_mov_b32 s47, 0
.LBB167_866:
	s_delay_alu instid0(SALU_CYCLE_1)
	s_and_b32 vcc_lo, exec_lo, s47
	s_cbranch_vccz .LBB167_870
; %bb.867:
	v_cmp_eq_u16_e32 vcc_lo, 11, v4
	s_cbranch_vccz .LBB167_869
; %bb.868:
	global_load_u8 v5, v[2:3], off
	s_mov_b32 s3, 0
	s_mov_b32 s2, -1
	s_waitcnt vmcnt(0)
	v_cmp_ne_u16_e32 vcc_lo, 0, v5
	v_cndmask_b32_e64 v5, 0, 0x3c00, vcc_lo
	s_branch .LBB167_870
.LBB167_869:
	s_mov_b32 s3, -1
                                        ; implicit-def: $vgpr5
.LBB167_870:
	s_mov_b32 s47, 0
.LBB167_871:
	s_delay_alu instid0(SALU_CYCLE_1)
	s_and_b32 vcc_lo, exec_lo, s47
	s_cbranch_vccz .LBB167_920
; %bb.872:
	v_cmp_gt_i16_e32 vcc_lo, 5, v4
	s_cbranch_vccnz .LBB167_877
; %bb.873:
	v_cmp_gt_i16_e32 vcc_lo, 8, v4
	s_cbranch_vccnz .LBB167_878
	;; [unrolled: 3-line block ×3, first 2 shown]
; %bb.875:
	v_cmp_lt_i16_e32 vcc_lo, 9, v4
	s_cbranch_vccz .LBB167_880
; %bb.876:
	global_load_b64 v[5:6], v[2:3], off
	s_mov_b32 s2, 0
	s_waitcnt vmcnt(0)
	v_cvt_f32_f64_e32 v5, v[5:6]
	s_delay_alu instid0(VALU_DEP_1)
	v_cvt_f16_f32_e32 v5, v5
	s_branch .LBB167_881
.LBB167_877:
	s_mov_b32 s2, -1
                                        ; implicit-def: $vgpr5
	s_branch .LBB167_899
.LBB167_878:
	s_mov_b32 s2, -1
                                        ; implicit-def: $vgpr5
	s_branch .LBB167_887
.LBB167_879:
	s_mov_b32 s2, -1
                                        ; implicit-def: $vgpr5
	s_branch .LBB167_884
.LBB167_880:
	s_mov_b32 s2, -1
                                        ; implicit-def: $vgpr5
.LBB167_881:
	s_delay_alu instid0(SALU_CYCLE_1)
	s_and_not1_b32 vcc_lo, exec_lo, s2
	s_cbranch_vccnz .LBB167_883
; %bb.882:
	global_load_b32 v5, v[2:3], off
	s_waitcnt vmcnt(0)
	v_cvt_f16_f32_e32 v5, v5
.LBB167_883:
	s_mov_b32 s2, 0
.LBB167_884:
	s_delay_alu instid0(SALU_CYCLE_1)
	s_and_not1_b32 vcc_lo, exec_lo, s2
	s_cbranch_vccnz .LBB167_886
; %bb.885:
	global_load_b32 v5, v[2:3], off
.LBB167_886:
	s_mov_b32 s2, 0
.LBB167_887:
	s_delay_alu instid0(SALU_CYCLE_1)
	s_and_not1_b32 vcc_lo, exec_lo, s2
	s_cbranch_vccnz .LBB167_898
; %bb.888:
	v_cmp_gt_i16_e32 vcc_lo, 6, v4
	s_cbranch_vccnz .LBB167_891
; %bb.889:
	v_cmp_lt_i16_e32 vcc_lo, 6, v4
	s_cbranch_vccz .LBB167_892
; %bb.890:
	global_load_b64 v[5:6], v[2:3], off
	s_mov_b32 s2, 0
	s_waitcnt vmcnt(0)
	v_cvt_f32_f64_e32 v5, v[5:6]
	s_delay_alu instid0(VALU_DEP_1)
	v_cvt_f16_f32_e32 v5, v5
	s_branch .LBB167_893
.LBB167_891:
	s_mov_b32 s2, -1
                                        ; implicit-def: $vgpr5
	s_branch .LBB167_896
.LBB167_892:
	s_mov_b32 s2, -1
                                        ; implicit-def: $vgpr5
.LBB167_893:
	s_delay_alu instid0(SALU_CYCLE_1)
	s_and_not1_b32 vcc_lo, exec_lo, s2
	s_cbranch_vccnz .LBB167_895
; %bb.894:
	global_load_b32 v5, v[2:3], off
	s_waitcnt vmcnt(0)
	v_cvt_f16_f32_e32 v5, v5
.LBB167_895:
	s_mov_b32 s2, 0
.LBB167_896:
	s_delay_alu instid0(SALU_CYCLE_1)
	s_and_not1_b32 vcc_lo, exec_lo, s2
	s_cbranch_vccnz .LBB167_898
; %bb.897:
	global_load_u16 v5, v[2:3], off
.LBB167_898:
	s_mov_b32 s2, 0
.LBB167_899:
	s_delay_alu instid0(SALU_CYCLE_1)
	s_and_not1_b32 vcc_lo, exec_lo, s2
	s_cbranch_vccnz .LBB167_919
; %bb.900:
	v_cmp_gt_i16_e32 vcc_lo, 2, v4
	s_cbranch_vccnz .LBB167_904
; %bb.901:
	v_cmp_gt_i16_e32 vcc_lo, 3, v4
	s_cbranch_vccnz .LBB167_905
; %bb.902:
	v_cmp_lt_i16_e32 vcc_lo, 3, v4
	s_cbranch_vccz .LBB167_906
; %bb.903:
	global_load_b64 v[5:6], v[2:3], off
	s_mov_b32 s2, 0
	s_waitcnt vmcnt(0)
	v_xor_b32_e32 v8, v5, v6
	v_cls_i32_e32 v9, v6
	s_delay_alu instid0(VALU_DEP_2) | instskip(NEXT) | instid1(VALU_DEP_2)
	v_ashrrev_i32_e32 v8, 31, v8
	v_add_nc_u32_e32 v9, -1, v9
	s_delay_alu instid0(VALU_DEP_2) | instskip(NEXT) | instid1(VALU_DEP_1)
	v_add_nc_u32_e32 v8, 32, v8
	v_min_u32_e32 v8, v9, v8
	s_delay_alu instid0(VALU_DEP_1) | instskip(NEXT) | instid1(VALU_DEP_1)
	v_lshlrev_b64 v[5:6], v8, v[5:6]
	v_min_u32_e32 v5, 1, v5
	s_delay_alu instid0(VALU_DEP_1) | instskip(SKIP_1) | instid1(VALU_DEP_2)
	v_or_b32_e32 v5, v6, v5
	v_sub_nc_u32_e32 v6, 32, v8
	v_cvt_f32_i32_e32 v5, v5
	s_delay_alu instid0(VALU_DEP_1) | instskip(NEXT) | instid1(VALU_DEP_1)
	v_ldexp_f32 v5, v5, v6
	v_cvt_f16_f32_e32 v5, v5
	s_branch .LBB167_907
.LBB167_904:
	s_mov_b32 s2, -1
                                        ; implicit-def: $vgpr5
	s_branch .LBB167_913
.LBB167_905:
	s_mov_b32 s2, -1
                                        ; implicit-def: $vgpr5
	s_branch .LBB167_910
.LBB167_906:
	s_mov_b32 s2, -1
                                        ; implicit-def: $vgpr5
.LBB167_907:
	s_delay_alu instid0(SALU_CYCLE_1)
	s_and_not1_b32 vcc_lo, exec_lo, s2
	s_cbranch_vccnz .LBB167_909
; %bb.908:
	global_load_b32 v5, v[2:3], off
	s_waitcnt vmcnt(0)
	v_cvt_f32_i32_e32 v5, v5
	s_delay_alu instid0(VALU_DEP_1)
	v_cvt_f16_f32_e32 v5, v5
.LBB167_909:
	s_mov_b32 s2, 0
.LBB167_910:
	s_delay_alu instid0(SALU_CYCLE_1)
	s_and_not1_b32 vcc_lo, exec_lo, s2
	s_cbranch_vccnz .LBB167_912
; %bb.911:
	global_load_u16 v5, v[2:3], off
	s_waitcnt vmcnt(0)
	v_cvt_f16_i16_e32 v5, v5
.LBB167_912:
	s_mov_b32 s2, 0
.LBB167_913:
	s_delay_alu instid0(SALU_CYCLE_1)
	s_and_not1_b32 vcc_lo, exec_lo, s2
	s_cbranch_vccnz .LBB167_919
; %bb.914:
	v_cmp_lt_i16_e32 vcc_lo, 0, v4
	s_mov_b32 s2, 0
	s_cbranch_vccz .LBB167_916
; %bb.915:
	global_load_i8 v4, v[2:3], off
	s_waitcnt vmcnt(0)
	v_cvt_f16_i16_e32 v5, v4
	s_branch .LBB167_917
.LBB167_916:
	s_mov_b32 s2, -1
                                        ; implicit-def: $vgpr5
.LBB167_917:
	s_delay_alu instid0(SALU_CYCLE_1)
	s_and_not1_b32 vcc_lo, exec_lo, s2
	s_cbranch_vccnz .LBB167_919
; %bb.918:
	global_load_u8 v2, v[2:3], off
	s_waitcnt vmcnt(0)
	v_cvt_f16_u16_e32 v5, v2
.LBB167_919:
	s_mov_b32 s2, -1
.LBB167_920:
	s_delay_alu instid0(SALU_CYCLE_1)
	s_and_not1_b32 vcc_lo, exec_lo, s2
	s_cbranch_vccnz .LBB167_928
; %bb.921:
	v_and_b32_e64 v6, 0xff, s31
	v_add_co_u32 v1, s2, s8, v1
	s_delay_alu instid0(VALU_DEP_1) | instskip(NEXT) | instid1(VALU_DEP_3)
	v_add_co_ci_u32_e64 v2, null, s9, 0, s2
	v_cmp_gt_i16_e32 vcc_lo, 11, v6
	s_mov_b32 s2, 0
	s_cbranch_vccnz .LBB167_929
; %bb.922:
	v_cmp_lt_i16_e32 vcc_lo, 25, v6
	s_cbranch_vccz .LBB167_930
; %bb.923:
	v_cmp_lt_i16_e32 vcc_lo, 28, v6
	s_cbranch_vccz .LBB167_931
	;; [unrolled: 3-line block ×4, first 2 shown]
; %bb.926:
	v_cmp_eq_u16_e32 vcc_lo, 46, v6
	s_mov_b32 s48, 0
	s_cbranch_vccz .LBB167_936
; %bb.927:
	global_load_b32 v3, v[1:2], off
	s_mov_b32 s2, -1
	s_mov_b32 s47, 0
	s_waitcnt vmcnt(0)
	v_lshlrev_b32_e32 v3, 16, v3
	s_delay_alu instid0(VALU_DEP_1) | instskip(NEXT) | instid1(VALU_DEP_1)
	v_trunc_f32_e32 v3, v3
	v_mul_f32_e64 v4, 0x2f800000, |v3|
	s_delay_alu instid0(VALU_DEP_1) | instskip(NEXT) | instid1(VALU_DEP_1)
	v_floor_f32_e32 v4, v4
	v_fma_f32 v4, 0xcf800000, v4, |v3|
	v_ashrrev_i32_e32 v3, 31, v3
	s_delay_alu instid0(VALU_DEP_2) | instskip(NEXT) | instid1(VALU_DEP_1)
	v_cvt_u32_f32_e32 v4, v4
	v_xor_b32_e32 v4, v4, v3
	s_delay_alu instid0(VALU_DEP_1)
	v_sub_nc_u32_e32 v3, v4, v3
	s_branch .LBB167_938
.LBB167_928:
	s_mov_b32 s50, 0
	s_mov_b32 s2, s43
	;; [unrolled: 1-line block ×3, first 2 shown]
	s_branch .LBB167_1097
.LBB167_929:
	s_mov_b32 s48, -1
	s_mov_b32 s47, s44
                                        ; implicit-def: $vgpr3
	s_branch .LBB167_999
.LBB167_930:
	s_mov_b32 s48, -1
	s_mov_b32 s47, s44
                                        ; implicit-def: $vgpr3
	s_branch .LBB167_965
.LBB167_931:
	s_mov_b32 s48, -1
	s_mov_b32 s47, s44
                                        ; implicit-def: $vgpr3
	s_branch .LBB167_948
.LBB167_932:
	s_mov_b32 s48, -1
	s_mov_b32 s47, s44
                                        ; implicit-def: $vgpr3
	s_branch .LBB167_943
.LBB167_933:
	s_mov_b32 s48, -1
	s_mov_b32 s47, s44
	s_branch .LBB167_937
.LBB167_934:
	s_or_saveexec_b32 s46, s46
                                        ; implicit-def: $sgpr47
	s_delay_alu instid0(SALU_CYCLE_1)
	s_xor_b32 exec_lo, exec_lo, s46
	s_cbranch_execz .LBB167_765
.LBB167_935:
	v_add_f32_e64 v5, 0x42800000, |v4|
	s_and_not1_b32 s44, s44, exec_lo
	s_mov_b32 s47, 0
	s_delay_alu instid0(VALU_DEP_1) | instskip(NEXT) | instid1(VALU_DEP_1)
	v_and_b32_e32 v5, 0xff, v5
	v_cmp_ne_u32_e32 vcc_lo, 0, v5
	s_and_b32 s48, vcc_lo, exec_lo
	s_delay_alu instid0(SALU_CYCLE_1)
	s_or_b32 s44, s44, s48
	s_or_b32 exec_lo, exec_lo, s46
	v_mov_b32_e32 v6, s47
	s_and_saveexec_b32 s46, s44
	s_cbranch_execnz .LBB167_766
	s_branch .LBB167_767
.LBB167_936:
	s_mov_b32 s47, -1
.LBB167_937:
                                        ; implicit-def: $vgpr3
.LBB167_938:
	s_and_b32 vcc_lo, exec_lo, s48
	s_cbranch_vccz .LBB167_942
; %bb.939:
	v_cmp_eq_u16_e32 vcc_lo, 44, v6
	s_cbranch_vccz .LBB167_941
; %bb.940:
	global_load_u8 v3, v[1:2], off
	s_mov_b32 s47, 0
	s_mov_b32 s2, -1
	s_waitcnt vmcnt(0)
	v_lshlrev_b32_e32 v4, 23, v3
	v_cmp_ne_u32_e32 vcc_lo, 0, v3
	s_delay_alu instid0(VALU_DEP_2) | instskip(NEXT) | instid1(VALU_DEP_1)
	v_trunc_f32_e32 v4, v4
	v_mul_f32_e64 v8, 0x2f800000, |v4|
	s_delay_alu instid0(VALU_DEP_1) | instskip(NEXT) | instid1(VALU_DEP_1)
	v_floor_f32_e32 v8, v8
	v_fma_f32 v8, 0xcf800000, v8, |v4|
	v_ashrrev_i32_e32 v4, 31, v4
	s_delay_alu instid0(VALU_DEP_2) | instskip(NEXT) | instid1(VALU_DEP_1)
	v_cvt_u32_f32_e32 v8, v8
	v_xor_b32_e32 v8, v8, v4
	s_delay_alu instid0(VALU_DEP_1) | instskip(NEXT) | instid1(VALU_DEP_1)
	v_sub_nc_u32_e32 v4, v8, v4
	v_cndmask_b32_e32 v3, 0, v4, vcc_lo
	s_branch .LBB167_942
.LBB167_941:
	s_mov_b32 s47, -1
                                        ; implicit-def: $vgpr3
.LBB167_942:
	s_mov_b32 s48, 0
.LBB167_943:
	s_delay_alu instid0(SALU_CYCLE_1)
	s_and_b32 vcc_lo, exec_lo, s48
	s_cbranch_vccz .LBB167_947
; %bb.944:
	v_cmp_eq_u16_e32 vcc_lo, 29, v6
	s_cbranch_vccz .LBB167_946
; %bb.945:
	global_load_b64 v[3:4], v[1:2], off
	s_mov_b32 s2, -1
	s_mov_b32 s47, 0
	s_branch .LBB167_947
.LBB167_946:
	s_mov_b32 s47, -1
                                        ; implicit-def: $vgpr3
.LBB167_947:
	s_mov_b32 s48, 0
.LBB167_948:
	s_delay_alu instid0(SALU_CYCLE_1)
	s_and_b32 vcc_lo, exec_lo, s48
	s_cbranch_vccz .LBB167_964
; %bb.949:
	v_cmp_gt_i16_e32 vcc_lo, 27, v6
	s_cbranch_vccnz .LBB167_952
; %bb.950:
	v_cmp_lt_i16_e32 vcc_lo, 27, v6
	s_cbranch_vccz .LBB167_953
; %bb.951:
	global_load_b32 v3, v[1:2], off
	s_mov_b32 s2, 0
	s_branch .LBB167_954
.LBB167_952:
	s_mov_b32 s2, -1
                                        ; implicit-def: $vgpr3
	s_branch .LBB167_957
.LBB167_953:
	s_mov_b32 s2, -1
                                        ; implicit-def: $vgpr3
.LBB167_954:
	s_delay_alu instid0(SALU_CYCLE_1)
	s_and_not1_b32 vcc_lo, exec_lo, s2
	s_cbranch_vccnz .LBB167_956
; %bb.955:
	global_load_u16 v3, v[1:2], off
.LBB167_956:
	s_mov_b32 s2, 0
.LBB167_957:
	s_delay_alu instid0(SALU_CYCLE_1)
	s_and_not1_b32 vcc_lo, exec_lo, s2
	s_cbranch_vccnz .LBB167_963
; %bb.958:
	global_load_u8 v4, v[1:2], off
	s_mov_b32 s48, 0
	s_mov_b32 s2, exec_lo
                                        ; implicit-def: $sgpr49
	s_waitcnt vmcnt(0)
	v_cmpx_lt_i16_e32 0x7f, v4
	s_xor_b32 s2, exec_lo, s2
	s_cbranch_execz .LBB167_975
; %bb.959:
	v_cmp_ne_u16_e32 vcc_lo, 0x80, v4
	s_mov_b32 s49, 0
	s_and_b32 s48, vcc_lo, exec_lo
	s_or_saveexec_b32 s2, s2
	v_mov_b32_e32 v3, s49
	s_xor_b32 exec_lo, exec_lo, s2
	s_cbranch_execnz .LBB167_976
.LBB167_960:
	s_or_b32 exec_lo, exec_lo, s2
	s_and_saveexec_b32 s2, s48
	s_cbranch_execz .LBB167_962
.LBB167_961:
	v_and_b32_e32 v3, 0xffff, v4
	v_lshlrev_b32_e32 v4, 24, v4
	s_delay_alu instid0(VALU_DEP_2) | instskip(NEXT) | instid1(VALU_DEP_2)
	v_and_b32_e32 v8, 7, v3
	v_and_b32_e32 v4, 0x80000000, v4
	s_delay_alu instid0(VALU_DEP_2) | instskip(NEXT) | instid1(VALU_DEP_1)
	v_clz_i32_u32_e32 v9, v8
	v_min_u32_e32 v9, 32, v9
	s_delay_alu instid0(VALU_DEP_1) | instskip(SKIP_1) | instid1(VALU_DEP_2)
	v_subrev_nc_u32_e32 v10, 28, v9
	v_sub_nc_u32_e32 v9, 29, v9
	v_lshlrev_b32_e32 v10, v10, v3
	v_bfe_u32 v3, v3, 3, 4
	s_delay_alu instid0(VALU_DEP_2) | instskip(NEXT) | instid1(VALU_DEP_2)
	v_and_b32_e32 v10, 7, v10
	v_cmp_eq_u32_e32 vcc_lo, 0, v3
	s_delay_alu instid0(VALU_DEP_2) | instskip(NEXT) | instid1(VALU_DEP_1)
	v_dual_cndmask_b32 v3, v3, v9 :: v_dual_cndmask_b32 v8, v8, v10
	v_lshl_add_u32 v3, v3, 23, 0x3b800000
	s_delay_alu instid0(VALU_DEP_2) | instskip(NEXT) | instid1(VALU_DEP_1)
	v_lshlrev_b32_e32 v8, 20, v8
	v_or3_b32 v3, v4, v3, v8
	s_delay_alu instid0(VALU_DEP_1) | instskip(NEXT) | instid1(VALU_DEP_1)
	v_trunc_f32_e32 v3, v3
	v_mul_f32_e64 v4, 0x2f800000, |v3|
	s_delay_alu instid0(VALU_DEP_1) | instskip(NEXT) | instid1(VALU_DEP_1)
	v_floor_f32_e32 v4, v4
	v_fma_f32 v4, 0xcf800000, v4, |v3|
	v_ashrrev_i32_e32 v3, 31, v3
	s_delay_alu instid0(VALU_DEP_2) | instskip(NEXT) | instid1(VALU_DEP_1)
	v_cvt_u32_f32_e32 v4, v4
	v_xor_b32_e32 v4, v4, v3
	s_delay_alu instid0(VALU_DEP_1)
	v_sub_nc_u32_e32 v3, v4, v3
.LBB167_962:
	s_or_b32 exec_lo, exec_lo, s2
.LBB167_963:
	s_mov_b32 s2, -1
.LBB167_964:
	s_mov_b32 s48, 0
.LBB167_965:
	s_delay_alu instid0(SALU_CYCLE_1)
	s_and_b32 vcc_lo, exec_lo, s48
	s_cbranch_vccz .LBB167_998
; %bb.966:
	v_cmp_lt_i16_e32 vcc_lo, 22, v6
	s_cbranch_vccz .LBB167_974
; %bb.967:
	v_cmp_gt_i16_e32 vcc_lo, 24, v6
	s_cbranch_vccnz .LBB167_977
; %bb.968:
	v_cmp_lt_i16_e32 vcc_lo, 24, v6
	s_cbranch_vccz .LBB167_978
; %bb.969:
	global_load_u8 v4, v[1:2], off
	s_mov_b32 s48, 0
	s_mov_b32 s2, exec_lo
                                        ; implicit-def: $sgpr49
	s_waitcnt vmcnt(0)
	v_cmpx_lt_i16_e32 0x7f, v4
	s_xor_b32 s2, exec_lo, s2
	s_cbranch_execz .LBB167_990
; %bb.970:
	v_cmp_ne_u16_e32 vcc_lo, 0x80, v4
	s_mov_b32 s49, 0
	s_and_b32 s48, vcc_lo, exec_lo
	s_or_saveexec_b32 s2, s2
	v_mov_b32_e32 v3, s49
	s_xor_b32 exec_lo, exec_lo, s2
	s_cbranch_execnz .LBB167_991
.LBB167_971:
	s_or_b32 exec_lo, exec_lo, s2
	s_and_saveexec_b32 s2, s48
	s_cbranch_execz .LBB167_973
.LBB167_972:
	v_and_b32_e32 v3, 0xffff, v4
	v_lshlrev_b32_e32 v4, 24, v4
	s_delay_alu instid0(VALU_DEP_2) | instskip(NEXT) | instid1(VALU_DEP_2)
	v_and_b32_e32 v8, 3, v3
	v_and_b32_e32 v4, 0x80000000, v4
	s_delay_alu instid0(VALU_DEP_2) | instskip(NEXT) | instid1(VALU_DEP_1)
	v_clz_i32_u32_e32 v9, v8
	v_min_u32_e32 v9, 32, v9
	s_delay_alu instid0(VALU_DEP_1) | instskip(SKIP_1) | instid1(VALU_DEP_2)
	v_subrev_nc_u32_e32 v10, 29, v9
	v_sub_nc_u32_e32 v9, 30, v9
	v_lshlrev_b32_e32 v10, v10, v3
	v_bfe_u32 v3, v3, 2, 5
	s_delay_alu instid0(VALU_DEP_2) | instskip(NEXT) | instid1(VALU_DEP_2)
	v_and_b32_e32 v10, 3, v10
	v_cmp_eq_u32_e32 vcc_lo, 0, v3
	s_delay_alu instid0(VALU_DEP_2) | instskip(NEXT) | instid1(VALU_DEP_1)
	v_dual_cndmask_b32 v3, v3, v9 :: v_dual_cndmask_b32 v8, v8, v10
	v_lshl_add_u32 v3, v3, 23, 0x37800000
	s_delay_alu instid0(VALU_DEP_2) | instskip(NEXT) | instid1(VALU_DEP_1)
	v_lshlrev_b32_e32 v8, 21, v8
	v_or3_b32 v3, v4, v3, v8
	s_delay_alu instid0(VALU_DEP_1) | instskip(NEXT) | instid1(VALU_DEP_1)
	v_trunc_f32_e32 v3, v3
	v_mul_f32_e64 v4, 0x2f800000, |v3|
	s_delay_alu instid0(VALU_DEP_1) | instskip(NEXT) | instid1(VALU_DEP_1)
	v_floor_f32_e32 v4, v4
	v_fma_f32 v4, 0xcf800000, v4, |v3|
	v_ashrrev_i32_e32 v3, 31, v3
	s_delay_alu instid0(VALU_DEP_2) | instskip(NEXT) | instid1(VALU_DEP_1)
	v_cvt_u32_f32_e32 v4, v4
	v_xor_b32_e32 v4, v4, v3
	s_delay_alu instid0(VALU_DEP_1)
	v_sub_nc_u32_e32 v3, v4, v3
.LBB167_973:
	s_or_b32 exec_lo, exec_lo, s2
	s_mov_b32 s2, 0
	s_branch .LBB167_979
.LBB167_974:
	s_mov_b32 s48, -1
                                        ; implicit-def: $vgpr3
	s_branch .LBB167_985
.LBB167_975:
	s_or_saveexec_b32 s2, s2
	v_mov_b32_e32 v3, s49
	s_xor_b32 exec_lo, exec_lo, s2
	s_cbranch_execz .LBB167_960
.LBB167_976:
	v_cmp_ne_u16_e32 vcc_lo, 0, v4
	v_mov_b32_e32 v3, 0
	s_and_not1_b32 s48, s48, exec_lo
	s_and_b32 s49, vcc_lo, exec_lo
	s_delay_alu instid0(SALU_CYCLE_1)
	s_or_b32 s48, s48, s49
	s_or_b32 exec_lo, exec_lo, s2
	s_and_saveexec_b32 s2, s48
	s_cbranch_execnz .LBB167_961
	s_branch .LBB167_962
.LBB167_977:
	s_mov_b32 s2, -1
                                        ; implicit-def: $vgpr3
	s_branch .LBB167_982
.LBB167_978:
	s_mov_b32 s2, -1
                                        ; implicit-def: $vgpr3
.LBB167_979:
	s_delay_alu instid0(SALU_CYCLE_1)
	s_and_b32 vcc_lo, exec_lo, s2
	s_cbranch_vccz .LBB167_981
; %bb.980:
	global_load_u8 v3, v[1:2], off
	s_waitcnt vmcnt(0)
	v_lshlrev_b32_e32 v3, 24, v3
	s_delay_alu instid0(VALU_DEP_1) | instskip(NEXT) | instid1(VALU_DEP_1)
	v_and_b32_e32 v4, 0x7f000000, v3
	v_clz_i32_u32_e32 v8, v4
	v_add_nc_u32_e32 v10, 0x1000000, v4
	v_cmp_ne_u32_e32 vcc_lo, 0, v4
	s_delay_alu instid0(VALU_DEP_3) | instskip(NEXT) | instid1(VALU_DEP_1)
	v_min_u32_e32 v8, 32, v8
	v_sub_nc_u32_e64 v8, v8, 4 clamp
	s_delay_alu instid0(VALU_DEP_1) | instskip(SKIP_1) | instid1(VALU_DEP_2)
	v_lshlrev_b32_e32 v9, v8, v4
	v_lshlrev_b32_e32 v8, 23, v8
	v_lshrrev_b32_e32 v9, 4, v9
	s_delay_alu instid0(VALU_DEP_1) | instskip(SKIP_1) | instid1(VALU_DEP_2)
	v_sub_nc_u32_e32 v8, v9, v8
	v_ashrrev_i32_e32 v9, 8, v10
	v_add_nc_u32_e32 v8, 0x3c000000, v8
	s_delay_alu instid0(VALU_DEP_1) | instskip(NEXT) | instid1(VALU_DEP_1)
	v_and_or_b32 v8, 0x7f800000, v9, v8
	v_cndmask_b32_e32 v4, 0, v8, vcc_lo
	s_delay_alu instid0(VALU_DEP_1) | instskip(NEXT) | instid1(VALU_DEP_1)
	v_and_or_b32 v3, 0x80000000, v3, v4
	v_trunc_f32_e32 v3, v3
	s_delay_alu instid0(VALU_DEP_1) | instskip(NEXT) | instid1(VALU_DEP_1)
	v_mul_f32_e64 v4, 0x2f800000, |v3|
	v_floor_f32_e32 v4, v4
	s_delay_alu instid0(VALU_DEP_1) | instskip(SKIP_1) | instid1(VALU_DEP_2)
	v_fma_f32 v4, 0xcf800000, v4, |v3|
	v_ashrrev_i32_e32 v3, 31, v3
	v_cvt_u32_f32_e32 v4, v4
	s_delay_alu instid0(VALU_DEP_1) | instskip(NEXT) | instid1(VALU_DEP_1)
	v_xor_b32_e32 v4, v4, v3
	v_sub_nc_u32_e32 v3, v4, v3
.LBB167_981:
	s_mov_b32 s2, 0
.LBB167_982:
	s_delay_alu instid0(SALU_CYCLE_1)
	s_and_not1_b32 vcc_lo, exec_lo, s2
	s_cbranch_vccnz .LBB167_984
; %bb.983:
	global_load_u8 v3, v[1:2], off
	s_waitcnt vmcnt(0)
	v_lshlrev_b32_e32 v4, 25, v3
	v_lshlrev_b16 v3, 8, v3
	s_delay_alu instid0(VALU_DEP_1) | instskip(SKIP_1) | instid1(VALU_DEP_2)
	v_and_or_b32 v9, 0x7f00, v3, 0.5
	v_bfe_i32 v3, v3, 0, 16
	v_add_f32_e32 v9, -0.5, v9
	v_lshrrev_b32_e32 v8, 4, v4
	v_cmp_gt_u32_e32 vcc_lo, 0x8000000, v4
	s_delay_alu instid0(VALU_DEP_2) | instskip(NEXT) | instid1(VALU_DEP_1)
	v_or_b32_e32 v8, 0x70000000, v8
	v_mul_f32_e32 v8, 0x7800000, v8
	s_delay_alu instid0(VALU_DEP_1) | instskip(NEXT) | instid1(VALU_DEP_1)
	v_cndmask_b32_e32 v4, v8, v9, vcc_lo
	v_and_or_b32 v3, 0x80000000, v3, v4
	s_delay_alu instid0(VALU_DEP_1) | instskip(NEXT) | instid1(VALU_DEP_1)
	v_trunc_f32_e32 v3, v3
	v_mul_f32_e64 v4, 0x2f800000, |v3|
	s_delay_alu instid0(VALU_DEP_1) | instskip(NEXT) | instid1(VALU_DEP_1)
	v_floor_f32_e32 v4, v4
	v_fma_f32 v4, 0xcf800000, v4, |v3|
	v_ashrrev_i32_e32 v3, 31, v3
	s_delay_alu instid0(VALU_DEP_2) | instskip(NEXT) | instid1(VALU_DEP_1)
	v_cvt_u32_f32_e32 v4, v4
	v_xor_b32_e32 v4, v4, v3
	s_delay_alu instid0(VALU_DEP_1)
	v_sub_nc_u32_e32 v3, v4, v3
.LBB167_984:
	s_mov_b32 s48, 0
	s_mov_b32 s2, -1
.LBB167_985:
	s_and_not1_b32 vcc_lo, exec_lo, s48
	s_cbranch_vccnz .LBB167_998
; %bb.986:
	v_cmp_lt_i16_e32 vcc_lo, 14, v6
	s_cbranch_vccz .LBB167_989
; %bb.987:
	v_cmp_eq_u16_e32 vcc_lo, 15, v6
	s_cbranch_vccz .LBB167_992
; %bb.988:
	global_load_u16 v3, v[1:2], off
	s_mov_b32 s2, -1
	s_mov_b32 s47, 0
	s_waitcnt vmcnt(0)
	v_lshlrev_b32_e32 v3, 16, v3
	s_delay_alu instid0(VALU_DEP_1) | instskip(NEXT) | instid1(VALU_DEP_1)
	v_trunc_f32_e32 v3, v3
	v_mul_f32_e64 v4, 0x2f800000, |v3|
	s_delay_alu instid0(VALU_DEP_1) | instskip(NEXT) | instid1(VALU_DEP_1)
	v_floor_f32_e32 v4, v4
	v_fma_f32 v4, 0xcf800000, v4, |v3|
	v_ashrrev_i32_e32 v3, 31, v3
	s_delay_alu instid0(VALU_DEP_2) | instskip(NEXT) | instid1(VALU_DEP_1)
	v_cvt_u32_f32_e32 v4, v4
	v_xor_b32_e32 v4, v4, v3
	s_delay_alu instid0(VALU_DEP_1)
	v_sub_nc_u32_e32 v3, v4, v3
	s_branch .LBB167_993
.LBB167_989:
	s_mov_b32 s48, -1
                                        ; implicit-def: $vgpr3
	s_branch .LBB167_994
.LBB167_990:
	s_or_saveexec_b32 s2, s2
	v_mov_b32_e32 v3, s49
	s_xor_b32 exec_lo, exec_lo, s2
	s_cbranch_execz .LBB167_971
.LBB167_991:
	v_cmp_ne_u16_e32 vcc_lo, 0, v4
	v_mov_b32_e32 v3, 0
	s_and_not1_b32 s48, s48, exec_lo
	s_and_b32 s49, vcc_lo, exec_lo
	s_delay_alu instid0(SALU_CYCLE_1)
	s_or_b32 s48, s48, s49
	s_or_b32 exec_lo, exec_lo, s2
	s_and_saveexec_b32 s2, s48
	s_cbranch_execnz .LBB167_972
	s_branch .LBB167_973
.LBB167_992:
	s_mov_b32 s47, -1
                                        ; implicit-def: $vgpr3
.LBB167_993:
	s_mov_b32 s48, 0
.LBB167_994:
	s_delay_alu instid0(SALU_CYCLE_1)
	s_and_b32 vcc_lo, exec_lo, s48
	s_cbranch_vccz .LBB167_998
; %bb.995:
	v_cmp_eq_u16_e32 vcc_lo, 11, v6
	s_cbranch_vccz .LBB167_997
; %bb.996:
	global_load_u8 v3, v[1:2], off
	s_mov_b32 s47, 0
	s_mov_b32 s2, -1
	s_waitcnt vmcnt(0)
	v_cmp_ne_u16_e32 vcc_lo, 0, v3
	v_cndmask_b32_e64 v3, 0, 1, vcc_lo
	s_branch .LBB167_998
.LBB167_997:
	s_mov_b32 s47, -1
                                        ; implicit-def: $vgpr3
.LBB167_998:
	s_mov_b32 s48, 0
.LBB167_999:
	s_delay_alu instid0(SALU_CYCLE_1)
	s_and_b32 vcc_lo, exec_lo, s48
	s_cbranch_vccz .LBB167_1048
; %bb.1000:
	v_cmp_gt_i16_e32 vcc_lo, 5, v6
	s_cbranch_vccnz .LBB167_1005
; %bb.1001:
	v_cmp_gt_i16_e32 vcc_lo, 8, v6
	s_cbranch_vccnz .LBB167_1006
	;; [unrolled: 3-line block ×3, first 2 shown]
; %bb.1003:
	v_cmp_lt_i16_e32 vcc_lo, 9, v6
	s_cbranch_vccz .LBB167_1008
; %bb.1004:
	global_load_b64 v[3:4], v[1:2], off
	s_mov_b32 s2, 0
	s_waitcnt vmcnt(0)
	v_trunc_f64_e32 v[3:4], v[3:4]
	s_delay_alu instid0(VALU_DEP_1) | instskip(NEXT) | instid1(VALU_DEP_1)
	v_ldexp_f64 v[8:9], v[3:4], 0xffffffe0
	v_floor_f64_e32 v[8:9], v[8:9]
	s_delay_alu instid0(VALU_DEP_1) | instskip(NEXT) | instid1(VALU_DEP_1)
	v_fma_f64 v[3:4], 0xc1f00000, v[8:9], v[3:4]
	v_cvt_u32_f64_e32 v3, v[3:4]
	s_branch .LBB167_1009
.LBB167_1005:
	s_mov_b32 s2, -1
                                        ; implicit-def: $vgpr3
	s_branch .LBB167_1027
.LBB167_1006:
	s_mov_b32 s2, -1
                                        ; implicit-def: $vgpr3
	s_branch .LBB167_1015
.LBB167_1007:
	s_mov_b32 s2, -1
                                        ; implicit-def: $vgpr3
	s_branch .LBB167_1012
.LBB167_1008:
	s_mov_b32 s2, -1
                                        ; implicit-def: $vgpr3
.LBB167_1009:
	s_delay_alu instid0(SALU_CYCLE_1)
	s_and_not1_b32 vcc_lo, exec_lo, s2
	s_cbranch_vccnz .LBB167_1011
; %bb.1010:
	global_load_b32 v3, v[1:2], off
	s_waitcnt vmcnt(0)
	v_trunc_f32_e32 v3, v3
	s_delay_alu instid0(VALU_DEP_1) | instskip(NEXT) | instid1(VALU_DEP_1)
	v_mul_f32_e64 v4, 0x2f800000, |v3|
	v_floor_f32_e32 v4, v4
	s_delay_alu instid0(VALU_DEP_1) | instskip(SKIP_1) | instid1(VALU_DEP_2)
	v_fma_f32 v4, 0xcf800000, v4, |v3|
	v_ashrrev_i32_e32 v3, 31, v3
	v_cvt_u32_f32_e32 v4, v4
	s_delay_alu instid0(VALU_DEP_1) | instskip(NEXT) | instid1(VALU_DEP_1)
	v_xor_b32_e32 v4, v4, v3
	v_sub_nc_u32_e32 v3, v4, v3
.LBB167_1011:
	s_mov_b32 s2, 0
.LBB167_1012:
	s_delay_alu instid0(SALU_CYCLE_1)
	s_and_not1_b32 vcc_lo, exec_lo, s2
	s_cbranch_vccnz .LBB167_1014
; %bb.1013:
	global_load_b32 v3, v[1:2], off
	s_waitcnt vmcnt(0)
	v_cvt_f32_f16_e32 v3, v3
	s_delay_alu instid0(VALU_DEP_1)
	v_cvt_i32_f32_e32 v3, v3
.LBB167_1014:
	s_mov_b32 s2, 0
.LBB167_1015:
	s_delay_alu instid0(SALU_CYCLE_1)
	s_and_not1_b32 vcc_lo, exec_lo, s2
	s_cbranch_vccnz .LBB167_1026
; %bb.1016:
	v_cmp_gt_i16_e32 vcc_lo, 6, v6
	s_cbranch_vccnz .LBB167_1019
; %bb.1017:
	v_cmp_lt_i16_e32 vcc_lo, 6, v6
	s_cbranch_vccz .LBB167_1020
; %bb.1018:
	global_load_b64 v[3:4], v[1:2], off
	s_mov_b32 s2, 0
	s_waitcnt vmcnt(0)
	v_trunc_f64_e32 v[3:4], v[3:4]
	s_delay_alu instid0(VALU_DEP_1) | instskip(NEXT) | instid1(VALU_DEP_1)
	v_ldexp_f64 v[8:9], v[3:4], 0xffffffe0
	v_floor_f64_e32 v[8:9], v[8:9]
	s_delay_alu instid0(VALU_DEP_1) | instskip(NEXT) | instid1(VALU_DEP_1)
	v_fma_f64 v[3:4], 0xc1f00000, v[8:9], v[3:4]
	v_cvt_u32_f64_e32 v3, v[3:4]
	s_branch .LBB167_1021
.LBB167_1019:
	s_mov_b32 s2, -1
                                        ; implicit-def: $vgpr3
	s_branch .LBB167_1024
.LBB167_1020:
	s_mov_b32 s2, -1
                                        ; implicit-def: $vgpr3
.LBB167_1021:
	s_delay_alu instid0(SALU_CYCLE_1)
	s_and_not1_b32 vcc_lo, exec_lo, s2
	s_cbranch_vccnz .LBB167_1023
; %bb.1022:
	global_load_b32 v3, v[1:2], off
	s_waitcnt vmcnt(0)
	v_trunc_f32_e32 v3, v3
	s_delay_alu instid0(VALU_DEP_1) | instskip(NEXT) | instid1(VALU_DEP_1)
	v_mul_f32_e64 v4, 0x2f800000, |v3|
	v_floor_f32_e32 v4, v4
	s_delay_alu instid0(VALU_DEP_1) | instskip(SKIP_1) | instid1(VALU_DEP_2)
	v_fma_f32 v4, 0xcf800000, v4, |v3|
	v_ashrrev_i32_e32 v3, 31, v3
	v_cvt_u32_f32_e32 v4, v4
	s_delay_alu instid0(VALU_DEP_1) | instskip(NEXT) | instid1(VALU_DEP_1)
	v_xor_b32_e32 v4, v4, v3
	v_sub_nc_u32_e32 v3, v4, v3
.LBB167_1023:
	s_mov_b32 s2, 0
.LBB167_1024:
	s_delay_alu instid0(SALU_CYCLE_1)
	s_and_not1_b32 vcc_lo, exec_lo, s2
	s_cbranch_vccnz .LBB167_1026
; %bb.1025:
	global_load_u16 v3, v[1:2], off
	s_waitcnt vmcnt(0)
	v_cvt_f32_f16_e32 v3, v3
	s_delay_alu instid0(VALU_DEP_1)
	v_cvt_i32_f32_e32 v3, v3
.LBB167_1026:
	s_mov_b32 s2, 0
.LBB167_1027:
	s_delay_alu instid0(SALU_CYCLE_1)
	s_and_not1_b32 vcc_lo, exec_lo, s2
	s_cbranch_vccnz .LBB167_1047
; %bb.1028:
	v_cmp_gt_i16_e32 vcc_lo, 2, v6
	s_cbranch_vccnz .LBB167_1032
; %bb.1029:
	v_cmp_gt_i16_e32 vcc_lo, 3, v6
	s_cbranch_vccnz .LBB167_1033
; %bb.1030:
	v_cmp_lt_i16_e32 vcc_lo, 3, v6
	s_cbranch_vccz .LBB167_1034
; %bb.1031:
	global_load_b64 v[3:4], v[1:2], off
	s_mov_b32 s2, 0
	s_branch .LBB167_1035
.LBB167_1032:
	s_mov_b32 s2, -1
                                        ; implicit-def: $vgpr3
	s_branch .LBB167_1041
.LBB167_1033:
	s_mov_b32 s2, -1
                                        ; implicit-def: $vgpr3
	s_branch .LBB167_1038
.LBB167_1034:
	s_mov_b32 s2, -1
                                        ; implicit-def: $vgpr3
.LBB167_1035:
	s_delay_alu instid0(SALU_CYCLE_1)
	s_and_not1_b32 vcc_lo, exec_lo, s2
	s_cbranch_vccnz .LBB167_1037
; %bb.1036:
	global_load_b32 v3, v[1:2], off
.LBB167_1037:
	s_mov_b32 s2, 0
.LBB167_1038:
	s_delay_alu instid0(SALU_CYCLE_1)
	s_and_not1_b32 vcc_lo, exec_lo, s2
	s_cbranch_vccnz .LBB167_1040
; %bb.1039:
	global_load_u16 v3, v[1:2], off
.LBB167_1040:
	s_mov_b32 s2, 0
.LBB167_1041:
	s_delay_alu instid0(SALU_CYCLE_1)
	s_and_not1_b32 vcc_lo, exec_lo, s2
	s_cbranch_vccnz .LBB167_1047
; %bb.1042:
	v_cmp_lt_i16_e32 vcc_lo, 0, v6
	s_mov_b32 s2, 0
	s_cbranch_vccz .LBB167_1044
; %bb.1043:
	global_load_u8 v3, v[1:2], off
	s_branch .LBB167_1045
.LBB167_1044:
	s_mov_b32 s2, -1
                                        ; implicit-def: $vgpr3
.LBB167_1045:
	s_delay_alu instid0(SALU_CYCLE_1)
	s_and_not1_b32 vcc_lo, exec_lo, s2
	s_cbranch_vccnz .LBB167_1047
; %bb.1046:
	global_load_u8 v3, v[1:2], off
.LBB167_1047:
	s_mov_b32 s2, -1
.LBB167_1048:
	s_delay_alu instid0(SALU_CYCLE_1)
	s_and_not1_b32 vcc_lo, exec_lo, s2
	s_cbranch_vccnz .LBB167_1056
; %bb.1049:
	s_waitcnt vmcnt(0)
	s_delay_alu instid0(VALU_DEP_1) | instskip(SKIP_4) | instid1(VALU_DEP_3)
	v_cvt_f32_ubyte0_e32 v1, v3
	v_cvt_f32_f16_e32 v2, v5
	v_and_b32_e64 v3, 0xff, s11
	v_add_co_u32 v0, s2, s4, v0
	s_mov_b32 s48, 0
	v_mul_f32_e32 v2, v2, v1
	s_delay_alu instid0(VALU_DEP_3) | instskip(SKIP_2) | instid1(VALU_DEP_3)
	v_cmp_gt_i16_e32 vcc_lo, 11, v3
	v_add_co_ci_u32_e64 v1, null, s5, 0, s2
	s_mov_b32 s49, -1
	v_fma_mixlo_f16 v2, s10, v2, 0
	s_mov_b32 s2, s43
	s_cbranch_vccnz .LBB167_1057
; %bb.1050:
	v_cmp_lt_i16_e32 vcc_lo, 25, v3
	s_cbranch_vccz .LBB167_1120
; %bb.1051:
	v_cmp_lt_i16_e32 vcc_lo, 28, v3
	s_cbranch_vccz .LBB167_1122
	;; [unrolled: 3-line block ×4, first 2 shown]
; %bb.1054:
	v_cmp_eq_u16_e32 vcc_lo, 46, v3
	s_mov_b32 s49, 0
	s_mov_b32 s2, -1
	s_cbranch_vccz .LBB167_1127
; %bb.1055:
	v_cvt_f32_f16_e32 v4, v2
	v_cmp_o_f16_e32 vcc_lo, v2, v2
	s_mov_b32 s48, -1
	s_mov_b32 s2, 0
	s_delay_alu instid0(VALU_DEP_2) | instskip(NEXT) | instid1(VALU_DEP_1)
	v_bfe_u32 v5, v4, 16, 1
	v_add3_u32 v4, v4, v5, 0x7fff
	s_delay_alu instid0(VALU_DEP_1) | instskip(NEXT) | instid1(VALU_DEP_1)
	v_lshrrev_b32_e32 v4, 16, v4
	v_cndmask_b32_e32 v4, 0x7fc0, v4, vcc_lo
	global_store_b32 v[0:1], v4, off
	s_branch .LBB167_1127
.LBB167_1056:
	s_mov_b32 s50, 0
	s_mov_b32 s2, s43
	s_branch .LBB167_1097
.LBB167_1057:
	s_and_b32 vcc_lo, exec_lo, s49
	s_cbranch_vccz .LBB167_1196
; %bb.1058:
	v_cmp_gt_i16_e32 vcc_lo, 5, v3
	s_mov_b32 s48, -1
	s_cbranch_vccnz .LBB167_1079
; %bb.1059:
	v_cmp_gt_i16_e32 vcc_lo, 8, v3
	s_cbranch_vccnz .LBB167_1069
; %bb.1060:
	v_cmp_gt_i16_e32 vcc_lo, 9, v3
	s_cbranch_vccnz .LBB167_1066
; %bb.1061:
	v_cmp_lt_i16_e32 vcc_lo, 9, v3
	s_cbranch_vccz .LBB167_1063
; %bb.1062:
	v_cvt_f32_f16_e32 v4, v2
	v_mov_b32_e32 v10, 0
	s_mov_b32 s48, 0
	s_delay_alu instid0(VALU_DEP_2) | instskip(NEXT) | instid1(VALU_DEP_2)
	v_cvt_f64_f32_e32 v[8:9], v4
	v_mov_b32_e32 v11, v10
	global_store_b128 v[0:1], v[8:11], off
.LBB167_1063:
	s_and_not1_b32 vcc_lo, exec_lo, s48
	s_cbranch_vccnz .LBB167_1065
; %bb.1064:
	v_cvt_f32_f16_e32 v4, v2
	v_mov_b32_e32 v5, 0
	global_store_b64 v[0:1], v[4:5], off
.LBB167_1065:
	s_mov_b32 s48, 0
.LBB167_1066:
	s_delay_alu instid0(SALU_CYCLE_1)
	s_and_not1_b32 vcc_lo, exec_lo, s48
	s_cbranch_vccnz .LBB167_1068
; %bb.1067:
	v_and_b32_e32 v4, 0xffff, v2
	global_store_b32 v[0:1], v4, off
.LBB167_1068:
	s_mov_b32 s48, 0
.LBB167_1069:
	s_delay_alu instid0(SALU_CYCLE_1)
	s_and_not1_b32 vcc_lo, exec_lo, s48
	s_cbranch_vccnz .LBB167_1078
; %bb.1070:
	v_cmp_gt_i16_e32 vcc_lo, 6, v3
	s_mov_b32 s48, -1
	s_cbranch_vccnz .LBB167_1076
; %bb.1071:
	v_cmp_lt_i16_e32 vcc_lo, 6, v3
	s_cbranch_vccz .LBB167_1073
; %bb.1072:
	v_cvt_f32_f16_e32 v4, v2
	s_mov_b32 s48, 0
	s_delay_alu instid0(VALU_DEP_1)
	v_cvt_f64_f32_e32 v[4:5], v4
	global_store_b64 v[0:1], v[4:5], off
.LBB167_1073:
	s_and_not1_b32 vcc_lo, exec_lo, s48
	s_cbranch_vccnz .LBB167_1075
; %bb.1074:
	v_cvt_f32_f16_e32 v4, v2
	global_store_b32 v[0:1], v4, off
.LBB167_1075:
	s_mov_b32 s48, 0
.LBB167_1076:
	s_delay_alu instid0(SALU_CYCLE_1)
	s_and_not1_b32 vcc_lo, exec_lo, s48
	s_cbranch_vccnz .LBB167_1078
; %bb.1077:
	global_store_b16 v[0:1], v2, off
.LBB167_1078:
	s_mov_b32 s48, 0
.LBB167_1079:
	s_delay_alu instid0(SALU_CYCLE_1)
	s_and_not1_b32 vcc_lo, exec_lo, s48
	s_cbranch_vccnz .LBB167_1095
; %bb.1080:
	v_cmp_gt_i16_e32 vcc_lo, 2, v3
	s_mov_b32 s48, -1
	s_cbranch_vccnz .LBB167_1090
; %bb.1081:
	v_cmp_gt_i16_e32 vcc_lo, 3, v3
	s_cbranch_vccnz .LBB167_1087
; %bb.1082:
	v_cmp_lt_i16_e32 vcc_lo, 3, v3
	s_cbranch_vccz .LBB167_1084
; %bb.1083:
	v_cvt_f32_f16_e32 v4, v2
	s_mov_b32 s48, 0
	s_delay_alu instid0(VALU_DEP_1) | instskip(NEXT) | instid1(VALU_DEP_1)
	v_cvt_i32_f32_e32 v4, v4
	v_ashrrev_i32_e32 v5, 31, v4
	global_store_b64 v[0:1], v[4:5], off
.LBB167_1084:
	s_and_not1_b32 vcc_lo, exec_lo, s48
	s_cbranch_vccnz .LBB167_1086
; %bb.1085:
	v_cvt_f32_f16_e32 v4, v2
	s_delay_alu instid0(VALU_DEP_1)
	v_cvt_i32_f32_e32 v4, v4
	global_store_b32 v[0:1], v4, off
.LBB167_1086:
	s_mov_b32 s48, 0
.LBB167_1087:
	s_delay_alu instid0(SALU_CYCLE_1)
	s_and_not1_b32 vcc_lo, exec_lo, s48
	s_cbranch_vccnz .LBB167_1089
; %bb.1088:
	v_cvt_i16_f16_e32 v4, v2
	global_store_b16 v[0:1], v4, off
.LBB167_1089:
	s_mov_b32 s48, 0
.LBB167_1090:
	s_delay_alu instid0(SALU_CYCLE_1)
	s_and_not1_b32 vcc_lo, exec_lo, s48
	s_cbranch_vccnz .LBB167_1095
; %bb.1091:
	v_cmp_lt_i16_e32 vcc_lo, 0, v3
	s_mov_b32 s48, -1
	s_cbranch_vccz .LBB167_1093
; %bb.1092:
	v_cvt_i16_f16_e32 v3, v2
	s_mov_b32 s48, 0
	global_store_b8 v[0:1], v3, off
.LBB167_1093:
	s_and_not1_b32 vcc_lo, exec_lo, s48
	s_cbranch_vccnz .LBB167_1095
; %bb.1094:
	v_cvt_f32_f16_e32 v2, v2
	s_delay_alu instid0(VALU_DEP_1)
	v_cvt_i32_f32_e32 v2, v2
	global_store_b8 v[0:1], v2, off
.LBB167_1095:
	s_branch .LBB167_1197
.LBB167_1096:
	s_mov_b32 s50, 0
.LBB167_1097:
                                        ; implicit-def: $vgpr7
.LBB167_1098:
	s_and_not1_b32 s48, s43, exec_lo
	s_and_b32 s2, s2, exec_lo
	s_and_b32 s47, s47, exec_lo
	s_or_b32 s48, s48, s2
	s_and_not1_b32 s2, s44, exec_lo
	s_and_not1_b32 s51, s42, exec_lo
	s_and_b32 s3, s3, exec_lo
	s_or_b32 s49, s2, s47
	s_or_b32 s47, s51, s3
	s_or_not1_b32 s51, s50, exec_lo
.LBB167_1099:
	s_or_b32 exec_lo, exec_lo, s46
	s_mov_b32 s2, 0
	s_mov_b32 s3, 0
	;; [unrolled: 1-line block ×3, first 2 shown]
                                        ; implicit-def: $vgpr4
                                        ; implicit-def: $vgpr2_vgpr3
                                        ; implicit-def: $vgpr0
                                        ; implicit-def: $vgpr1
                                        ; implicit-def: $vgpr6
	s_and_saveexec_b32 s46, s51
	s_cbranch_execz .LBB167_1267
; %bb.1100:
	v_cmp_gt_i32_e32 vcc_lo, s36, v7
	s_mov_b32 s52, s47
	s_mov_b32 s51, 0
                                        ; implicit-def: $vgpr4
                                        ; implicit-def: $vgpr2_vgpr3
                                        ; implicit-def: $vgpr0
                                        ; implicit-def: $vgpr1
                                        ; implicit-def: $vgpr6
	s_and_saveexec_b32 s36, vcc_lo
	s_cbranch_execz .LBB167_1266
; %bb.1101:
	s_and_not1_b32 vcc_lo, exec_lo, s29
	s_cbranch_vccnz .LBB167_1107
; %bb.1102:
	v_dual_mov_b32 v0, 0 :: v_dual_mov_b32 v1, 0
	v_mov_b32_e32 v2, 0
	s_and_not1_b32 vcc_lo, exec_lo, s37
	s_mov_b32 s37, 0
	s_cbranch_vccnz .LBB167_1108
; %bb.1103:
	s_add_i32 s2, s35, 1
	v_dual_mov_b32 v1, 0 :: v_dual_mov_b32 v2, 0
	s_waitcnt vmcnt(0)
	v_dual_mov_b32 v0, 0 :: v_dual_mov_b32 v3, v7
	s_and_b32 s50, s2, 30
	s_add_u32 s2, s20, 0xffffffec
	s_addc_u32 s3, s21, -1
	s_set_inst_prefetch_distance 0x1
	.p2align	6
.LBB167_1104:                           ; =>This Inner Loop Header: Depth=1
	s_clause 0x2
	s_load_b128 s[52:55], s[2:3], 0x18
	s_load_b64 s[60:61], s[2:3], 0x28
	s_load_b128 s[56:59], s[2:3], 0xd8
	s_waitcnt lgkmcnt(0)
	v_mul_hi_u32 v4, s53, v3
	s_delay_alu instid0(VALU_DEP_1) | instskip(NEXT) | instid1(VALU_DEP_1)
	v_add_nc_u32_e32 v4, v3, v4
	v_lshrrev_b32_e32 v4, s54, v4
	s_delay_alu instid0(VALU_DEP_1)
	v_mul_hi_u32 v5, s60, v4
	v_mul_lo_u32 v6, v4, s52
	s_load_b64 s[52:53], s[2:3], 0xe8
	s_add_u32 s2, s2, 24
	s_addc_u32 s3, s3, 0
	s_add_i32 s50, s50, -2
	s_delay_alu instid0(SALU_CYCLE_1) | instskip(NEXT) | instid1(VALU_DEP_2)
	s_cmp_eq_u32 s50, 0
	v_add_nc_u32_e32 v5, v4, v5
	s_delay_alu instid0(VALU_DEP_2) | instskip(NEXT) | instid1(VALU_DEP_2)
	v_sub_nc_u32_e32 v6, v3, v6
	v_lshrrev_b32_e32 v3, s61, v5
	s_delay_alu instid0(VALU_DEP_2) | instskip(NEXT) | instid1(VALU_DEP_2)
	v_mul_lo_u32 v8, v6, s56
	v_mul_lo_u32 v5, v3, s55
	s_delay_alu instid0(VALU_DEP_1) | instskip(SKIP_2) | instid1(VALU_DEP_3)
	v_sub_nc_u32_e32 v4, v4, v5
	v_mul_lo_u32 v5, v6, s57
	v_mul_lo_u32 v6, v6, s58
	;; [unrolled: 1-line block ×3, first 2 shown]
	s_waitcnt lgkmcnt(0)
	v_mul_lo_u32 v10, v4, s52
	v_mul_lo_u32 v4, v4, s53
	s_delay_alu instid0(VALU_DEP_3) | instskip(NEXT) | instid1(VALU_DEP_3)
	v_add3_u32 v0, v8, v0, v9
	v_add3_u32 v2, v5, v2, v10
	s_delay_alu instid0(VALU_DEP_3)
	v_add3_u32 v1, v6, v1, v4
	s_cbranch_scc0 .LBB167_1104
; %bb.1105:
	s_set_inst_prefetch_distance 0x2
	s_bitcmp1_b32 s35, 0
	s_cselect_b32 s35, -1, 0
	s_delay_alu instid0(SALU_CYCLE_1)
	s_and_b32 vcc_lo, exec_lo, s35
	s_cbranch_vccnz .LBB167_1108
; %bb.1106:
	s_clause 0x3
	s_load_b64 s[50:51], s[2:3], 0x18
	s_load_b32 s35, s[2:3], 0x20
	s_load_b64 s[52:53], s[2:3], 0xd8
	s_load_b32 s2, s[2:3], 0xe0
	s_waitcnt lgkmcnt(0)
	v_mul_hi_u32 v4, s51, v3
	s_delay_alu instid0(VALU_DEP_1) | instskip(NEXT) | instid1(VALU_DEP_1)
	v_add_nc_u32_e32 v4, v3, v4
	v_lshrrev_b32_e32 v4, s35, v4
	s_delay_alu instid0(VALU_DEP_1) | instskip(NEXT) | instid1(VALU_DEP_1)
	v_mul_lo_u32 v4, v4, s50
	v_sub_nc_u32_e32 v8, v3, v4
	s_delay_alu instid0(VALU_DEP_1) | instskip(NEXT) | instid1(VALU_DEP_1)
	v_mad_u64_u32 v[3:4], null, v8, s52, v[0:1]
	v_mad_u64_u32 v[4:5], null, v8, s53, v[2:3]
	;; [unrolled: 1-line block ×3, first 2 shown]
	v_mov_b32_e32 v0, v3
	s_delay_alu instid0(VALU_DEP_2)
	v_dual_mov_b32 v2, v4 :: v_dual_mov_b32 v1, v5
	s_branch .LBB167_1108
.LBB167_1107:
	s_mov_b32 s37, -1
                                        ; implicit-def: $vgpr0
                                        ; implicit-def: $vgpr2
                                        ; implicit-def: $vgpr1
.LBB167_1108:
	s_delay_alu instid0(SALU_CYCLE_1)
	s_and_not1_b32 vcc_lo, exec_lo, s37
	s_cbranch_vccnz .LBB167_1111
; %bb.1109:
	v_mul_hi_u32 v0, s17, v7
	s_and_not1_b32 vcc_lo, exec_lo, s34
	s_delay_alu instid0(VALU_DEP_1) | instskip(SKIP_1) | instid1(VALU_DEP_1)
	v_add_nc_u32_e32 v0, v7, v0
	s_waitcnt vmcnt(0)
	v_lshrrev_b32_e32 v3, s18, v0
	s_delay_alu instid0(VALU_DEP_1) | instskip(NEXT) | instid1(VALU_DEP_1)
	v_mul_lo_u32 v0, v3, s16
	v_sub_nc_u32_e32 v1, v7, v0
	s_delay_alu instid0(VALU_DEP_1)
	v_mul_lo_u32 v0, v1, s12
	v_mul_lo_u32 v2, v1, s13
	;; [unrolled: 1-line block ×3, first 2 shown]
	s_cbranch_vccnz .LBB167_1111
; %bb.1110:
	v_mul_hi_u32 v4, s24, v3
	s_delay_alu instid0(VALU_DEP_1) | instskip(NEXT) | instid1(VALU_DEP_1)
	v_add_nc_u32_e32 v4, v3, v4
	v_lshrrev_b32_e32 v4, s25, v4
	s_delay_alu instid0(VALU_DEP_1) | instskip(NEXT) | instid1(VALU_DEP_1)
	v_mul_lo_u32 v4, v4, s19
	v_sub_nc_u32_e32 v7, v3, v4
	s_delay_alu instid0(VALU_DEP_1) | instskip(NEXT) | instid1(VALU_DEP_1)
	v_mad_u64_u32 v[3:4], null, v7, s15, v[0:1]
	v_mad_u64_u32 v[4:5], null, v7, s22, v[2:3]
	;; [unrolled: 1-line block ×3, first 2 shown]
	v_mov_b32_e32 v0, v3
	s_delay_alu instid0(VALU_DEP_2)
	v_dual_mov_b32 v2, v4 :: v_dual_mov_b32 v1, v5
.LBB167_1111:
	s_waitcnt vmcnt(0)
	v_and_b32_e64 v4, 0xff, s33
	s_delay_alu instid0(VALU_DEP_2) | instskip(NEXT) | instid1(VALU_DEP_1)
	v_add_co_u32 v2, s2, s6, v2
	v_add_co_ci_u32_e64 v3, null, s7, 0, s2
	s_delay_alu instid0(VALU_DEP_3)
	v_cmp_gt_i16_e32 vcc_lo, 11, v4
	s_mov_b32 s6, 0
	s_cbranch_vccnz .LBB167_1118
; %bb.1112:
	v_cmp_lt_i16_e32 vcc_lo, 25, v4
	s_mov_b32 s3, 0
	s_cbranch_vccz .LBB167_1119
; %bb.1113:
	v_cmp_lt_i16_e32 vcc_lo, 28, v4
	s_cbranch_vccz .LBB167_1121
; %bb.1114:
	v_cmp_lt_i16_e32 vcc_lo, 43, v4
	;; [unrolled: 3-line block ×3, first 2 shown]
	s_cbranch_vccz .LBB167_1125
; %bb.1116:
	v_cmp_eq_u16_e32 vcc_lo, 46, v4
	s_mov_b32 s7, 0
	s_cbranch_vccz .LBB167_1198
; %bb.1117:
	global_load_b32 v5, v[2:3], off
	s_mov_b32 s2, 0
	s_mov_b32 s6, -1
	s_waitcnt vmcnt(0)
	v_lshlrev_b32_e32 v5, 16, v5
	s_delay_alu instid0(VALU_DEP_1)
	v_cvt_f16_f32_e32 v6, v5
	s_branch .LBB167_1200
.LBB167_1118:
	s_mov_b32 s7, -1
	s_mov_b32 s3, 0
	s_mov_b32 s2, s47
                                        ; implicit-def: $vgpr6
	s_branch .LBB167_1265
.LBB167_1119:
	s_mov_b32 s7, -1
	s_mov_b32 s2, s47
                                        ; implicit-def: $vgpr6
	s_branch .LBB167_1231
.LBB167_1120:
	s_mov_b32 s2, s43
	s_branch .LBB167_1154
.LBB167_1121:
	s_mov_b32 s7, -1
	s_mov_b32 s2, s47
                                        ; implicit-def: $vgpr6
	s_branch .LBB167_1212
.LBB167_1122:
	s_mov_b32 s2, s43
	s_branch .LBB167_1137
.LBB167_1123:
	s_mov_b32 s7, -1
	s_mov_b32 s2, s47
                                        ; implicit-def: $vgpr6
	s_branch .LBB167_1207
.LBB167_1124:
	s_mov_b32 s2, s43
	s_branch .LBB167_1133
.LBB167_1125:
	s_mov_b32 s7, -1
	s_mov_b32 s2, s47
	s_branch .LBB167_1199
.LBB167_1126:
	s_mov_b32 s2, s43
.LBB167_1127:
	s_and_b32 vcc_lo, exec_lo, s49
	s_cbranch_vccz .LBB167_1132
; %bb.1128:
	v_cmp_eq_u16_e32 vcc_lo, 44, v3
	s_mov_b32 s2, -1
	s_cbranch_vccz .LBB167_1132
; %bb.1129:
	v_cvt_f32_f16_e32 v4, v2
	v_mov_b32_e32 v5, 0xff
	s_mov_b32 s48, exec_lo
	s_delay_alu instid0(VALU_DEP_2) | instskip(NEXT) | instid1(VALU_DEP_1)
	v_bfe_u32 v6, v4, 23, 8
	v_cmpx_ne_u32_e32 0xff, v6
; %bb.1130:
	v_and_b32_e32 v5, 0x400000, v4
	v_and_or_b32 v6, 0x3fffff, v4, v6
	v_lshrrev_b32_e32 v4, 23, v4
	s_delay_alu instid0(VALU_DEP_3) | instskip(NEXT) | instid1(VALU_DEP_3)
	v_cmp_ne_u32_e32 vcc_lo, 0, v5
	v_cmp_ne_u32_e64 s2, 0, v6
	s_delay_alu instid0(VALU_DEP_1) | instskip(NEXT) | instid1(SALU_CYCLE_1)
	s_and_b32 s2, vcc_lo, s2
	v_cndmask_b32_e64 v5, 0, 1, s2
	s_delay_alu instid0(VALU_DEP_1)
	v_add_nc_u32_e32 v5, v4, v5
; %bb.1131:
	s_or_b32 exec_lo, exec_lo, s48
	s_mov_b32 s48, -1
	s_mov_b32 s2, 0
	global_store_b8 v[0:1], v5, off
.LBB167_1132:
	s_mov_b32 s49, 0
.LBB167_1133:
	s_delay_alu instid0(SALU_CYCLE_1)
	s_and_b32 vcc_lo, exec_lo, s49
	s_cbranch_vccz .LBB167_1136
; %bb.1134:
	v_cmp_eq_u16_e32 vcc_lo, 29, v3
	s_mov_b32 s2, -1
	s_cbranch_vccz .LBB167_1136
; %bb.1135:
	v_cvt_f32_f16_e32 v4, v2
	v_mov_b32_e32 v5, 0
	s_mov_b32 s2, 0
	s_mov_b32 s48, -1
	s_mov_b32 s49, 0
	v_cvt_u32_f32_e32 v4, v4
	global_store_b64 v[0:1], v[4:5], off
	s_branch .LBB167_1137
.LBB167_1136:
	s_mov_b32 s49, 0
.LBB167_1137:
	s_delay_alu instid0(SALU_CYCLE_1)
	s_and_b32 vcc_lo, exec_lo, s49
	s_cbranch_vccz .LBB167_1153
; %bb.1138:
	v_cmp_gt_i16_e32 vcc_lo, 27, v3
	s_mov_b32 s48, -1
	s_cbranch_vccnz .LBB167_1144
; %bb.1139:
	v_cmp_lt_i16_e32 vcc_lo, 27, v3
	s_cbranch_vccz .LBB167_1141
; %bb.1140:
	v_cvt_f32_f16_e32 v4, v2
	s_mov_b32 s48, 0
	s_delay_alu instid0(VALU_DEP_1)
	v_cvt_u32_f32_e32 v4, v4
	global_store_b32 v[0:1], v4, off
.LBB167_1141:
	s_and_not1_b32 vcc_lo, exec_lo, s48
	s_cbranch_vccnz .LBB167_1143
; %bb.1142:
	v_cvt_u16_f16_e32 v4, v2
	global_store_b16 v[0:1], v4, off
.LBB167_1143:
	s_mov_b32 s48, 0
.LBB167_1144:
	s_delay_alu instid0(SALU_CYCLE_1)
	s_and_not1_b32 vcc_lo, exec_lo, s48
	s_cbranch_vccnz .LBB167_1152
; %bb.1145:
	v_cvt_f32_f16_e32 v4, v2
	v_mov_b32_e32 v6, 0x80
	s_mov_b32 s48, exec_lo
	s_delay_alu instid0(VALU_DEP_2) | instskip(NEXT) | instid1(VALU_DEP_1)
	v_and_b32_e32 v5, 0x7fffffff, v4
	v_cmpx_gt_u32_e32 0x43800000, v5
	s_cbranch_execz .LBB167_1151
; %bb.1146:
	v_cmp_lt_u32_e32 vcc_lo, 0x3bffffff, v5
	s_mov_b32 s49, 0
                                        ; implicit-def: $vgpr5
	s_and_saveexec_b32 s50, vcc_lo
	s_delay_alu instid0(SALU_CYCLE_1)
	s_xor_b32 s50, exec_lo, s50
	s_cbranch_execz .LBB167_1203
; %bb.1147:
	v_bfe_u32 v5, v4, 20, 1
	s_mov_b32 s49, exec_lo
	s_delay_alu instid0(VALU_DEP_1) | instskip(NEXT) | instid1(VALU_DEP_1)
	v_add3_u32 v5, v4, v5, 0x487ffff
	v_lshrrev_b32_e32 v5, 20, v5
	s_or_saveexec_b32 s50, s50
                                        ; implicit-def: $sgpr51
	s_delay_alu instid0(SALU_CYCLE_1)
	s_xor_b32 exec_lo, exec_lo, s50
	s_cbranch_execnz .LBB167_1204
.LBB167_1148:
	s_or_b32 exec_lo, exec_lo, s50
	v_mov_b32_e32 v6, s51
	s_and_saveexec_b32 s50, s49
.LBB167_1149:
	v_lshrrev_b32_e32 v4, 24, v4
	s_delay_alu instid0(VALU_DEP_1)
	v_and_or_b32 v6, 0x80, v4, v5
.LBB167_1150:
	s_or_b32 exec_lo, exec_lo, s50
.LBB167_1151:
	s_delay_alu instid0(SALU_CYCLE_1)
	s_or_b32 exec_lo, exec_lo, s48
	global_store_b8 v[0:1], v6, off
.LBB167_1152:
	s_mov_b32 s48, -1
.LBB167_1153:
	s_mov_b32 s49, 0
.LBB167_1154:
	s_delay_alu instid0(SALU_CYCLE_1)
	s_and_b32 vcc_lo, exec_lo, s49
	s_cbranch_vccz .LBB167_1195
; %bb.1155:
	v_cmp_lt_i16_e32 vcc_lo, 22, v3
	s_mov_b32 s49, -1
	s_cbranch_vccz .LBB167_1187
; %bb.1156:
	v_cmp_gt_i16_e32 vcc_lo, 24, v3
	s_mov_b32 s48, -1
	s_cbranch_vccnz .LBB167_1176
; %bb.1157:
	v_cmp_lt_i16_e32 vcc_lo, 24, v3
	s_cbranch_vccz .LBB167_1165
; %bb.1158:
	v_cvt_f32_f16_e32 v4, v2
	v_mov_b32_e32 v6, 0x80
	s_mov_b32 s48, exec_lo
	s_delay_alu instid0(VALU_DEP_2) | instskip(NEXT) | instid1(VALU_DEP_1)
	v_and_b32_e32 v5, 0x7fffffff, v4
	v_cmpx_gt_u32_e32 0x47800000, v5
	s_cbranch_execz .LBB167_1164
; %bb.1159:
	v_cmp_lt_u32_e32 vcc_lo, 0x37ffffff, v5
	s_mov_b32 s49, 0
                                        ; implicit-def: $vgpr5
	s_and_saveexec_b32 s50, vcc_lo
	s_delay_alu instid0(SALU_CYCLE_1)
	s_xor_b32 s50, exec_lo, s50
	s_cbranch_execz .LBB167_2280
; %bb.1160:
	v_bfe_u32 v5, v4, 21, 1
	s_mov_b32 s49, exec_lo
	s_delay_alu instid0(VALU_DEP_1) | instskip(NEXT) | instid1(VALU_DEP_1)
	v_add3_u32 v5, v4, v5, 0x88fffff
	v_lshrrev_b32_e32 v5, 21, v5
	s_or_saveexec_b32 s50, s50
                                        ; implicit-def: $sgpr51
	s_delay_alu instid0(SALU_CYCLE_1)
	s_xor_b32 exec_lo, exec_lo, s50
	s_cbranch_execnz .LBB167_2281
.LBB167_1161:
	s_or_b32 exec_lo, exec_lo, s50
	v_mov_b32_e32 v6, s51
	s_and_saveexec_b32 s50, s49
.LBB167_1162:
	v_lshrrev_b32_e32 v4, 24, v4
	s_delay_alu instid0(VALU_DEP_1)
	v_and_or_b32 v6, 0x80, v4, v5
.LBB167_1163:
	s_or_b32 exec_lo, exec_lo, s50
.LBB167_1164:
	s_delay_alu instid0(SALU_CYCLE_1)
	s_or_b32 exec_lo, exec_lo, s48
	s_mov_b32 s48, 0
	global_store_b8 v[0:1], v6, off
.LBB167_1165:
	s_and_b32 vcc_lo, exec_lo, s48
	s_cbranch_vccz .LBB167_1175
; %bb.1166:
	v_cvt_f32_f16_e32 v4, v2
	s_mov_b32 s48, exec_lo
                                        ; implicit-def: $vgpr5
	s_delay_alu instid0(VALU_DEP_1) | instskip(NEXT) | instid1(VALU_DEP_1)
	v_and_b32_e32 v6, 0x7fffffff, v4
	v_cmpx_gt_u32_e32 0x43f00000, v6
	s_xor_b32 s48, exec_lo, s48
	s_cbranch_execz .LBB167_1172
; %bb.1167:
	s_mov_b32 s49, exec_lo
                                        ; implicit-def: $vgpr5
	v_cmpx_lt_u32_e32 0x3c7fffff, v6
	s_xor_b32 s49, exec_lo, s49
; %bb.1168:
	v_bfe_u32 v5, v4, 20, 1
	s_delay_alu instid0(VALU_DEP_1) | instskip(NEXT) | instid1(VALU_DEP_1)
	v_add3_u32 v5, v4, v5, 0x407ffff
	v_and_b32_e32 v6, 0xff00000, v5
	v_lshrrev_b32_e32 v5, 20, v5
	s_delay_alu instid0(VALU_DEP_2) | instskip(NEXT) | instid1(VALU_DEP_2)
	v_cmp_ne_u32_e32 vcc_lo, 0x7f00000, v6
	v_cndmask_b32_e32 v5, 0x7e, v5, vcc_lo
; %bb.1169:
	s_and_not1_saveexec_b32 s49, s49
; %bb.1170:
	v_add_f32_e64 v5, 0x46800000, |v4|
; %bb.1171:
	s_or_b32 exec_lo, exec_lo, s49
                                        ; implicit-def: $vgpr6
.LBB167_1172:
	s_and_not1_saveexec_b32 s48, s48
; %bb.1173:
	v_mov_b32_e32 v5, 0x7f
	v_cmp_lt_u32_e32 vcc_lo, 0x7f800000, v6
	s_delay_alu instid0(VALU_DEP_2)
	v_cndmask_b32_e32 v5, 0x7e, v5, vcc_lo
; %bb.1174:
	s_or_b32 exec_lo, exec_lo, s48
	v_lshrrev_b32_e32 v4, 24, v4
	s_delay_alu instid0(VALU_DEP_1)
	v_and_or_b32 v4, 0x80, v4, v5
	global_store_b8 v[0:1], v4, off
.LBB167_1175:
	s_mov_b32 s48, 0
.LBB167_1176:
	s_delay_alu instid0(SALU_CYCLE_1)
	s_and_not1_b32 vcc_lo, exec_lo, s48
	s_cbranch_vccnz .LBB167_1186
; %bb.1177:
	v_cvt_f32_f16_e32 v4, v2
	s_mov_b32 s48, exec_lo
                                        ; implicit-def: $vgpr5
	s_delay_alu instid0(VALU_DEP_1) | instskip(NEXT) | instid1(VALU_DEP_1)
	v_and_b32_e32 v6, 0x7fffffff, v4
	v_cmpx_gt_u32_e32 0x47800000, v6
	s_xor_b32 s48, exec_lo, s48
	s_cbranch_execz .LBB167_1183
; %bb.1178:
	s_mov_b32 s49, exec_lo
                                        ; implicit-def: $vgpr5
	v_cmpx_lt_u32_e32 0x387fffff, v6
	s_xor_b32 s49, exec_lo, s49
; %bb.1179:
	v_bfe_u32 v5, v4, 21, 1
	s_delay_alu instid0(VALU_DEP_1) | instskip(NEXT) | instid1(VALU_DEP_1)
	v_add3_u32 v5, v4, v5, 0x80fffff
	v_lshrrev_b32_e32 v5, 21, v5
; %bb.1180:
	s_and_not1_saveexec_b32 s49, s49
; %bb.1181:
	v_add_f32_e64 v5, 0x43000000, |v4|
; %bb.1182:
	s_or_b32 exec_lo, exec_lo, s49
                                        ; implicit-def: $vgpr6
.LBB167_1183:
	s_and_not1_saveexec_b32 s48, s48
; %bb.1184:
	v_mov_b32_e32 v5, 0x7f
	v_cmp_lt_u32_e32 vcc_lo, 0x7f800000, v6
	s_delay_alu instid0(VALU_DEP_2)
	v_cndmask_b32_e32 v5, 0x7c, v5, vcc_lo
; %bb.1185:
	s_or_b32 exec_lo, exec_lo, s48
	v_lshrrev_b32_e32 v4, 24, v4
	s_delay_alu instid0(VALU_DEP_1)
	v_and_or_b32 v4, 0x80, v4, v5
	global_store_b8 v[0:1], v4, off
.LBB167_1186:
	s_mov_b32 s49, 0
	s_mov_b32 s48, -1
.LBB167_1187:
	s_and_not1_b32 vcc_lo, exec_lo, s49
	s_cbranch_vccnz .LBB167_1195
; %bb.1188:
	v_cmp_lt_i16_e32 vcc_lo, 14, v3
	s_mov_b32 s49, -1
	s_cbranch_vccz .LBB167_1192
; %bb.1189:
	v_cmp_eq_u16_e32 vcc_lo, 15, v3
	s_mov_b32 s2, -1
	s_cbranch_vccz .LBB167_1191
; %bb.1190:
	v_cvt_f32_f16_e32 v4, v2
	v_cmp_o_f16_e32 vcc_lo, v2, v2
	s_mov_b32 s48, -1
	s_mov_b32 s2, 0
	s_delay_alu instid0(VALU_DEP_2) | instskip(NEXT) | instid1(VALU_DEP_1)
	v_bfe_u32 v5, v4, 16, 1
	v_add3_u32 v4, v4, v5, 0x7fff
	s_delay_alu instid0(VALU_DEP_1) | instskip(NEXT) | instid1(VALU_DEP_1)
	v_lshrrev_b32_e32 v4, 16, v4
	v_cndmask_b32_e32 v4, 0x7fc0, v4, vcc_lo
	global_store_b16 v[0:1], v4, off
.LBB167_1191:
	s_mov_b32 s49, 0
.LBB167_1192:
	s_delay_alu instid0(SALU_CYCLE_1)
	s_and_b32 vcc_lo, exec_lo, s49
	s_cbranch_vccz .LBB167_1195
; %bb.1193:
	v_cmp_eq_u16_e32 vcc_lo, 11, v3
	s_mov_b32 s2, -1
	s_cbranch_vccz .LBB167_1195
; %bb.1194:
	v_cmp_neq_f16_e32 vcc_lo, 0, v2
	s_mov_b32 s2, 0
	s_mov_b32 s48, -1
	v_cndmask_b32_e64 v4, 0, 1, vcc_lo
	global_store_b8 v[0:1], v4, off
.LBB167_1195:
.LBB167_1196:
	s_and_not1_b32 vcc_lo, exec_lo, s48
	s_cbranch_vccnz .LBB167_1096
.LBB167_1197:
	v_add_nc_u32_e32 v7, 0x80, v7
	s_mov_b32 s50, -1
	s_branch .LBB167_1098
.LBB167_1198:
	s_mov_b32 s2, -1
.LBB167_1199:
                                        ; implicit-def: $vgpr6
.LBB167_1200:
	s_and_b32 vcc_lo, exec_lo, s7
	s_cbranch_vccz .LBB167_1206
; %bb.1201:
	v_cmp_eq_u16_e32 vcc_lo, 44, v4
	s_cbranch_vccz .LBB167_1205
; %bb.1202:
	global_load_u8 v5, v[2:3], off
	s_mov_b32 s2, 0
	s_mov_b32 s6, -1
	s_waitcnt vmcnt(0)
	v_lshlrev_b32_e32 v6, 23, v5
	v_cmp_ne_u32_e32 vcc_lo, 0xff, v5
	s_delay_alu instid0(VALU_DEP_2) | instskip(NEXT) | instid1(VALU_DEP_1)
	v_cvt_f16_f32_e32 v6, v6
	v_cndmask_b32_e32 v6, 0x7e00, v6, vcc_lo
	v_cmp_ne_u32_e32 vcc_lo, 0, v5
	s_delay_alu instid0(VALU_DEP_2)
	v_cndmask_b32_e32 v6, 0, v6, vcc_lo
	s_branch .LBB167_1206
.LBB167_1203:
	s_or_saveexec_b32 s50, s50
                                        ; implicit-def: $sgpr51
	s_delay_alu instid0(SALU_CYCLE_1)
	s_xor_b32 exec_lo, exec_lo, s50
	s_cbranch_execz .LBB167_1148
.LBB167_1204:
	v_add_f32_e64 v5, 0x46000000, |v4|
	s_and_not1_b32 s49, s49, exec_lo
	s_mov_b32 s51, 0
	s_delay_alu instid0(VALU_DEP_1) | instskip(NEXT) | instid1(VALU_DEP_1)
	v_and_b32_e32 v5, 0xff, v5
	v_cmp_ne_u32_e32 vcc_lo, 0, v5
	s_and_b32 s52, vcc_lo, exec_lo
	s_delay_alu instid0(SALU_CYCLE_1)
	s_or_b32 s49, s49, s52
	s_or_b32 exec_lo, exec_lo, s50
	v_mov_b32_e32 v6, s51
	s_and_saveexec_b32 s50, s49
	s_cbranch_execnz .LBB167_1149
	s_branch .LBB167_1150
.LBB167_1205:
	s_mov_b32 s2, -1
                                        ; implicit-def: $vgpr6
.LBB167_1206:
	s_mov_b32 s7, 0
.LBB167_1207:
	s_delay_alu instid0(SALU_CYCLE_1)
	s_and_b32 vcc_lo, exec_lo, s7
	s_cbranch_vccz .LBB167_1211
; %bb.1208:
	v_cmp_eq_u16_e32 vcc_lo, 29, v4
	s_cbranch_vccz .LBB167_1210
; %bb.1209:
	global_load_b64 v[5:6], v[2:3], off
	s_mov_b32 s2, 0
	s_mov_b32 s6, -1
	s_mov_b32 s7, 0
	s_waitcnt vmcnt(0)
	v_clz_i32_u32_e32 v7, v6
	s_delay_alu instid0(VALU_DEP_1) | instskip(NEXT) | instid1(VALU_DEP_1)
	v_min_u32_e32 v7, 32, v7
	v_lshlrev_b64 v[5:6], v7, v[5:6]
	s_delay_alu instid0(VALU_DEP_1) | instskip(NEXT) | instid1(VALU_DEP_1)
	v_min_u32_e32 v5, 1, v5
	v_or_b32_e32 v5, v6, v5
	v_sub_nc_u32_e32 v6, 32, v7
	s_delay_alu instid0(VALU_DEP_2) | instskip(NEXT) | instid1(VALU_DEP_1)
	v_cvt_f32_u32_e32 v5, v5
	v_ldexp_f32 v5, v5, v6
	s_delay_alu instid0(VALU_DEP_1)
	v_cvt_f16_f32_e32 v6, v5
	s_branch .LBB167_1212
.LBB167_1210:
	s_mov_b32 s2, -1
                                        ; implicit-def: $vgpr6
.LBB167_1211:
	s_mov_b32 s7, 0
.LBB167_1212:
	s_delay_alu instid0(SALU_CYCLE_1)
	s_and_b32 vcc_lo, exec_lo, s7
	s_cbranch_vccz .LBB167_1230
; %bb.1213:
	v_cmp_gt_i16_e32 vcc_lo, 27, v4
	s_cbranch_vccnz .LBB167_1216
; %bb.1214:
	v_cmp_lt_i16_e32 vcc_lo, 27, v4
	s_cbranch_vccz .LBB167_1217
; %bb.1215:
	global_load_b32 v5, v[2:3], off
	s_mov_b32 s6, 0
	s_waitcnt vmcnt(0)
	v_cvt_f32_u32_e32 v5, v5
	s_delay_alu instid0(VALU_DEP_1)
	v_cvt_f16_f32_e32 v6, v5
	s_branch .LBB167_1218
.LBB167_1216:
	s_mov_b32 s6, -1
                                        ; implicit-def: $vgpr6
	s_branch .LBB167_1221
.LBB167_1217:
	s_mov_b32 s6, -1
                                        ; implicit-def: $vgpr6
.LBB167_1218:
	s_delay_alu instid0(SALU_CYCLE_1)
	s_and_not1_b32 vcc_lo, exec_lo, s6
	s_cbranch_vccnz .LBB167_1220
; %bb.1219:
	global_load_u16 v5, v[2:3], off
	s_waitcnt vmcnt(0)
	v_cvt_f16_u16_e32 v6, v5
.LBB167_1220:
	s_mov_b32 s6, 0
.LBB167_1221:
	s_delay_alu instid0(SALU_CYCLE_1)
	s_and_not1_b32 vcc_lo, exec_lo, s6
	s_cbranch_vccnz .LBB167_1229
; %bb.1222:
	global_load_u8 v5, v[2:3], off
	s_mov_b32 s6, 0
	s_mov_b32 s12, exec_lo
                                        ; implicit-def: $sgpr7
	s_waitcnt vmcnt(0)
	v_cmpx_lt_i16_e32 0x7f, v5
	s_xor_b32 s12, exec_lo, s12
	s_cbranch_execz .LBB167_1243
; %bb.1223:
	s_mov_b32 s6, -1
	s_mov_b32 s13, exec_lo
                                        ; implicit-def: $sgpr7
	v_cmpx_eq_u16_e32 0x80, v5
; %bb.1224:
	s_movk_i32 s7, 0x7e00
	s_xor_b32 s6, exec_lo, -1
; %bb.1225:
	s_or_b32 exec_lo, exec_lo, s13
	s_delay_alu instid0(SALU_CYCLE_1)
	s_and_b32 s6, s6, exec_lo
	s_or_saveexec_b32 s12, s12
	v_mov_b32_e32 v6, s7
	s_xor_b32 exec_lo, exec_lo, s12
	s_cbranch_execnz .LBB167_1244
.LBB167_1226:
	s_or_b32 exec_lo, exec_lo, s12
	s_and_saveexec_b32 s7, s6
	s_cbranch_execz .LBB167_1228
.LBB167_1227:
	v_and_b32_e32 v6, 0xffff, v5
	v_lshlrev_b32_e32 v5, 24, v5
	s_delay_alu instid0(VALU_DEP_2) | instskip(NEXT) | instid1(VALU_DEP_2)
	v_and_b32_e32 v7, 7, v6
	v_and_b32_e32 v5, 0x80000000, v5
	s_delay_alu instid0(VALU_DEP_2) | instskip(NEXT) | instid1(VALU_DEP_1)
	v_clz_i32_u32_e32 v8, v7
	v_min_u32_e32 v8, 32, v8
	s_delay_alu instid0(VALU_DEP_1) | instskip(SKIP_1) | instid1(VALU_DEP_2)
	v_subrev_nc_u32_e32 v9, 28, v8
	v_sub_nc_u32_e32 v8, 29, v8
	v_lshlrev_b32_e32 v9, v9, v6
	v_bfe_u32 v6, v6, 3, 4
	s_delay_alu instid0(VALU_DEP_2) | instskip(NEXT) | instid1(VALU_DEP_2)
	v_and_b32_e32 v9, 7, v9
	v_cmp_eq_u32_e32 vcc_lo, 0, v6
	s_delay_alu instid0(VALU_DEP_2) | instskip(NEXT) | instid1(VALU_DEP_1)
	v_dual_cndmask_b32 v6, v6, v8 :: v_dual_cndmask_b32 v7, v7, v9
	v_lshl_add_u32 v6, v6, 23, 0x3b800000
	s_delay_alu instid0(VALU_DEP_2) | instskip(NEXT) | instid1(VALU_DEP_1)
	v_lshlrev_b32_e32 v7, 20, v7
	v_or3_b32 v5, v5, v6, v7
	s_delay_alu instid0(VALU_DEP_1)
	v_cvt_f16_f32_e32 v6, v5
.LBB167_1228:
	s_or_b32 exec_lo, exec_lo, s7
.LBB167_1229:
	s_mov_b32 s6, -1
.LBB167_1230:
	s_mov_b32 s7, 0
.LBB167_1231:
	s_delay_alu instid0(SALU_CYCLE_1)
	s_and_b32 vcc_lo, exec_lo, s7
	s_cbranch_vccz .LBB167_1264
; %bb.1232:
	v_cmp_lt_i16_e32 vcc_lo, 22, v4
	s_cbranch_vccz .LBB167_1242
; %bb.1233:
	v_cmp_gt_i16_e32 vcc_lo, 24, v4
	s_cbranch_vccnz .LBB167_1245
; %bb.1234:
	v_cmp_lt_i16_e32 vcc_lo, 24, v4
	s_cbranch_vccz .LBB167_1246
; %bb.1235:
	global_load_u8 v5, v[2:3], off
	s_mov_b32 s7, exec_lo
                                        ; implicit-def: $sgpr6
	s_waitcnt vmcnt(0)
	v_cmpx_lt_i16_e32 0x7f, v5
	s_xor_b32 s7, exec_lo, s7
	s_cbranch_execz .LBB167_1258
; %bb.1236:
	s_mov_b32 s3, -1
	s_mov_b32 s12, exec_lo
                                        ; implicit-def: $sgpr6
	v_cmpx_eq_u16_e32 0x80, v5
; %bb.1237:
	s_movk_i32 s6, 0x7e00
	s_xor_b32 s3, exec_lo, -1
; %bb.1238:
	s_or_b32 exec_lo, exec_lo, s12
	s_delay_alu instid0(SALU_CYCLE_1)
	s_and_b32 s3, s3, exec_lo
	s_or_saveexec_b32 s7, s7
	v_mov_b32_e32 v6, s6
	s_xor_b32 exec_lo, exec_lo, s7
	s_cbranch_execnz .LBB167_1259
.LBB167_1239:
	s_or_b32 exec_lo, exec_lo, s7
	s_and_saveexec_b32 s6, s3
	s_cbranch_execz .LBB167_1241
.LBB167_1240:
	v_and_b32_e32 v6, 0xffff, v5
	v_lshlrev_b32_e32 v5, 24, v5
	s_delay_alu instid0(VALU_DEP_2) | instskip(NEXT) | instid1(VALU_DEP_2)
	v_and_b32_e32 v7, 3, v6
	v_and_b32_e32 v5, 0x80000000, v5
	s_delay_alu instid0(VALU_DEP_2) | instskip(NEXT) | instid1(VALU_DEP_1)
	v_clz_i32_u32_e32 v8, v7
	v_min_u32_e32 v8, 32, v8
	s_delay_alu instid0(VALU_DEP_1) | instskip(SKIP_1) | instid1(VALU_DEP_2)
	v_subrev_nc_u32_e32 v9, 29, v8
	v_sub_nc_u32_e32 v8, 30, v8
	v_lshlrev_b32_e32 v9, v9, v6
	v_bfe_u32 v6, v6, 2, 5
	s_delay_alu instid0(VALU_DEP_2) | instskip(NEXT) | instid1(VALU_DEP_2)
	v_and_b32_e32 v9, 3, v9
	v_cmp_eq_u32_e32 vcc_lo, 0, v6
	s_delay_alu instid0(VALU_DEP_2) | instskip(NEXT) | instid1(VALU_DEP_1)
	v_dual_cndmask_b32 v6, v6, v8 :: v_dual_cndmask_b32 v7, v7, v9
	v_lshl_add_u32 v6, v6, 23, 0x37800000
	s_delay_alu instid0(VALU_DEP_2) | instskip(NEXT) | instid1(VALU_DEP_1)
	v_lshlrev_b32_e32 v7, 21, v7
	v_or3_b32 v5, v5, v6, v7
	s_delay_alu instid0(VALU_DEP_1)
	v_cvt_f16_f32_e32 v6, v5
.LBB167_1241:
	s_or_b32 exec_lo, exec_lo, s6
	s_mov_b32 s3, 0
	s_branch .LBB167_1247
.LBB167_1242:
	s_mov_b32 s3, -1
                                        ; implicit-def: $vgpr6
	s_branch .LBB167_1253
.LBB167_1243:
	s_or_saveexec_b32 s12, s12
	v_mov_b32_e32 v6, s7
	s_xor_b32 exec_lo, exec_lo, s12
	s_cbranch_execz .LBB167_1226
.LBB167_1244:
	v_cmp_ne_u16_e32 vcc_lo, 0, v5
	v_mov_b32_e32 v6, v5
	s_and_not1_b32 s6, s6, exec_lo
	s_and_b32 s7, vcc_lo, exec_lo
	s_delay_alu instid0(SALU_CYCLE_1)
	s_or_b32 s6, s6, s7
	s_or_b32 exec_lo, exec_lo, s12
	s_and_saveexec_b32 s7, s6
	s_cbranch_execnz .LBB167_1227
	s_branch .LBB167_1228
.LBB167_1245:
	s_mov_b32 s3, -1
                                        ; implicit-def: $vgpr6
	s_branch .LBB167_1250
.LBB167_1246:
	s_mov_b32 s3, -1
                                        ; implicit-def: $vgpr6
.LBB167_1247:
	s_delay_alu instid0(SALU_CYCLE_1)
	s_and_b32 vcc_lo, exec_lo, s3
	s_cbranch_vccz .LBB167_1249
; %bb.1248:
	global_load_u8 v5, v[2:3], off
	s_waitcnt vmcnt(0)
	v_lshlrev_b32_e32 v5, 24, v5
	s_delay_alu instid0(VALU_DEP_1) | instskip(NEXT) | instid1(VALU_DEP_1)
	v_and_b32_e32 v6, 0x7f000000, v5
	v_clz_i32_u32_e32 v7, v6
	v_add_nc_u32_e32 v9, 0x1000000, v6
	v_cmp_ne_u32_e32 vcc_lo, 0, v6
	s_delay_alu instid0(VALU_DEP_3) | instskip(NEXT) | instid1(VALU_DEP_1)
	v_min_u32_e32 v7, 32, v7
	v_sub_nc_u32_e64 v7, v7, 4 clamp
	s_delay_alu instid0(VALU_DEP_1) | instskip(SKIP_1) | instid1(VALU_DEP_2)
	v_lshlrev_b32_e32 v8, v7, v6
	v_lshlrev_b32_e32 v7, 23, v7
	v_lshrrev_b32_e32 v8, 4, v8
	s_delay_alu instid0(VALU_DEP_1) | instskip(SKIP_1) | instid1(VALU_DEP_2)
	v_sub_nc_u32_e32 v7, v8, v7
	v_ashrrev_i32_e32 v8, 8, v9
	v_add_nc_u32_e32 v7, 0x3c000000, v7
	s_delay_alu instid0(VALU_DEP_1) | instskip(NEXT) | instid1(VALU_DEP_1)
	v_and_or_b32 v7, 0x7f800000, v8, v7
	v_cndmask_b32_e32 v6, 0, v7, vcc_lo
	s_delay_alu instid0(VALU_DEP_1) | instskip(NEXT) | instid1(VALU_DEP_1)
	v_and_or_b32 v5, 0x80000000, v5, v6
	v_cvt_f16_f32_e32 v6, v5
.LBB167_1249:
	s_mov_b32 s3, 0
.LBB167_1250:
	s_delay_alu instid0(SALU_CYCLE_1)
	s_and_not1_b32 vcc_lo, exec_lo, s3
	s_cbranch_vccnz .LBB167_1252
; %bb.1251:
	global_load_u8 v5, v[2:3], off
	s_waitcnt vmcnt(0)
	v_lshlrev_b32_e32 v6, 25, v5
	v_lshlrev_b16 v5, 8, v5
	s_delay_alu instid0(VALU_DEP_2) | instskip(NEXT) | instid1(VALU_DEP_2)
	v_lshrrev_b32_e32 v7, 4, v6
	v_and_or_b32 v8, 0x7f00, v5, 0.5
	v_bfe_i32 v5, v5, 0, 16
	s_delay_alu instid0(VALU_DEP_3) | instskip(NEXT) | instid1(VALU_DEP_1)
	v_or_b32_e32 v7, 0x70000000, v7
	v_dual_add_f32 v8, -0.5, v8 :: v_dual_mul_f32 v7, 0x7800000, v7
	v_cmp_gt_u32_e32 vcc_lo, 0x8000000, v6
	s_delay_alu instid0(VALU_DEP_2) | instskip(NEXT) | instid1(VALU_DEP_1)
	v_cndmask_b32_e32 v6, v7, v8, vcc_lo
	v_and_or_b32 v5, 0x80000000, v5, v6
	s_delay_alu instid0(VALU_DEP_1)
	v_cvt_f16_f32_e32 v6, v5
.LBB167_1252:
	s_mov_b32 s3, 0
	s_mov_b32 s6, -1
.LBB167_1253:
	s_and_not1_b32 vcc_lo, exec_lo, s3
	s_mov_b32 s3, 0
	s_cbranch_vccnz .LBB167_1264
; %bb.1254:
	v_cmp_lt_i16_e32 vcc_lo, 14, v4
	s_cbranch_vccz .LBB167_1257
; %bb.1255:
	v_cmp_eq_u16_e32 vcc_lo, 15, v4
	s_cbranch_vccz .LBB167_1260
; %bb.1256:
	global_load_u16 v5, v[2:3], off
	s_mov_b32 s2, 0
	s_mov_b32 s6, -1
	s_waitcnt vmcnt(0)
	v_lshlrev_b32_e32 v5, 16, v5
	s_delay_alu instid0(VALU_DEP_1)
	v_cvt_f16_f32_e32 v6, v5
	s_branch .LBB167_1262
.LBB167_1257:
	s_mov_b32 s3, -1
	s_branch .LBB167_1261
.LBB167_1258:
	s_or_saveexec_b32 s7, s7
	v_mov_b32_e32 v6, s6
	s_xor_b32 exec_lo, exec_lo, s7
	s_cbranch_execz .LBB167_1239
.LBB167_1259:
	v_cmp_ne_u16_e32 vcc_lo, 0, v5
	v_mov_b32_e32 v6, v5
	s_and_not1_b32 s3, s3, exec_lo
	s_and_b32 s6, vcc_lo, exec_lo
	s_delay_alu instid0(SALU_CYCLE_1)
	s_or_b32 s3, s3, s6
	s_or_b32 exec_lo, exec_lo, s7
	s_and_saveexec_b32 s6, s3
	s_cbranch_execnz .LBB167_1240
	s_branch .LBB167_1241
.LBB167_1260:
	s_mov_b32 s2, -1
.LBB167_1261:
                                        ; implicit-def: $vgpr6
.LBB167_1262:
	s_and_b32 vcc_lo, exec_lo, s3
	s_mov_b32 s3, 0
	s_cbranch_vccz .LBB167_1264
; %bb.1263:
	v_cmp_ne_u16_e32 vcc_lo, 11, v4
	s_and_not1_b32 s2, s2, exec_lo
	s_mov_b32 s3, -1
                                        ; implicit-def: $vgpr6
	s_and_b32 s7, vcc_lo, exec_lo
	s_delay_alu instid0(SALU_CYCLE_1)
	s_or_b32 s2, s2, s7
.LBB167_1264:
	s_mov_b32 s7, 0
.LBB167_1265:
	s_and_b32 s50, s6, exec_lo
	s_and_b32 s51, s7, exec_lo
	s_and_not1_b32 s6, s47, exec_lo
	s_and_b32 s7, s2, exec_lo
	s_and_b32 s2, s3, exec_lo
	s_or_b32 s52, s6, s7
.LBB167_1266:
	s_or_b32 exec_lo, exec_lo, s36
	s_delay_alu instid0(SALU_CYCLE_1)
	s_and_not1_b32 s6, s47, exec_lo
	s_and_b32 s7, s52, exec_lo
	s_and_b32 s50, s50, exec_lo
	;; [unrolled: 1-line block ×4, first 2 shown]
	s_or_b32 s47, s6, s7
.LBB167_1267:
	s_or_b32 exec_lo, exec_lo, s46
	s_delay_alu instid0(SALU_CYCLE_1)
	s_and_not1_b32 s6, s43, exec_lo
	s_and_b32 s7, s48, exec_lo
	s_and_not1_b32 s12, s44, exec_lo
	s_and_b32 s13, s49, exec_lo
	s_or_b32 s43, s6, s7
	s_and_not1_b32 s6, s42, exec_lo
	s_and_b32 s7, s47, exec_lo
	s_or_b32 s44, s12, s13
	s_and_b32 s46, s50, exec_lo
	s_and_b32 s3, s3, exec_lo
	s_and_b32 s2, s2, exec_lo
	s_or_b32 s42, s6, s7
.LBB167_1268:
	s_or_b32 exec_lo, exec_lo, s45
	s_delay_alu instid0(SALU_CYCLE_1)
	s_and_not1_b32 s6, s38, exec_lo
	s_and_b32 s7, s43, exec_lo
	s_and_not1_b32 s12, s39, exec_lo
	s_and_b32 s13, s44, exec_lo
	s_or_b32 s38, s6, s7
	s_and_b32 s44, s3, exec_lo
	s_and_not1_b32 s3, s40, exec_lo
	s_and_b32 s6, s42, exec_lo
	s_or_b32 s39, s12, s13
	s_and_b32 s43, s46, exec_lo
	s_and_b32 s42, s2, exec_lo
	s_or_b32 s40, s3, s6
.LBB167_1269:
	s_or_b32 exec_lo, exec_lo, s41
	s_mov_b32 s3, 0
	s_and_saveexec_b32 s2, s40
	s_cbranch_execnz .LBB167_1281
; %bb.1270:
	s_or_b32 exec_lo, exec_lo, s2
	s_and_saveexec_b32 s2, s42
	s_delay_alu instid0(SALU_CYCLE_1)
	s_xor_b32 s2, exec_lo, s2
	s_cbranch_execz .LBB167_1272
.LBB167_1271:
	s_waitcnt vmcnt(0)
	global_load_u8 v5, v[2:3], off
	s_or_b32 s43, s43, exec_lo
	s_waitcnt vmcnt(0)
	v_cmp_ne_u16_e32 vcc_lo, 0, v5
	v_cndmask_b32_e64 v6, 0, 0x3c00, vcc_lo
.LBB167_1272:
	s_or_b32 exec_lo, exec_lo, s2
	s_and_saveexec_b32 s2, s44
	s_cbranch_execz .LBB167_1320
; %bb.1273:
	s_waitcnt vmcnt(0)
	v_cmp_gt_i16_e32 vcc_lo, 5, v4
	s_cbranch_vccnz .LBB167_1278
; %bb.1274:
	v_cmp_gt_i16_e32 vcc_lo, 8, v4
	s_cbranch_vccnz .LBB167_1279
; %bb.1275:
	;; [unrolled: 3-line block ×3, first 2 shown]
	v_cmp_lt_i16_e32 vcc_lo, 9, v4
	s_cbranch_vccz .LBB167_1283
; %bb.1277:
	global_load_b64 v[5:6], v[2:3], off
	s_mov_b32 s6, 0
	s_waitcnt vmcnt(0)
	v_cvt_f32_f64_e32 v5, v[5:6]
	s_delay_alu instid0(VALU_DEP_1)
	v_cvt_f16_f32_e32 v6, v5
	s_branch .LBB167_1284
.LBB167_1278:
                                        ; implicit-def: $vgpr6
	s_branch .LBB167_1301
.LBB167_1279:
                                        ; implicit-def: $vgpr6
	s_branch .LBB167_1290
.LBB167_1280:
	s_mov_b32 s6, -1
                                        ; implicit-def: $vgpr6
	s_branch .LBB167_1287
.LBB167_1281:
	s_cbranch_execnz .LBB167_1332
; %bb.1282:
	s_mov_b32 s3, exec_lo
	s_and_not1_b32 s42, s42, exec_lo
                                        ; implicit-def: $vgpr6
	s_or_b32 exec_lo, exec_lo, s2
	s_and_saveexec_b32 s2, s42
	s_delay_alu instid0(SALU_CYCLE_1)
	s_xor_b32 s2, exec_lo, s2
	s_cbranch_execnz .LBB167_1271
	s_branch .LBB167_1272
.LBB167_1283:
	s_mov_b32 s6, -1
                                        ; implicit-def: $vgpr6
.LBB167_1284:
	s_delay_alu instid0(SALU_CYCLE_1)
	s_and_not1_b32 vcc_lo, exec_lo, s6
	s_cbranch_vccnz .LBB167_1286
; %bb.1285:
	global_load_b32 v5, v[2:3], off
	s_waitcnt vmcnt(0)
	v_cvt_f16_f32_e32 v6, v5
.LBB167_1286:
	s_mov_b32 s6, 0
.LBB167_1287:
	s_delay_alu instid0(SALU_CYCLE_1)
	s_and_not1_b32 vcc_lo, exec_lo, s6
	s_cbranch_vccnz .LBB167_1289
; %bb.1288:
	global_load_b32 v6, v[2:3], off
.LBB167_1289:
	s_cbranch_execnz .LBB167_1300
.LBB167_1290:
	v_cmp_gt_i16_e32 vcc_lo, 6, v4
	s_cbranch_vccnz .LBB167_1293
; %bb.1291:
	v_cmp_lt_i16_e32 vcc_lo, 6, v4
	s_cbranch_vccz .LBB167_1294
; %bb.1292:
	global_load_b64 v[5:6], v[2:3], off
	s_mov_b32 s6, 0
	s_waitcnt vmcnt(0)
	v_cvt_f32_f64_e32 v5, v[5:6]
	s_delay_alu instid0(VALU_DEP_1)
	v_cvt_f16_f32_e32 v6, v5
	s_branch .LBB167_1295
.LBB167_1293:
	s_mov_b32 s6, -1
                                        ; implicit-def: $vgpr6
	s_branch .LBB167_1298
.LBB167_1294:
	s_mov_b32 s6, -1
                                        ; implicit-def: $vgpr6
.LBB167_1295:
	s_delay_alu instid0(SALU_CYCLE_1)
	s_and_not1_b32 vcc_lo, exec_lo, s6
	s_cbranch_vccnz .LBB167_1297
; %bb.1296:
	global_load_b32 v5, v[2:3], off
	s_waitcnt vmcnt(0)
	v_cvt_f16_f32_e32 v6, v5
.LBB167_1297:
	s_mov_b32 s6, 0
.LBB167_1298:
	s_delay_alu instid0(SALU_CYCLE_1)
	s_and_not1_b32 vcc_lo, exec_lo, s6
	s_cbranch_vccnz .LBB167_1300
; %bb.1299:
	global_load_u16 v6, v[2:3], off
.LBB167_1300:
	s_cbranch_execnz .LBB167_1319
.LBB167_1301:
	v_cmp_gt_i16_e32 vcc_lo, 2, v4
	s_cbranch_vccnz .LBB167_1305
; %bb.1302:
	v_cmp_gt_i16_e32 vcc_lo, 3, v4
	s_cbranch_vccnz .LBB167_1306
; %bb.1303:
	v_cmp_lt_i16_e32 vcc_lo, 3, v4
	s_cbranch_vccz .LBB167_1307
; %bb.1304:
	global_load_b64 v[5:6], v[2:3], off
	s_mov_b32 s6, 0
	s_waitcnt vmcnt(0)
	v_xor_b32_e32 v7, v5, v6
	v_cls_i32_e32 v8, v6
	s_delay_alu instid0(VALU_DEP_2) | instskip(NEXT) | instid1(VALU_DEP_2)
	v_ashrrev_i32_e32 v7, 31, v7
	v_add_nc_u32_e32 v8, -1, v8
	s_delay_alu instid0(VALU_DEP_2) | instskip(NEXT) | instid1(VALU_DEP_1)
	v_add_nc_u32_e32 v7, 32, v7
	v_min_u32_e32 v7, v8, v7
	s_delay_alu instid0(VALU_DEP_1) | instskip(NEXT) | instid1(VALU_DEP_1)
	v_lshlrev_b64 v[5:6], v7, v[5:6]
	v_min_u32_e32 v5, 1, v5
	s_delay_alu instid0(VALU_DEP_1) | instskip(SKIP_1) | instid1(VALU_DEP_2)
	v_or_b32_e32 v5, v6, v5
	v_sub_nc_u32_e32 v6, 32, v7
	v_cvt_f32_i32_e32 v5, v5
	s_delay_alu instid0(VALU_DEP_1) | instskip(NEXT) | instid1(VALU_DEP_1)
	v_ldexp_f32 v5, v5, v6
	v_cvt_f16_f32_e32 v6, v5
	s_branch .LBB167_1308
.LBB167_1305:
                                        ; implicit-def: $vgpr6
	s_branch .LBB167_1314
.LBB167_1306:
	s_mov_b32 s6, -1
                                        ; implicit-def: $vgpr6
	s_branch .LBB167_1311
.LBB167_1307:
	s_mov_b32 s6, -1
                                        ; implicit-def: $vgpr6
.LBB167_1308:
	s_delay_alu instid0(SALU_CYCLE_1)
	s_and_not1_b32 vcc_lo, exec_lo, s6
	s_cbranch_vccnz .LBB167_1310
; %bb.1309:
	global_load_b32 v5, v[2:3], off
	s_waitcnt vmcnt(0)
	v_cvt_f32_i32_e32 v5, v5
	s_delay_alu instid0(VALU_DEP_1)
	v_cvt_f16_f32_e32 v6, v5
.LBB167_1310:
	s_mov_b32 s6, 0
.LBB167_1311:
	s_delay_alu instid0(SALU_CYCLE_1)
	s_and_not1_b32 vcc_lo, exec_lo, s6
	s_cbranch_vccnz .LBB167_1313
; %bb.1312:
	global_load_u16 v5, v[2:3], off
	s_waitcnt vmcnt(0)
	v_cvt_f16_i16_e32 v6, v5
.LBB167_1313:
	s_cbranch_execnz .LBB167_1319
.LBB167_1314:
	v_cmp_lt_i16_e32 vcc_lo, 0, v4
	s_mov_b32 s6, 0
	s_cbranch_vccz .LBB167_1316
; %bb.1315:
	global_load_i8 v4, v[2:3], off
	s_waitcnt vmcnt(0)
	v_cvt_f16_i16_e32 v6, v4
	s_branch .LBB167_1317
.LBB167_1316:
	s_mov_b32 s6, -1
                                        ; implicit-def: $vgpr6
.LBB167_1317:
	s_delay_alu instid0(SALU_CYCLE_1)
	s_and_not1_b32 vcc_lo, exec_lo, s6
	s_cbranch_vccnz .LBB167_1319
; %bb.1318:
	global_load_u8 v2, v[2:3], off
	s_waitcnt vmcnt(0)
	v_cvt_f16_u16_e32 v6, v2
.LBB167_1319:
	s_or_b32 s43, s43, exec_lo
.LBB167_1320:
	s_or_b32 exec_lo, exec_lo, s2
	s_mov_b32 s6, 0
	s_mov_b32 s12, 0
	;; [unrolled: 1-line block ×3, first 2 shown]
                                        ; implicit-def: $vgpr7
                                        ; implicit-def: $vgpr2_vgpr3
                                        ; implicit-def: $vgpr4
	s_and_saveexec_b32 s2, s43
	s_cbranch_execz .LBB167_1396
; %bb.1321:
	v_and_b32_e64 v7, 0xff, s31
	v_add_co_u32 v2, s6, s8, v1
	s_waitcnt vmcnt(0)
	v_add_co_ci_u32_e64 v3, null, s9, 0, s6
	s_delay_alu instid0(VALU_DEP_3)
	v_cmp_gt_i16_e32 vcc_lo, 11, v7
	s_cbranch_vccnz .LBB167_1328
; %bb.1322:
	v_cmp_lt_i16_e32 vcc_lo, 25, v7
	s_mov_b32 s8, 0
	s_cbranch_vccz .LBB167_1329
; %bb.1323:
	v_cmp_lt_i16_e32 vcc_lo, 28, v7
	s_cbranch_vccz .LBB167_1330
; %bb.1324:
	v_cmp_lt_i16_e32 vcc_lo, 43, v7
	;; [unrolled: 3-line block ×3, first 2 shown]
	s_cbranch_vccz .LBB167_1334
; %bb.1326:
	v_cmp_eq_u16_e32 vcc_lo, 46, v7
	s_mov_b32 s9, 0
	s_cbranch_vccz .LBB167_1335
; %bb.1327:
	global_load_b32 v1, v[2:3], off
	s_mov_b32 s6, 0
	s_mov_b32 s7, -1
	s_waitcnt vmcnt(0)
	v_lshlrev_b32_e32 v1, 16, v1
	s_delay_alu instid0(VALU_DEP_1) | instskip(NEXT) | instid1(VALU_DEP_1)
	v_trunc_f32_e32 v1, v1
	v_mul_f32_e64 v4, 0x2f800000, |v1|
	s_delay_alu instid0(VALU_DEP_1) | instskip(NEXT) | instid1(VALU_DEP_1)
	v_floor_f32_e32 v4, v4
	v_fma_f32 v4, 0xcf800000, v4, |v1|
	v_ashrrev_i32_e32 v1, 31, v1
	s_delay_alu instid0(VALU_DEP_2) | instskip(NEXT) | instid1(VALU_DEP_1)
	v_cvt_u32_f32_e32 v4, v4
	v_xor_b32_e32 v4, v4, v1
	s_delay_alu instid0(VALU_DEP_1)
	v_sub_nc_u32_e32 v4, v4, v1
	s_branch .LBB167_1337
.LBB167_1328:
	s_mov_b32 s9, -1
	s_mov_b32 s8, 0
	s_mov_b32 s6, s39
                                        ; implicit-def: $vgpr4
	s_branch .LBB167_1395
.LBB167_1329:
	s_mov_b32 s6, s39
                                        ; implicit-def: $vgpr4
	s_cbranch_execnz .LBB167_1364
	s_branch .LBB167_1394
.LBB167_1330:
	s_mov_b32 s9, -1
	s_mov_b32 s6, s39
                                        ; implicit-def: $vgpr4
	s_branch .LBB167_1347
.LBB167_1331:
	s_mov_b32 s9, -1
	s_mov_b32 s6, s39
                                        ; implicit-def: $vgpr4
	s_branch .LBB167_1342
.LBB167_1332:
	s_trap 2
	s_sendmsg_rtn_b32 s0, sendmsg(MSG_RTN_GET_DOORBELL)
	s_mov_b32 ttmp2, m0
	s_waitcnt lgkmcnt(0)
	s_and_b32 s0, s0, 0x3ff
	s_delay_alu instid0(SALU_CYCLE_1) | instskip(NEXT) | instid1(SALU_CYCLE_1)
	s_bitset1_b32 s0, 10
	s_mov_b32 m0, s0
	s_sendmsg sendmsg(MSG_INTERRUPT)
	s_mov_b32 m0, ttmp2
.LBB167_1333:                           ; =>This Inner Loop Header: Depth=1
	s_sethalt 5
	s_branch .LBB167_1333
.LBB167_1334:
	s_mov_b32 s9, -1
	s_mov_b32 s6, s39
	s_branch .LBB167_1336
.LBB167_1335:
	s_mov_b32 s6, -1
.LBB167_1336:
                                        ; implicit-def: $vgpr4
.LBB167_1337:
	s_and_b32 vcc_lo, exec_lo, s9
	s_cbranch_vccz .LBB167_1341
; %bb.1338:
	v_cmp_eq_u16_e32 vcc_lo, 44, v7
	s_cbranch_vccz .LBB167_1340
; %bb.1339:
	global_load_u8 v1, v[2:3], off
	s_mov_b32 s6, 0
	s_mov_b32 s7, -1
	s_waitcnt vmcnt(0)
	v_lshlrev_b32_e32 v4, 23, v1
	v_cmp_ne_u32_e32 vcc_lo, 0, v1
	s_delay_alu instid0(VALU_DEP_2) | instskip(NEXT) | instid1(VALU_DEP_1)
	v_trunc_f32_e32 v4, v4
	v_mul_f32_e64 v5, 0x2f800000, |v4|
	s_delay_alu instid0(VALU_DEP_1) | instskip(NEXT) | instid1(VALU_DEP_1)
	v_floor_f32_e32 v5, v5
	v_fma_f32 v5, 0xcf800000, v5, |v4|
	v_ashrrev_i32_e32 v4, 31, v4
	s_delay_alu instid0(VALU_DEP_2) | instskip(NEXT) | instid1(VALU_DEP_1)
	v_cvt_u32_f32_e32 v5, v5
	v_xor_b32_e32 v5, v5, v4
	s_delay_alu instid0(VALU_DEP_1) | instskip(NEXT) | instid1(VALU_DEP_1)
	v_sub_nc_u32_e32 v4, v5, v4
	v_cndmask_b32_e32 v4, 0, v4, vcc_lo
	s_branch .LBB167_1341
.LBB167_1340:
	s_mov_b32 s6, -1
                                        ; implicit-def: $vgpr4
.LBB167_1341:
	s_mov_b32 s9, 0
.LBB167_1342:
	s_delay_alu instid0(SALU_CYCLE_1)
	s_and_b32 vcc_lo, exec_lo, s9
	s_cbranch_vccz .LBB167_1346
; %bb.1343:
	v_cmp_eq_u16_e32 vcc_lo, 29, v7
	s_cbranch_vccz .LBB167_1345
; %bb.1344:
	global_load_b64 v[4:5], v[2:3], off
	s_mov_b32 s6, 0
	s_mov_b32 s7, -1
	s_branch .LBB167_1346
.LBB167_1345:
	s_mov_b32 s6, -1
                                        ; implicit-def: $vgpr4
.LBB167_1346:
	s_mov_b32 s9, 0
.LBB167_1347:
	s_delay_alu instid0(SALU_CYCLE_1)
	s_and_b32 vcc_lo, exec_lo, s9
	s_cbranch_vccz .LBB167_1363
; %bb.1348:
	v_cmp_gt_i16_e32 vcc_lo, 27, v7
	s_cbranch_vccnz .LBB167_1351
; %bb.1349:
	v_cmp_lt_i16_e32 vcc_lo, 27, v7
	s_cbranch_vccz .LBB167_1352
; %bb.1350:
	global_load_b32 v4, v[2:3], off
	s_mov_b32 s7, 0
	s_branch .LBB167_1353
.LBB167_1351:
	s_mov_b32 s7, -1
                                        ; implicit-def: $vgpr4
	s_branch .LBB167_1356
.LBB167_1352:
	s_mov_b32 s7, -1
                                        ; implicit-def: $vgpr4
.LBB167_1353:
	s_delay_alu instid0(SALU_CYCLE_1)
	s_and_not1_b32 vcc_lo, exec_lo, s7
	s_cbranch_vccnz .LBB167_1355
; %bb.1354:
	global_load_u16 v4, v[2:3], off
.LBB167_1355:
	s_mov_b32 s7, 0
.LBB167_1356:
	s_delay_alu instid0(SALU_CYCLE_1)
	s_and_not1_b32 vcc_lo, exec_lo, s7
	s_cbranch_vccnz .LBB167_1362
; %bb.1357:
	global_load_u8 v1, v[2:3], off
	s_mov_b32 s9, 0
	s_mov_b32 s7, exec_lo
                                        ; implicit-def: $sgpr12
	s_waitcnt vmcnt(0)
	v_cmpx_lt_i16_e32 0x7f, v1
	s_xor_b32 s7, exec_lo, s7
	s_cbranch_execz .LBB167_1373
; %bb.1358:
	v_cmp_ne_u16_e32 vcc_lo, 0x80, v1
	s_mov_b32 s12, 0
	s_and_b32 s9, vcc_lo, exec_lo
	s_or_saveexec_b32 s7, s7
	v_mov_b32_e32 v4, s12
	s_xor_b32 exec_lo, exec_lo, s7
	s_cbranch_execnz .LBB167_1374
.LBB167_1359:
	s_or_b32 exec_lo, exec_lo, s7
	s_and_saveexec_b32 s7, s9
	s_cbranch_execz .LBB167_1361
.LBB167_1360:
	v_and_b32_e32 v4, 0xffff, v1
	v_lshlrev_b32_e32 v1, 24, v1
	s_delay_alu instid0(VALU_DEP_2) | instskip(NEXT) | instid1(VALU_DEP_2)
	v_and_b32_e32 v5, 7, v4
	v_and_b32_e32 v1, 0x80000000, v1
	s_delay_alu instid0(VALU_DEP_2) | instskip(NEXT) | instid1(VALU_DEP_1)
	v_clz_i32_u32_e32 v8, v5
	v_min_u32_e32 v8, 32, v8
	s_delay_alu instid0(VALU_DEP_1) | instskip(SKIP_1) | instid1(VALU_DEP_2)
	v_subrev_nc_u32_e32 v9, 28, v8
	v_sub_nc_u32_e32 v8, 29, v8
	v_lshlrev_b32_e32 v9, v9, v4
	v_bfe_u32 v4, v4, 3, 4
	s_delay_alu instid0(VALU_DEP_1) | instskip(NEXT) | instid1(VALU_DEP_3)
	v_cmp_eq_u32_e32 vcc_lo, 0, v4
	v_dual_cndmask_b32 v4, v4, v8 :: v_dual_and_b32 v9, 7, v9
	s_delay_alu instid0(VALU_DEP_1) | instskip(NEXT) | instid1(VALU_DEP_2)
	v_cndmask_b32_e32 v5, v5, v9, vcc_lo
	v_lshl_add_u32 v4, v4, 23, 0x3b800000
	s_delay_alu instid0(VALU_DEP_2) | instskip(NEXT) | instid1(VALU_DEP_1)
	v_lshlrev_b32_e32 v5, 20, v5
	v_or3_b32 v1, v1, v4, v5
	s_delay_alu instid0(VALU_DEP_1) | instskip(NEXT) | instid1(VALU_DEP_1)
	v_trunc_f32_e32 v1, v1
	v_mul_f32_e64 v4, 0x2f800000, |v1|
	s_delay_alu instid0(VALU_DEP_1) | instskip(NEXT) | instid1(VALU_DEP_1)
	v_floor_f32_e32 v4, v4
	v_fma_f32 v4, 0xcf800000, v4, |v1|
	v_ashrrev_i32_e32 v1, 31, v1
	s_delay_alu instid0(VALU_DEP_2) | instskip(NEXT) | instid1(VALU_DEP_1)
	v_cvt_u32_f32_e32 v4, v4
	v_xor_b32_e32 v4, v4, v1
	s_delay_alu instid0(VALU_DEP_1)
	v_sub_nc_u32_e32 v4, v4, v1
.LBB167_1361:
	s_or_b32 exec_lo, exec_lo, s7
.LBB167_1362:
	s_mov_b32 s7, -1
.LBB167_1363:
	s_branch .LBB167_1394
.LBB167_1364:
	v_cmp_lt_i16_e32 vcc_lo, 22, v7
	s_cbranch_vccz .LBB167_1372
; %bb.1365:
	v_cmp_gt_i16_e32 vcc_lo, 24, v7
	s_cbranch_vccnz .LBB167_1375
; %bb.1366:
	v_cmp_lt_i16_e32 vcc_lo, 24, v7
	s_cbranch_vccz .LBB167_1376
; %bb.1367:
	global_load_u8 v1, v[2:3], off
	s_mov_b32 s7, exec_lo
                                        ; implicit-def: $sgpr9
	s_waitcnt vmcnt(0)
	v_cmpx_lt_i16_e32 0x7f, v1
	s_xor_b32 s7, exec_lo, s7
	s_cbranch_execz .LBB167_1388
; %bb.1368:
	v_cmp_ne_u16_e32 vcc_lo, 0x80, v1
	s_mov_b32 s9, 0
	s_and_b32 s8, vcc_lo, exec_lo
	s_or_saveexec_b32 s7, s7
	v_mov_b32_e32 v4, s9
	s_xor_b32 exec_lo, exec_lo, s7
	s_cbranch_execnz .LBB167_1389
.LBB167_1369:
	s_or_b32 exec_lo, exec_lo, s7
	s_and_saveexec_b32 s7, s8
	s_cbranch_execz .LBB167_1371
.LBB167_1370:
	v_and_b32_e32 v4, 0xffff, v1
	v_lshlrev_b32_e32 v1, 24, v1
	s_delay_alu instid0(VALU_DEP_2) | instskip(NEXT) | instid1(VALU_DEP_2)
	v_and_b32_e32 v5, 3, v4
	v_and_b32_e32 v1, 0x80000000, v1
	s_delay_alu instid0(VALU_DEP_2) | instskip(NEXT) | instid1(VALU_DEP_1)
	v_clz_i32_u32_e32 v8, v5
	v_min_u32_e32 v8, 32, v8
	s_delay_alu instid0(VALU_DEP_1) | instskip(SKIP_1) | instid1(VALU_DEP_2)
	v_subrev_nc_u32_e32 v9, 29, v8
	v_sub_nc_u32_e32 v8, 30, v8
	v_lshlrev_b32_e32 v9, v9, v4
	v_bfe_u32 v4, v4, 2, 5
	s_delay_alu instid0(VALU_DEP_1) | instskip(NEXT) | instid1(VALU_DEP_3)
	v_cmp_eq_u32_e32 vcc_lo, 0, v4
	v_dual_cndmask_b32 v4, v4, v8 :: v_dual_and_b32 v9, 3, v9
	s_delay_alu instid0(VALU_DEP_1) | instskip(NEXT) | instid1(VALU_DEP_2)
	v_cndmask_b32_e32 v5, v5, v9, vcc_lo
	v_lshl_add_u32 v4, v4, 23, 0x37800000
	s_delay_alu instid0(VALU_DEP_2) | instskip(NEXT) | instid1(VALU_DEP_1)
	v_lshlrev_b32_e32 v5, 21, v5
	v_or3_b32 v1, v1, v4, v5
	s_delay_alu instid0(VALU_DEP_1) | instskip(NEXT) | instid1(VALU_DEP_1)
	v_trunc_f32_e32 v1, v1
	v_mul_f32_e64 v4, 0x2f800000, |v1|
	s_delay_alu instid0(VALU_DEP_1) | instskip(NEXT) | instid1(VALU_DEP_1)
	v_floor_f32_e32 v4, v4
	v_fma_f32 v4, 0xcf800000, v4, |v1|
	v_ashrrev_i32_e32 v1, 31, v1
	s_delay_alu instid0(VALU_DEP_2) | instskip(NEXT) | instid1(VALU_DEP_1)
	v_cvt_u32_f32_e32 v4, v4
	v_xor_b32_e32 v4, v4, v1
	s_delay_alu instid0(VALU_DEP_1)
	v_sub_nc_u32_e32 v4, v4, v1
.LBB167_1371:
	s_or_b32 exec_lo, exec_lo, s7
	s_mov_b32 s7, 0
	s_branch .LBB167_1377
.LBB167_1372:
	s_mov_b32 s8, -1
                                        ; implicit-def: $vgpr4
	s_branch .LBB167_1383
.LBB167_1373:
	s_or_saveexec_b32 s7, s7
	v_mov_b32_e32 v4, s12
	s_xor_b32 exec_lo, exec_lo, s7
	s_cbranch_execz .LBB167_1359
.LBB167_1374:
	v_cmp_ne_u16_e32 vcc_lo, 0, v1
	v_mov_b32_e32 v4, 0
	s_and_not1_b32 s9, s9, exec_lo
	s_and_b32 s12, vcc_lo, exec_lo
	s_delay_alu instid0(SALU_CYCLE_1)
	s_or_b32 s9, s9, s12
	s_or_b32 exec_lo, exec_lo, s7
	s_and_saveexec_b32 s7, s9
	s_cbranch_execnz .LBB167_1360
	s_branch .LBB167_1361
.LBB167_1375:
	s_mov_b32 s7, -1
                                        ; implicit-def: $vgpr4
	s_branch .LBB167_1380
.LBB167_1376:
	s_mov_b32 s7, -1
                                        ; implicit-def: $vgpr4
.LBB167_1377:
	s_delay_alu instid0(SALU_CYCLE_1)
	s_and_b32 vcc_lo, exec_lo, s7
	s_cbranch_vccz .LBB167_1379
; %bb.1378:
	global_load_u8 v1, v[2:3], off
	s_waitcnt vmcnt(0)
	v_lshlrev_b32_e32 v1, 24, v1
	s_delay_alu instid0(VALU_DEP_1) | instskip(NEXT) | instid1(VALU_DEP_1)
	v_and_b32_e32 v4, 0x7f000000, v1
	v_clz_i32_u32_e32 v5, v4
	v_cmp_ne_u32_e32 vcc_lo, 0, v4
	v_add_nc_u32_e32 v9, 0x1000000, v4
	s_delay_alu instid0(VALU_DEP_3) | instskip(NEXT) | instid1(VALU_DEP_1)
	v_min_u32_e32 v5, 32, v5
	v_sub_nc_u32_e64 v5, v5, 4 clamp
	s_delay_alu instid0(VALU_DEP_1) | instskip(SKIP_1) | instid1(VALU_DEP_2)
	v_lshlrev_b32_e32 v8, v5, v4
	v_lshlrev_b32_e32 v5, 23, v5
	v_lshrrev_b32_e32 v8, 4, v8
	s_delay_alu instid0(VALU_DEP_1) | instskip(SKIP_1) | instid1(VALU_DEP_2)
	v_sub_nc_u32_e32 v5, v8, v5
	v_ashrrev_i32_e32 v8, 8, v9
	v_add_nc_u32_e32 v5, 0x3c000000, v5
	s_delay_alu instid0(VALU_DEP_1) | instskip(NEXT) | instid1(VALU_DEP_1)
	v_and_or_b32 v5, 0x7f800000, v8, v5
	v_cndmask_b32_e32 v4, 0, v5, vcc_lo
	s_delay_alu instid0(VALU_DEP_1) | instskip(NEXT) | instid1(VALU_DEP_1)
	v_and_or_b32 v1, 0x80000000, v1, v4
	v_trunc_f32_e32 v1, v1
	s_delay_alu instid0(VALU_DEP_1) | instskip(NEXT) | instid1(VALU_DEP_1)
	v_mul_f32_e64 v4, 0x2f800000, |v1|
	v_floor_f32_e32 v4, v4
	s_delay_alu instid0(VALU_DEP_1) | instskip(SKIP_1) | instid1(VALU_DEP_2)
	v_fma_f32 v4, 0xcf800000, v4, |v1|
	v_ashrrev_i32_e32 v1, 31, v1
	v_cvt_u32_f32_e32 v4, v4
	s_delay_alu instid0(VALU_DEP_1) | instskip(NEXT) | instid1(VALU_DEP_1)
	v_xor_b32_e32 v4, v4, v1
	v_sub_nc_u32_e32 v4, v4, v1
.LBB167_1379:
	s_mov_b32 s7, 0
.LBB167_1380:
	s_delay_alu instid0(SALU_CYCLE_1)
	s_and_not1_b32 vcc_lo, exec_lo, s7
	s_cbranch_vccnz .LBB167_1382
; %bb.1381:
	global_load_u8 v1, v[2:3], off
	s_waitcnt vmcnt(0)
	v_lshlrev_b32_e32 v4, 25, v1
	v_lshlrev_b16 v1, 8, v1
	s_delay_alu instid0(VALU_DEP_2) | instskip(NEXT) | instid1(VALU_DEP_2)
	v_lshrrev_b32_e32 v5, 4, v4
	v_and_or_b32 v8, 0x7f00, v1, 0.5
	v_cmp_gt_u32_e32 vcc_lo, 0x8000000, v4
	v_bfe_i32 v1, v1, 0, 16
	s_delay_alu instid0(VALU_DEP_4) | instskip(NEXT) | instid1(VALU_DEP_1)
	v_or_b32_e32 v5, 0x70000000, v5
	v_dual_add_f32 v8, -0.5, v8 :: v_dual_mul_f32 v5, 0x7800000, v5
	s_delay_alu instid0(VALU_DEP_1) | instskip(NEXT) | instid1(VALU_DEP_1)
	v_cndmask_b32_e32 v4, v5, v8, vcc_lo
	v_and_or_b32 v1, 0x80000000, v1, v4
	s_delay_alu instid0(VALU_DEP_1) | instskip(NEXT) | instid1(VALU_DEP_1)
	v_trunc_f32_e32 v1, v1
	v_mul_f32_e64 v4, 0x2f800000, |v1|
	s_delay_alu instid0(VALU_DEP_1) | instskip(NEXT) | instid1(VALU_DEP_1)
	v_floor_f32_e32 v4, v4
	v_fma_f32 v4, 0xcf800000, v4, |v1|
	v_ashrrev_i32_e32 v1, 31, v1
	s_delay_alu instid0(VALU_DEP_2) | instskip(NEXT) | instid1(VALU_DEP_1)
	v_cvt_u32_f32_e32 v4, v4
	v_xor_b32_e32 v4, v4, v1
	s_delay_alu instid0(VALU_DEP_1)
	v_sub_nc_u32_e32 v4, v4, v1
.LBB167_1382:
	s_mov_b32 s8, 0
	s_mov_b32 s7, -1
.LBB167_1383:
	s_and_not1_b32 vcc_lo, exec_lo, s8
	s_mov_b32 s8, 0
	s_cbranch_vccnz .LBB167_1394
; %bb.1384:
	v_cmp_lt_i16_e32 vcc_lo, 14, v7
	s_cbranch_vccz .LBB167_1387
; %bb.1385:
	v_cmp_eq_u16_e32 vcc_lo, 15, v7
	s_cbranch_vccz .LBB167_1390
; %bb.1386:
	global_load_u16 v1, v[2:3], off
	s_mov_b32 s6, 0
	s_mov_b32 s7, -1
	s_waitcnt vmcnt(0)
	v_lshlrev_b32_e32 v1, 16, v1
	s_delay_alu instid0(VALU_DEP_1) | instskip(NEXT) | instid1(VALU_DEP_1)
	v_trunc_f32_e32 v1, v1
	v_mul_f32_e64 v4, 0x2f800000, |v1|
	s_delay_alu instid0(VALU_DEP_1) | instskip(NEXT) | instid1(VALU_DEP_1)
	v_floor_f32_e32 v4, v4
	v_fma_f32 v4, 0xcf800000, v4, |v1|
	v_ashrrev_i32_e32 v1, 31, v1
	s_delay_alu instid0(VALU_DEP_2) | instskip(NEXT) | instid1(VALU_DEP_1)
	v_cvt_u32_f32_e32 v4, v4
	v_xor_b32_e32 v4, v4, v1
	s_delay_alu instid0(VALU_DEP_1)
	v_sub_nc_u32_e32 v4, v4, v1
	s_branch .LBB167_1392
.LBB167_1387:
	s_mov_b32 s8, -1
	s_branch .LBB167_1391
.LBB167_1388:
	s_or_saveexec_b32 s7, s7
	v_mov_b32_e32 v4, s9
	s_xor_b32 exec_lo, exec_lo, s7
	s_cbranch_execz .LBB167_1369
.LBB167_1389:
	v_cmp_ne_u16_e32 vcc_lo, 0, v1
	v_mov_b32_e32 v4, 0
	s_and_not1_b32 s8, s8, exec_lo
	s_and_b32 s9, vcc_lo, exec_lo
	s_delay_alu instid0(SALU_CYCLE_1)
	s_or_b32 s8, s8, s9
	s_or_b32 exec_lo, exec_lo, s7
	s_and_saveexec_b32 s7, s8
	s_cbranch_execnz .LBB167_1370
	s_branch .LBB167_1371
.LBB167_1390:
	s_mov_b32 s6, -1
.LBB167_1391:
                                        ; implicit-def: $vgpr4
.LBB167_1392:
	s_and_b32 vcc_lo, exec_lo, s8
	s_mov_b32 s8, 0
	s_cbranch_vccz .LBB167_1394
; %bb.1393:
	v_cmp_ne_u16_e32 vcc_lo, 11, v7
	s_and_not1_b32 s6, s6, exec_lo
	s_mov_b32 s8, -1
                                        ; implicit-def: $vgpr4
	s_and_b32 s9, vcc_lo, exec_lo
	s_delay_alu instid0(SALU_CYCLE_1)
	s_or_b32 s6, s6, s9
.LBB167_1394:
	s_mov_b32 s9, 0
.LBB167_1395:
	s_delay_alu instid0(SALU_CYCLE_1)
	s_and_b32 s12, s9, exec_lo
	s_and_not1_b32 s9, s39, exec_lo
	s_and_b32 s13, s6, exec_lo
	s_and_b32 s7, s7, exec_lo
	;; [unrolled: 1-line block ×3, first 2 shown]
	s_or_b32 s39, s9, s13
.LBB167_1396:
	s_or_b32 exec_lo, exec_lo, s2
	s_and_saveexec_b32 s2, s39
	s_cbranch_execnz .LBB167_1408
; %bb.1397:
	s_or_b32 exec_lo, exec_lo, s2
	s_and_saveexec_b32 s2, s6
	s_delay_alu instid0(SALU_CYCLE_1)
	s_xor_b32 s2, exec_lo, s2
	s_cbranch_execz .LBB167_1399
.LBB167_1398:
	s_waitcnt vmcnt(0)
	global_load_u8 v1, v[2:3], off
	s_or_b32 s7, s7, exec_lo
	s_waitcnt vmcnt(0)
	v_cmp_ne_u16_e32 vcc_lo, 0, v1
	v_cndmask_b32_e64 v4, 0, 1, vcc_lo
.LBB167_1399:
	s_or_b32 exec_lo, exec_lo, s2
	s_and_saveexec_b32 s2, s12
	s_cbranch_execz .LBB167_1447
; %bb.1400:
	v_cmp_gt_i16_e32 vcc_lo, 5, v7
	s_cbranch_vccnz .LBB167_1405
; %bb.1401:
	v_cmp_gt_i16_e32 vcc_lo, 8, v7
	s_cbranch_vccnz .LBB167_1406
	;; [unrolled: 3-line block ×3, first 2 shown]
; %bb.1403:
	v_cmp_lt_i16_e32 vcc_lo, 9, v7
	s_cbranch_vccz .LBB167_1410
; %bb.1404:
	s_waitcnt vmcnt(0)
	global_load_b64 v[4:5], v[2:3], off
	s_mov_b32 s6, 0
	s_waitcnt vmcnt(0)
	v_trunc_f64_e32 v[4:5], v[4:5]
	s_delay_alu instid0(VALU_DEP_1) | instskip(NEXT) | instid1(VALU_DEP_1)
	v_ldexp_f64 v[8:9], v[4:5], 0xffffffe0
	v_floor_f64_e32 v[8:9], v[8:9]
	s_delay_alu instid0(VALU_DEP_1) | instskip(NEXT) | instid1(VALU_DEP_1)
	v_fma_f64 v[4:5], 0xc1f00000, v[8:9], v[4:5]
	v_cvt_u32_f64_e32 v4, v[4:5]
	s_branch .LBB167_1411
.LBB167_1405:
                                        ; implicit-def: $vgpr4
	s_branch .LBB167_1428
.LBB167_1406:
                                        ; implicit-def: $vgpr4
	s_branch .LBB167_1417
.LBB167_1407:
	s_mov_b32 s6, -1
                                        ; implicit-def: $vgpr4
	s_branch .LBB167_1414
.LBB167_1408:
	s_cbranch_execnz .LBB167_1666
; %bb.1409:
	s_or_b32 s3, s3, exec_lo
	s_and_not1_b32 s6, s6, exec_lo
                                        ; implicit-def: $vgpr4
	s_or_b32 exec_lo, exec_lo, s2
	s_and_saveexec_b32 s2, s6
	s_delay_alu instid0(SALU_CYCLE_1)
	s_xor_b32 s2, exec_lo, s2
	s_cbranch_execnz .LBB167_1398
	s_branch .LBB167_1399
.LBB167_1410:
	s_mov_b32 s6, -1
                                        ; implicit-def: $vgpr4
.LBB167_1411:
	s_delay_alu instid0(SALU_CYCLE_1)
	s_and_not1_b32 vcc_lo, exec_lo, s6
	s_cbranch_vccnz .LBB167_1413
; %bb.1412:
	s_waitcnt vmcnt(0)
	global_load_b32 v1, v[2:3], off
	s_waitcnt vmcnt(0)
	v_trunc_f32_e32 v1, v1
	s_delay_alu instid0(VALU_DEP_1) | instskip(NEXT) | instid1(VALU_DEP_1)
	v_mul_f32_e64 v4, 0x2f800000, |v1|
	v_floor_f32_e32 v4, v4
	s_delay_alu instid0(VALU_DEP_1) | instskip(SKIP_1) | instid1(VALU_DEP_2)
	v_fma_f32 v4, 0xcf800000, v4, |v1|
	v_ashrrev_i32_e32 v1, 31, v1
	v_cvt_u32_f32_e32 v4, v4
	s_delay_alu instid0(VALU_DEP_1) | instskip(NEXT) | instid1(VALU_DEP_1)
	v_xor_b32_e32 v4, v4, v1
	v_sub_nc_u32_e32 v4, v4, v1
.LBB167_1413:
	s_mov_b32 s6, 0
.LBB167_1414:
	s_delay_alu instid0(SALU_CYCLE_1)
	s_and_not1_b32 vcc_lo, exec_lo, s6
	s_cbranch_vccnz .LBB167_1416
; %bb.1415:
	s_waitcnt vmcnt(0)
	global_load_b32 v1, v[2:3], off
	s_waitcnt vmcnt(0)
	v_cvt_f32_f16_e32 v1, v1
	s_delay_alu instid0(VALU_DEP_1)
	v_cvt_i32_f32_e32 v4, v1
.LBB167_1416:
	s_cbranch_execnz .LBB167_1427
.LBB167_1417:
	v_cmp_gt_i16_e32 vcc_lo, 6, v7
	s_cbranch_vccnz .LBB167_1420
; %bb.1418:
	v_cmp_lt_i16_e32 vcc_lo, 6, v7
	s_cbranch_vccz .LBB167_1421
; %bb.1419:
	s_waitcnt vmcnt(0)
	global_load_b64 v[4:5], v[2:3], off
	s_mov_b32 s6, 0
	s_waitcnt vmcnt(0)
	v_trunc_f64_e32 v[4:5], v[4:5]
	s_delay_alu instid0(VALU_DEP_1) | instskip(NEXT) | instid1(VALU_DEP_1)
	v_ldexp_f64 v[8:9], v[4:5], 0xffffffe0
	v_floor_f64_e32 v[8:9], v[8:9]
	s_delay_alu instid0(VALU_DEP_1) | instskip(NEXT) | instid1(VALU_DEP_1)
	v_fma_f64 v[4:5], 0xc1f00000, v[8:9], v[4:5]
	v_cvt_u32_f64_e32 v4, v[4:5]
	s_branch .LBB167_1422
.LBB167_1420:
	s_mov_b32 s6, -1
                                        ; implicit-def: $vgpr4
	s_branch .LBB167_1425
.LBB167_1421:
	s_mov_b32 s6, -1
                                        ; implicit-def: $vgpr4
.LBB167_1422:
	s_delay_alu instid0(SALU_CYCLE_1)
	s_and_not1_b32 vcc_lo, exec_lo, s6
	s_cbranch_vccnz .LBB167_1424
; %bb.1423:
	s_waitcnt vmcnt(0)
	global_load_b32 v1, v[2:3], off
	s_waitcnt vmcnt(0)
	v_trunc_f32_e32 v1, v1
	s_delay_alu instid0(VALU_DEP_1) | instskip(NEXT) | instid1(VALU_DEP_1)
	v_mul_f32_e64 v4, 0x2f800000, |v1|
	v_floor_f32_e32 v4, v4
	s_delay_alu instid0(VALU_DEP_1) | instskip(SKIP_1) | instid1(VALU_DEP_2)
	v_fma_f32 v4, 0xcf800000, v4, |v1|
	v_ashrrev_i32_e32 v1, 31, v1
	v_cvt_u32_f32_e32 v4, v4
	s_delay_alu instid0(VALU_DEP_1) | instskip(NEXT) | instid1(VALU_DEP_1)
	v_xor_b32_e32 v4, v4, v1
	v_sub_nc_u32_e32 v4, v4, v1
.LBB167_1424:
	s_mov_b32 s6, 0
.LBB167_1425:
	s_delay_alu instid0(SALU_CYCLE_1)
	s_and_not1_b32 vcc_lo, exec_lo, s6
	s_cbranch_vccnz .LBB167_1427
; %bb.1426:
	s_waitcnt vmcnt(0)
	global_load_u16 v1, v[2:3], off
	s_waitcnt vmcnt(0)
	v_cvt_f32_f16_e32 v1, v1
	s_delay_alu instid0(VALU_DEP_1)
	v_cvt_i32_f32_e32 v4, v1
.LBB167_1427:
	s_cbranch_execnz .LBB167_1446
.LBB167_1428:
	v_cmp_gt_i16_e32 vcc_lo, 2, v7
	s_cbranch_vccnz .LBB167_1432
; %bb.1429:
	v_cmp_gt_i16_e32 vcc_lo, 3, v7
	s_cbranch_vccnz .LBB167_1433
; %bb.1430:
	v_cmp_lt_i16_e32 vcc_lo, 3, v7
	s_cbranch_vccz .LBB167_1434
; %bb.1431:
	s_waitcnt vmcnt(0)
	global_load_b64 v[4:5], v[2:3], off
	s_mov_b32 s6, 0
	s_branch .LBB167_1435
.LBB167_1432:
                                        ; implicit-def: $vgpr4
	s_branch .LBB167_1441
.LBB167_1433:
	s_mov_b32 s6, -1
                                        ; implicit-def: $vgpr4
	s_branch .LBB167_1438
.LBB167_1434:
	s_mov_b32 s6, -1
                                        ; implicit-def: $vgpr4
.LBB167_1435:
	s_delay_alu instid0(SALU_CYCLE_1)
	s_and_not1_b32 vcc_lo, exec_lo, s6
	s_cbranch_vccnz .LBB167_1437
; %bb.1436:
	s_waitcnt vmcnt(0)
	global_load_b32 v4, v[2:3], off
.LBB167_1437:
	s_mov_b32 s6, 0
.LBB167_1438:
	s_delay_alu instid0(SALU_CYCLE_1)
	s_and_not1_b32 vcc_lo, exec_lo, s6
	s_cbranch_vccnz .LBB167_1440
; %bb.1439:
	s_waitcnt vmcnt(0)
	global_load_u16 v4, v[2:3], off
.LBB167_1440:
	s_cbranch_execnz .LBB167_1446
.LBB167_1441:
	v_cmp_lt_i16_e32 vcc_lo, 0, v7
	s_mov_b32 s6, 0
	s_cbranch_vccz .LBB167_1443
; %bb.1442:
	s_waitcnt vmcnt(0)
	global_load_u8 v4, v[2:3], off
	s_branch .LBB167_1444
.LBB167_1443:
	s_mov_b32 s6, -1
                                        ; implicit-def: $vgpr4
.LBB167_1444:
	s_delay_alu instid0(SALU_CYCLE_1)
	s_and_not1_b32 vcc_lo, exec_lo, s6
	s_cbranch_vccnz .LBB167_1446
; %bb.1445:
	s_waitcnt vmcnt(0)
	global_load_u8 v4, v[2:3], off
.LBB167_1446:
	s_or_b32 s7, s7, exec_lo
.LBB167_1447:
	s_or_b32 exec_lo, exec_lo, s2
	s_mov_b32 s2, 0
	s_mov_b32 s8, 0
                                        ; implicit-def: $vgpr5
                                        ; implicit-def: $vgpr1_vgpr2
                                        ; implicit-def: $vgpr3
	s_and_saveexec_b32 s6, s7
	s_cbranch_execz .LBB167_1524
; %bb.1448:
	s_waitcnt vmcnt(0)
	s_delay_alu instid0(VALU_DEP_1) | instskip(SKIP_3) | instid1(VALU_DEP_2)
	v_cvt_f32_ubyte0_e32 v1, v4
	v_cvt_f32_f16_e32 v2, v6
	v_and_b32_e64 v5, 0xff, s11
	s_mov_b32 s7, 0
	v_mul_f32_e32 v3, v2, v1
	s_delay_alu instid0(VALU_DEP_2) | instskip(SKIP_1) | instid1(VALU_DEP_1)
	v_cmp_gt_i16_e32 vcc_lo, 11, v5
	v_add_co_u32 v1, s2, s4, v0
	v_add_co_ci_u32_e64 v2, null, s5, 0, s2
	s_delay_alu instid0(VALU_DEP_4)
	v_fma_mixlo_f16 v3, s10, v3, 0
	s_mov_b32 s4, -1
	s_mov_b32 s2, s38
	s_cbranch_vccnz .LBB167_1523
; %bb.1449:
	v_cmp_lt_i16_e32 vcc_lo, 25, v5
	s_mov_b32 s2, s38
	s_cbranch_vccz .LBB167_1482
; %bb.1450:
	v_cmp_lt_i16_e32 vcc_lo, 28, v5
	s_mov_b32 s2, s38
	s_cbranch_vccz .LBB167_1466
	;; [unrolled: 4-line block ×4, first 2 shown]
; %bb.1453:
	v_cmp_eq_u16_e32 vcc_lo, 46, v5
	s_mov_b32 s2, -1
	s_cbranch_vccz .LBB167_1455
; %bb.1454:
	v_cvt_f32_f16_e32 v0, v3
	v_cmp_o_f16_e32 vcc_lo, v3, v3
	s_mov_b32 s2, 0
	s_delay_alu instid0(VALU_DEP_2) | instskip(NEXT) | instid1(VALU_DEP_1)
	v_bfe_u32 v4, v0, 16, 1
	v_add3_u32 v0, v0, v4, 0x7fff
	s_delay_alu instid0(VALU_DEP_1) | instskip(NEXT) | instid1(VALU_DEP_1)
	v_lshrrev_b32_e32 v0, 16, v0
	v_cndmask_b32_e32 v0, 0x7fc0, v0, vcc_lo
	global_store_b32 v[1:2], v0, off
.LBB167_1455:
	s_mov_b32 s4, 0
.LBB167_1456:
	s_delay_alu instid0(SALU_CYCLE_1)
	s_and_b32 vcc_lo, exec_lo, s4
	s_cbranch_vccz .LBB167_1461
; %bb.1457:
	v_cmp_eq_u16_e32 vcc_lo, 44, v5
	s_mov_b32 s2, -1
	s_cbranch_vccz .LBB167_1461
; %bb.1458:
	v_cvt_f32_f16_e32 v0, v3
	v_mov_b32_e32 v4, 0xff
	s_mov_b32 s4, exec_lo
	s_delay_alu instid0(VALU_DEP_2) | instskip(NEXT) | instid1(VALU_DEP_1)
	v_bfe_u32 v6, v0, 23, 8
	v_cmpx_ne_u32_e32 0xff, v6
; %bb.1459:
	v_and_b32_e32 v4, 0x400000, v0
	v_and_or_b32 v6, 0x3fffff, v0, v6
	v_lshrrev_b32_e32 v0, 23, v0
	s_delay_alu instid0(VALU_DEP_3) | instskip(NEXT) | instid1(VALU_DEP_3)
	v_cmp_ne_u32_e32 vcc_lo, 0, v4
	v_cmp_ne_u32_e64 s2, 0, v6
	s_delay_alu instid0(VALU_DEP_1) | instskip(NEXT) | instid1(SALU_CYCLE_1)
	s_and_b32 s2, vcc_lo, s2
	v_cndmask_b32_e64 v4, 0, 1, s2
	s_delay_alu instid0(VALU_DEP_1)
	v_add_nc_u32_e32 v4, v0, v4
; %bb.1460:
	s_or_b32 exec_lo, exec_lo, s4
	s_mov_b32 s2, 0
	global_store_b8 v[1:2], v4, off
.LBB167_1461:
	s_mov_b32 s4, 0
.LBB167_1462:
	s_delay_alu instid0(SALU_CYCLE_1)
	s_and_b32 vcc_lo, exec_lo, s4
	s_cbranch_vccz .LBB167_1465
; %bb.1463:
	v_cmp_eq_u16_e32 vcc_lo, 29, v5
	s_mov_b32 s2, -1
	s_cbranch_vccz .LBB167_1465
; %bb.1464:
	v_cvt_f32_f16_e32 v0, v3
	v_mov_b32_e32 v7, 0
	s_mov_b32 s2, 0
	s_delay_alu instid0(VALU_DEP_2)
	v_cvt_u32_f32_e32 v6, v0
	global_store_b64 v[1:2], v[6:7], off
.LBB167_1465:
	s_mov_b32 s4, 0
.LBB167_1466:
	s_delay_alu instid0(SALU_CYCLE_1)
	s_and_b32 vcc_lo, exec_lo, s4
	s_cbranch_vccz .LBB167_1481
; %bb.1467:
	v_cmp_gt_i16_e32 vcc_lo, 27, v5
	s_mov_b32 s4, -1
	s_cbranch_vccnz .LBB167_1473
; %bb.1468:
	v_cmp_lt_i16_e32 vcc_lo, 27, v5
	s_cbranch_vccz .LBB167_1470
; %bb.1469:
	v_cvt_f32_f16_e32 v0, v3
	s_mov_b32 s4, 0
	s_delay_alu instid0(VALU_DEP_1)
	v_cvt_u32_f32_e32 v0, v0
	global_store_b32 v[1:2], v0, off
.LBB167_1470:
	s_and_not1_b32 vcc_lo, exec_lo, s4
	s_cbranch_vccnz .LBB167_1472
; %bb.1471:
	v_cvt_u16_f16_e32 v0, v3
	global_store_b16 v[1:2], v0, off
.LBB167_1472:
	s_mov_b32 s4, 0
.LBB167_1473:
	s_delay_alu instid0(SALU_CYCLE_1)
	s_and_not1_b32 vcc_lo, exec_lo, s4
	s_cbranch_vccnz .LBB167_1481
; %bb.1474:
	v_cvt_f32_f16_e32 v0, v3
	v_mov_b32_e32 v6, 0x80
	s_mov_b32 s4, exec_lo
	s_delay_alu instid0(VALU_DEP_2) | instskip(NEXT) | instid1(VALU_DEP_1)
	v_and_b32_e32 v4, 0x7fffffff, v0
	v_cmpx_gt_u32_e32 0x43800000, v4
	s_cbranch_execz .LBB167_1480
; %bb.1475:
	v_cmp_lt_u32_e32 vcc_lo, 0x3bffffff, v4
	s_mov_b32 s5, 0
                                        ; implicit-def: $vgpr4
	s_and_saveexec_b32 s7, vcc_lo
	s_delay_alu instid0(SALU_CYCLE_1)
	s_xor_b32 s7, exec_lo, s7
	s_cbranch_execz .LBB167_1758
; %bb.1476:
	v_bfe_u32 v4, v0, 20, 1
	s_mov_b32 s5, exec_lo
	s_delay_alu instid0(VALU_DEP_1) | instskip(NEXT) | instid1(VALU_DEP_1)
	v_add3_u32 v4, v0, v4, 0x487ffff
	v_lshrrev_b32_e32 v4, 20, v4
	s_or_saveexec_b32 s7, s7
                                        ; implicit-def: $sgpr8
	s_delay_alu instid0(SALU_CYCLE_1)
	s_xor_b32 exec_lo, exec_lo, s7
	s_cbranch_execnz .LBB167_1759
.LBB167_1477:
	s_or_b32 exec_lo, exec_lo, s7
	v_mov_b32_e32 v6, s8
	s_and_saveexec_b32 s7, s5
.LBB167_1478:
	v_lshrrev_b32_e32 v0, 24, v0
	s_delay_alu instid0(VALU_DEP_1)
	v_and_or_b32 v6, 0x80, v0, v4
.LBB167_1479:
	s_or_b32 exec_lo, exec_lo, s7
.LBB167_1480:
	s_delay_alu instid0(SALU_CYCLE_1)
	s_or_b32 exec_lo, exec_lo, s4
	global_store_b8 v[1:2], v6, off
.LBB167_1481:
	s_mov_b32 s4, 0
.LBB167_1482:
	s_delay_alu instid0(SALU_CYCLE_1)
	s_and_b32 vcc_lo, exec_lo, s4
	s_mov_b32 s4, 0
	s_cbranch_vccz .LBB167_1522
; %bb.1483:
	v_cmp_lt_i16_e32 vcc_lo, 22, v5
	s_mov_b32 s5, -1
	s_cbranch_vccz .LBB167_1515
; %bb.1484:
	v_cmp_gt_i16_e32 vcc_lo, 24, v5
	s_cbranch_vccnz .LBB167_1504
; %bb.1485:
	v_cmp_lt_i16_e32 vcc_lo, 24, v5
	s_cbranch_vccz .LBB167_1493
; %bb.1486:
	v_cvt_f32_f16_e32 v0, v3
	v_mov_b32_e32 v6, 0x80
	s_mov_b32 s5, exec_lo
	s_delay_alu instid0(VALU_DEP_2) | instskip(NEXT) | instid1(VALU_DEP_1)
	v_and_b32_e32 v4, 0x7fffffff, v0
	v_cmpx_gt_u32_e32 0x47800000, v4
	s_cbranch_execz .LBB167_1492
; %bb.1487:
	v_cmp_lt_u32_e32 vcc_lo, 0x37ffffff, v4
	s_mov_b32 s7, 0
                                        ; implicit-def: $vgpr4
	s_and_saveexec_b32 s8, vcc_lo
	s_delay_alu instid0(SALU_CYCLE_1)
	s_xor_b32 s8, exec_lo, s8
	s_cbranch_execz .LBB167_1886
; %bb.1488:
	v_bfe_u32 v4, v0, 21, 1
	s_mov_b32 s7, exec_lo
	s_delay_alu instid0(VALU_DEP_1) | instskip(NEXT) | instid1(VALU_DEP_1)
	v_add3_u32 v4, v0, v4, 0x88fffff
	v_lshrrev_b32_e32 v4, 21, v4
	s_or_saveexec_b32 s8, s8
                                        ; implicit-def: $sgpr9
	s_delay_alu instid0(SALU_CYCLE_1)
	s_xor_b32 exec_lo, exec_lo, s8
	s_cbranch_execnz .LBB167_1887
.LBB167_1489:
	s_or_b32 exec_lo, exec_lo, s8
	v_mov_b32_e32 v6, s9
	s_and_saveexec_b32 s8, s7
.LBB167_1490:
	v_lshrrev_b32_e32 v0, 24, v0
	s_delay_alu instid0(VALU_DEP_1)
	v_and_or_b32 v6, 0x80, v0, v4
.LBB167_1491:
	s_or_b32 exec_lo, exec_lo, s8
.LBB167_1492:
	s_delay_alu instid0(SALU_CYCLE_1)
	s_or_b32 exec_lo, exec_lo, s5
	s_mov_b32 s5, 0
	global_store_b8 v[1:2], v6, off
.LBB167_1493:
	s_and_b32 vcc_lo, exec_lo, s5
	s_cbranch_vccz .LBB167_1503
; %bb.1494:
	v_cvt_f32_f16_e32 v0, v3
	s_mov_b32 s5, exec_lo
                                        ; implicit-def: $vgpr4
	s_delay_alu instid0(VALU_DEP_1) | instskip(NEXT) | instid1(VALU_DEP_1)
	v_and_b32_e32 v6, 0x7fffffff, v0
	v_cmpx_gt_u32_e32 0x43f00000, v6
	s_xor_b32 s5, exec_lo, s5
	s_cbranch_execz .LBB167_1500
; %bb.1495:
	s_mov_b32 s7, exec_lo
                                        ; implicit-def: $vgpr4
	v_cmpx_lt_u32_e32 0x3c7fffff, v6
	s_xor_b32 s7, exec_lo, s7
; %bb.1496:
	v_bfe_u32 v4, v0, 20, 1
	s_delay_alu instid0(VALU_DEP_1) | instskip(NEXT) | instid1(VALU_DEP_1)
	v_add3_u32 v4, v0, v4, 0x407ffff
	v_and_b32_e32 v6, 0xff00000, v4
	v_lshrrev_b32_e32 v4, 20, v4
	s_delay_alu instid0(VALU_DEP_2) | instskip(NEXT) | instid1(VALU_DEP_2)
	v_cmp_ne_u32_e32 vcc_lo, 0x7f00000, v6
	v_cndmask_b32_e32 v4, 0x7e, v4, vcc_lo
; %bb.1497:
	s_and_not1_saveexec_b32 s7, s7
; %bb.1498:
	v_add_f32_e64 v4, 0x46800000, |v0|
; %bb.1499:
	s_or_b32 exec_lo, exec_lo, s7
                                        ; implicit-def: $vgpr6
.LBB167_1500:
	s_and_not1_saveexec_b32 s5, s5
; %bb.1501:
	v_mov_b32_e32 v4, 0x7f
	v_cmp_lt_u32_e32 vcc_lo, 0x7f800000, v6
	s_delay_alu instid0(VALU_DEP_2)
	v_cndmask_b32_e32 v4, 0x7e, v4, vcc_lo
; %bb.1502:
	s_or_b32 exec_lo, exec_lo, s5
	v_lshrrev_b32_e32 v0, 24, v0
	s_delay_alu instid0(VALU_DEP_1)
	v_and_or_b32 v0, 0x80, v0, v4
	global_store_b8 v[1:2], v0, off
.LBB167_1503:
	s_mov_b32 s5, 0
.LBB167_1504:
	s_delay_alu instid0(SALU_CYCLE_1)
	s_and_not1_b32 vcc_lo, exec_lo, s5
	s_cbranch_vccnz .LBB167_1514
; %bb.1505:
	v_cvt_f32_f16_e32 v0, v3
	s_mov_b32 s5, exec_lo
                                        ; implicit-def: $vgpr4
	s_delay_alu instid0(VALU_DEP_1) | instskip(NEXT) | instid1(VALU_DEP_1)
	v_and_b32_e32 v6, 0x7fffffff, v0
	v_cmpx_gt_u32_e32 0x47800000, v6
	s_xor_b32 s5, exec_lo, s5
	s_cbranch_execz .LBB167_1511
; %bb.1506:
	s_mov_b32 s7, exec_lo
                                        ; implicit-def: $vgpr4
	v_cmpx_lt_u32_e32 0x387fffff, v6
	s_xor_b32 s7, exec_lo, s7
; %bb.1507:
	v_bfe_u32 v4, v0, 21, 1
	s_delay_alu instid0(VALU_DEP_1) | instskip(NEXT) | instid1(VALU_DEP_1)
	v_add3_u32 v4, v0, v4, 0x80fffff
	v_lshrrev_b32_e32 v4, 21, v4
; %bb.1508:
	s_and_not1_saveexec_b32 s7, s7
; %bb.1509:
	v_add_f32_e64 v4, 0x43000000, |v0|
; %bb.1510:
	s_or_b32 exec_lo, exec_lo, s7
                                        ; implicit-def: $vgpr6
.LBB167_1511:
	s_and_not1_saveexec_b32 s5, s5
; %bb.1512:
	v_mov_b32_e32 v4, 0x7f
	v_cmp_lt_u32_e32 vcc_lo, 0x7f800000, v6
	s_delay_alu instid0(VALU_DEP_2)
	v_cndmask_b32_e32 v4, 0x7c, v4, vcc_lo
; %bb.1513:
	s_or_b32 exec_lo, exec_lo, s5
	v_lshrrev_b32_e32 v0, 24, v0
	s_delay_alu instid0(VALU_DEP_1)
	v_and_or_b32 v0, 0x80, v0, v4
	global_store_b8 v[1:2], v0, off
.LBB167_1514:
	s_mov_b32 s5, 0
.LBB167_1515:
	s_delay_alu instid0(SALU_CYCLE_1)
	s_and_not1_b32 vcc_lo, exec_lo, s5
	s_mov_b32 s7, 0
	s_cbranch_vccnz .LBB167_1523
; %bb.1516:
	v_cmp_lt_i16_e32 vcc_lo, 14, v5
	s_mov_b32 s5, -1
	s_cbranch_vccz .LBB167_1520
; %bb.1517:
	v_cmp_eq_u16_e32 vcc_lo, 15, v5
	s_mov_b32 s2, -1
	s_cbranch_vccz .LBB167_1519
; %bb.1518:
	v_cvt_f32_f16_e32 v0, v3
	v_cmp_o_f16_e32 vcc_lo, v3, v3
	s_mov_b32 s2, 0
	s_delay_alu instid0(VALU_DEP_2) | instskip(NEXT) | instid1(VALU_DEP_1)
	v_bfe_u32 v4, v0, 16, 1
	v_add3_u32 v0, v0, v4, 0x7fff
	s_delay_alu instid0(VALU_DEP_1) | instskip(NEXT) | instid1(VALU_DEP_1)
	v_lshrrev_b32_e32 v0, 16, v0
	v_cndmask_b32_e32 v0, 0x7fc0, v0, vcc_lo
	global_store_b16 v[1:2], v0, off
.LBB167_1519:
	s_mov_b32 s5, 0
.LBB167_1520:
	s_delay_alu instid0(SALU_CYCLE_1)
	s_and_b32 vcc_lo, exec_lo, s5
	s_cbranch_vccz .LBB167_1523
; %bb.1521:
	v_cmp_ne_u16_e32 vcc_lo, 11, v5
	s_and_not1_b32 s2, s2, exec_lo
	s_mov_b32 s7, -1
	s_and_b32 s5, vcc_lo, exec_lo
	s_delay_alu instid0(SALU_CYCLE_1)
	s_or_b32 s2, s2, s5
	s_branch .LBB167_1523
.LBB167_1522:
	s_mov_b32 s7, 0
.LBB167_1523:
	s_and_b32 s8, s4, exec_lo
	s_and_not1_b32 s4, s38, exec_lo
	s_and_b32 s5, s2, exec_lo
	s_and_b32 s2, s7, exec_lo
	s_or_b32 s38, s4, s5
.LBB167_1524:
	s_or_b32 exec_lo, exec_lo, s6
	s_and_saveexec_b32 s4, s38
	s_cbranch_execnz .LBB167_1626
; %bb.1525:
	s_or_b32 exec_lo, exec_lo, s4
	s_and_saveexec_b32 s4, s2
	s_delay_alu instid0(SALU_CYCLE_1)
	s_xor_b32 s2, exec_lo, s4
	s_cbranch_execz .LBB167_1527
.LBB167_1526:
	s_waitcnt vmcnt(0)
	v_cmp_neq_f16_e32 vcc_lo, 0, v3
	v_cndmask_b32_e64 v0, 0, 1, vcc_lo
	global_store_b8 v[1:2], v0, off
.LBB167_1527:
	s_or_b32 exec_lo, exec_lo, s2
	s_and_saveexec_b32 s2, s8
	s_delay_alu instid0(SALU_CYCLE_1)
	s_xor_b32 s2, exec_lo, s2
	s_cbranch_execz .LBB167_1565
; %bb.1528:
	s_waitcnt vmcnt(0)
	v_cmp_gt_i16_e32 vcc_lo, 5, v5
	s_mov_b32 s4, -1
	s_cbranch_vccnz .LBB167_1549
; %bb.1529:
	v_cmp_gt_i16_e32 vcc_lo, 8, v5
	s_cbranch_vccnz .LBB167_1539
; %bb.1530:
	v_cmp_gt_i16_e32 vcc_lo, 9, v5
	s_cbranch_vccnz .LBB167_1536
; %bb.1531:
	v_cmp_lt_i16_e32 vcc_lo, 9, v5
	s_cbranch_vccz .LBB167_1533
; %bb.1532:
	v_cvt_f32_f16_e32 v0, v3
	v_mov_b32_e32 v8, 0
	s_mov_b32 s4, 0
	s_delay_alu instid0(VALU_DEP_2) | instskip(NEXT) | instid1(VALU_DEP_2)
	v_cvt_f64_f32_e32 v[6:7], v0
	v_mov_b32_e32 v9, v8
	global_store_b128 v[1:2], v[6:9], off
.LBB167_1533:
	s_and_not1_b32 vcc_lo, exec_lo, s4
	s_cbranch_vccnz .LBB167_1535
; %bb.1534:
	v_cvt_f32_f16_e32 v6, v3
	v_mov_b32_e32 v7, 0
	global_store_b64 v[1:2], v[6:7], off
.LBB167_1535:
	s_mov_b32 s4, 0
.LBB167_1536:
	s_delay_alu instid0(SALU_CYCLE_1)
	s_and_not1_b32 vcc_lo, exec_lo, s4
	s_cbranch_vccnz .LBB167_1538
; %bb.1537:
	v_and_b32_e32 v0, 0xffff, v3
	global_store_b32 v[1:2], v0, off
.LBB167_1538:
	s_mov_b32 s4, 0
.LBB167_1539:
	s_delay_alu instid0(SALU_CYCLE_1)
	s_and_not1_b32 vcc_lo, exec_lo, s4
	s_cbranch_vccnz .LBB167_1548
; %bb.1540:
	v_cmp_gt_i16_e32 vcc_lo, 6, v5
	s_mov_b32 s4, -1
	s_cbranch_vccnz .LBB167_1546
; %bb.1541:
	v_cmp_lt_i16_e32 vcc_lo, 6, v5
	s_cbranch_vccz .LBB167_1543
; %bb.1542:
	v_cvt_f32_f16_e32 v0, v3
	s_mov_b32 s4, 0
	s_delay_alu instid0(VALU_DEP_1)
	v_cvt_f64_f32_e32 v[6:7], v0
	global_store_b64 v[1:2], v[6:7], off
.LBB167_1543:
	s_and_not1_b32 vcc_lo, exec_lo, s4
	s_cbranch_vccnz .LBB167_1545
; %bb.1544:
	v_cvt_f32_f16_e32 v0, v3
	global_store_b32 v[1:2], v0, off
.LBB167_1545:
	s_mov_b32 s4, 0
.LBB167_1546:
	s_delay_alu instid0(SALU_CYCLE_1)
	s_and_not1_b32 vcc_lo, exec_lo, s4
	s_cbranch_vccnz .LBB167_1548
; %bb.1547:
	global_store_b16 v[1:2], v3, off
.LBB167_1548:
	s_mov_b32 s4, 0
.LBB167_1549:
	s_delay_alu instid0(SALU_CYCLE_1)
	s_and_not1_b32 vcc_lo, exec_lo, s4
	s_cbranch_vccnz .LBB167_1565
; %bb.1550:
	v_cmp_gt_i16_e32 vcc_lo, 2, v5
	s_mov_b32 s4, -1
	s_cbranch_vccnz .LBB167_1560
; %bb.1551:
	v_cmp_gt_i16_e32 vcc_lo, 3, v5
	s_cbranch_vccnz .LBB167_1557
; %bb.1552:
	v_cmp_lt_i16_e32 vcc_lo, 3, v5
	s_cbranch_vccz .LBB167_1554
; %bb.1553:
	v_cvt_f32_f16_e32 v0, v3
	s_mov_b32 s4, 0
	s_delay_alu instid0(VALU_DEP_1) | instskip(NEXT) | instid1(VALU_DEP_1)
	v_cvt_i32_f32_e32 v6, v0
	v_ashrrev_i32_e32 v7, 31, v6
	global_store_b64 v[1:2], v[6:7], off
.LBB167_1554:
	s_and_not1_b32 vcc_lo, exec_lo, s4
	s_cbranch_vccnz .LBB167_1556
; %bb.1555:
	v_cvt_f32_f16_e32 v0, v3
	s_delay_alu instid0(VALU_DEP_1)
	v_cvt_i32_f32_e32 v0, v0
	global_store_b32 v[1:2], v0, off
.LBB167_1556:
	s_mov_b32 s4, 0
.LBB167_1557:
	s_delay_alu instid0(SALU_CYCLE_1)
	s_and_not1_b32 vcc_lo, exec_lo, s4
	s_cbranch_vccnz .LBB167_1559
; %bb.1558:
	v_cvt_i16_f16_e32 v0, v3
	global_store_b16 v[1:2], v0, off
.LBB167_1559:
	s_mov_b32 s4, 0
.LBB167_1560:
	s_delay_alu instid0(SALU_CYCLE_1)
	s_and_not1_b32 vcc_lo, exec_lo, s4
	s_cbranch_vccnz .LBB167_1565
; %bb.1561:
	v_cmp_lt_i16_e32 vcc_lo, 0, v5
	s_mov_b32 s4, -1
	s_cbranch_vccz .LBB167_1563
; %bb.1562:
	v_cvt_i16_f16_e32 v0, v3
	s_mov_b32 s4, 0
	global_store_b8 v[1:2], v0, off
.LBB167_1563:
	s_and_not1_b32 vcc_lo, exec_lo, s4
	s_cbranch_vccnz .LBB167_1565
; %bb.1564:
	v_cvt_f32_f16_e32 v0, v3
	s_delay_alu instid0(VALU_DEP_1)
	v_cvt_i32_f32_e32 v0, v0
	global_store_b8 v[1:2], v0, off
.LBB167_1565:
	s_or_b32 exec_lo, exec_lo, s2
	s_delay_alu instid0(SALU_CYCLE_1)
	s_and_b32 s8, s3, exec_lo
                                        ; implicit-def: $vgpr12
                                        ; implicit-def: $vgpr7
.LBB167_1566:
	s_or_saveexec_b32 s9, s30
	s_mov_b32 s2, 0
                                        ; implicit-def: $vgpr0_vgpr1
                                        ; implicit-def: $sgpr3
                                        ; implicit-def: $vgpr2
	s_xor_b32 exec_lo, exec_lo, s9
	s_cbranch_execz .LBB167_3051
; %bb.1567:
	v_cndmask_b32_e64 v0, 0, 1, s29
	s_and_not1_b32 vcc_lo, exec_lo, s29
	s_cbranch_vccnz .LBB167_1573
; %bb.1568:
	s_waitcnt vmcnt(0)
	v_dual_mov_b32 v3, 0 :: v_dual_mov_b32 v6, 0
	v_mov_b32_e32 v5, 0
	s_cmp_lg_u32 s26, 0
	s_mov_b32 s4, 0
	s_cbranch_scc0 .LBB167_1574
; %bb.1569:
	s_min_u32 s5, s27, 15
	v_dual_mov_b32 v5, 0 :: v_dual_mov_b32 v6, 0
	s_add_i32 s2, s5, 1
	v_mov_b32_e32 v3, 0
	v_mov_b32_e32 v1, v7
	s_and_b32 s6, s2, 30
	s_add_u32 s2, s20, 0xffffffec
	s_addc_u32 s3, s21, -1
	s_set_inst_prefetch_distance 0x1
	.p2align	6
.LBB167_1570:                           ; =>This Inner Loop Header: Depth=1
	s_clause 0x2
	s_load_b128 s[12:15], s[2:3], 0x18
	s_load_b64 s[10:11], s[2:3], 0x28
	s_load_b128 s[16:19], s[2:3], 0xd8
	s_waitcnt lgkmcnt(0)
	v_mul_hi_u32 v2, s13, v1
	s_delay_alu instid0(VALU_DEP_1) | instskip(NEXT) | instid1(VALU_DEP_1)
	v_add_nc_u32_e32 v2, v1, v2
	v_lshrrev_b32_e32 v2, s14, v2
	s_delay_alu instid0(VALU_DEP_1)
	v_mul_hi_u32 v4, s10, v2
	v_mul_lo_u32 v8, v2, s12
	s_load_b64 s[12:13], s[2:3], 0xe8
	s_add_u32 s2, s2, 24
	s_addc_u32 s3, s3, 0
	s_add_i32 s6, s6, -2
	s_delay_alu instid0(SALU_CYCLE_1) | instskip(NEXT) | instid1(VALU_DEP_2)
	s_cmp_lg_u32 s6, 0
	v_add_nc_u32_e32 v4, v2, v4
	s_delay_alu instid0(VALU_DEP_2) | instskip(NEXT) | instid1(VALU_DEP_2)
	v_sub_nc_u32_e32 v8, v1, v8
	v_lshrrev_b32_e32 v1, s11, v4
	s_delay_alu instid0(VALU_DEP_2) | instskip(NEXT) | instid1(VALU_DEP_2)
	v_mul_lo_u32 v9, v8, s16
	v_mul_lo_u32 v4, v1, s15
	s_delay_alu instid0(VALU_DEP_1) | instskip(SKIP_2) | instid1(VALU_DEP_3)
	v_sub_nc_u32_e32 v2, v2, v4
	v_mul_lo_u32 v4, v8, s17
	v_mul_lo_u32 v8, v8, s18
	;; [unrolled: 1-line block ×3, first 2 shown]
	s_waitcnt lgkmcnt(0)
	v_mul_lo_u32 v11, v2, s12
	v_mul_lo_u32 v2, v2, s13
	s_delay_alu instid0(VALU_DEP_3) | instskip(NEXT) | instid1(VALU_DEP_3)
	v_add3_u32 v3, v9, v3, v10
	v_add3_u32 v6, v4, v6, v11
	s_delay_alu instid0(VALU_DEP_3)
	v_add3_u32 v5, v8, v5, v2
	s_cbranch_scc1 .LBB167_1570
; %bb.1571:
	s_set_inst_prefetch_distance 0x2
	s_bitcmp1_b32 s5, 0
	s_cselect_b32 s5, -1, 0
	s_delay_alu instid0(SALU_CYCLE_1)
	s_and_b32 vcc_lo, exec_lo, s5
	s_cbranch_vccnz .LBB167_1574
; %bb.1572:
	s_clause 0x3
	s_load_b64 s[6:7], s[2:3], 0x18
	s_load_b32 s5, s[2:3], 0x20
	s_load_b64 s[10:11], s[2:3], 0xd8
	s_load_b32 s2, s[2:3], 0xe0
	s_waitcnt lgkmcnt(0)
	v_mul_hi_u32 v2, s7, v1
	s_delay_alu instid0(VALU_DEP_1) | instskip(NEXT) | instid1(VALU_DEP_1)
	v_add_nc_u32_e32 v2, v1, v2
	v_lshrrev_b32_e32 v2, s5, v2
	s_delay_alu instid0(VALU_DEP_1) | instskip(NEXT) | instid1(VALU_DEP_1)
	v_mul_lo_u32 v2, v2, s6
	v_sub_nc_u32_e32 v4, v1, v2
	s_delay_alu instid0(VALU_DEP_1) | instskip(SKIP_2) | instid1(VALU_DEP_2)
	v_mad_u64_u32 v[1:2], null, v4, s10, v[3:4]
	v_mad_u64_u32 v[2:3], null, v4, s11, v[6:7]
	;; [unrolled: 1-line block ×3, first 2 shown]
	v_dual_mov_b32 v3, v1 :: v_dual_mov_b32 v6, v2
	s_delay_alu instid0(VALU_DEP_2)
	v_mov_b32_e32 v5, v8
	s_branch .LBB167_1574
.LBB167_1573:
	s_mov_b32 s4, -1
                                        ; implicit-def: $vgpr3
                                        ; implicit-def: $vgpr6
                                        ; implicit-def: $vgpr5
.LBB167_1574:
	s_delay_alu instid0(SALU_CYCLE_1)
	s_and_not1_b32 vcc_lo, exec_lo, s4
	s_cbranch_vccnz .LBB167_1577
; %bb.1575:
	s_clause 0x1
	s_load_b128 s[4:7], s[20:21], 0x4
	s_load_b128 s[12:15], s[20:21], 0xc4
	s_cmp_lt_u32 s26, 2
	s_waitcnt lgkmcnt(0)
	v_mul_hi_u32 v1, s5, v7
	s_delay_alu instid0(VALU_DEP_1) | instskip(NEXT) | instid1(VALU_DEP_1)
	v_add_nc_u32_e32 v1, v7, v1
	v_lshrrev_b32_e32 v1, s6, v1
	s_delay_alu instid0(VALU_DEP_1) | instskip(NEXT) | instid1(VALU_DEP_1)
	v_mul_lo_u32 v2, v1, s4
	v_sub_nc_u32_e32 v2, v7, v2
	s_waitcnt vmcnt(0)
	s_delay_alu instid0(VALU_DEP_1)
	v_mul_lo_u32 v3, v2, s12
	v_mul_lo_u32 v6, v2, s13
	;; [unrolled: 1-line block ×3, first 2 shown]
	s_cbranch_scc1 .LBB167_1577
; %bb.1576:
	s_clause 0x1
	s_load_b128 s[4:7], s[20:21], 0x10
	s_load_b128 s[12:15], s[20:21], 0xd0
	s_waitcnt lgkmcnt(0)
	v_mul_hi_u32 v2, s5, v1
	s_delay_alu instid0(VALU_DEP_1) | instskip(NEXT) | instid1(VALU_DEP_1)
	v_add_nc_u32_e32 v2, v1, v2
	v_lshrrev_b32_e32 v2, s6, v2
	s_delay_alu instid0(VALU_DEP_1) | instskip(NEXT) | instid1(VALU_DEP_1)
	v_mul_lo_u32 v2, v2, s4
	v_sub_nc_u32_e32 v4, v1, v2
	s_delay_alu instid0(VALU_DEP_1) | instskip(SKIP_2) | instid1(VALU_DEP_2)
	v_mad_u64_u32 v[1:2], null, v4, s12, v[3:4]
	v_mad_u64_u32 v[2:3], null, v4, s13, v[6:7]
	v_mad_u64_u32 v[8:9], null, v4, s14, v[5:6]
	v_dual_mov_b32 v3, v1 :: v_dual_mov_b32 v6, v2
	s_delay_alu instid0(VALU_DEP_2)
	v_mov_b32_e32 v5, v8
.LBB167_1577:
	v_cmp_ne_u32_e32 vcc_lo, 1, v0
	v_add_nc_u32_e32 v1, 0x80, v7
	s_cbranch_vccnz .LBB167_1583
; %bb.1578:
	v_dual_mov_b32 v2, 0 :: v_dual_mov_b32 v9, 0
	v_mov_b32_e32 v8, 0
	s_cmp_lg_u32 s26, 0
	s_mov_b32 s4, 0
	s_cbranch_scc0 .LBB167_1584
; %bb.1579:
	s_min_u32 s5, s27, 15
	v_dual_mov_b32 v8, 0 :: v_dual_mov_b32 v9, 0
	s_add_i32 s2, s5, 1
	v_mov_b32_e32 v2, 0
	s_waitcnt vmcnt(0)
	v_mov_b32_e32 v4, v1
	s_and_b32 s6, s2, 30
	s_add_u32 s2, s20, 0xffffffec
	s_addc_u32 s3, s21, -1
	s_set_inst_prefetch_distance 0x1
	.p2align	6
.LBB167_1580:                           ; =>This Inner Loop Header: Depth=1
	s_clause 0x2
	s_load_b128 s[12:15], s[2:3], 0x18
	s_load_b64 s[10:11], s[2:3], 0x28
	s_load_b128 s[16:19], s[2:3], 0xd8
	s_waitcnt lgkmcnt(0)
	v_mul_hi_u32 v10, s13, v4
	s_delay_alu instid0(VALU_DEP_1) | instskip(NEXT) | instid1(VALU_DEP_1)
	v_add_nc_u32_e32 v10, v4, v10
	v_lshrrev_b32_e32 v10, s14, v10
	s_delay_alu instid0(VALU_DEP_1)
	v_mul_hi_u32 v11, s10, v10
	v_mul_lo_u32 v13, v10, s12
	s_load_b64 s[12:13], s[2:3], 0xe8
	s_add_u32 s2, s2, 24
	s_addc_u32 s3, s3, 0
	s_add_i32 s6, s6, -2
	s_delay_alu instid0(SALU_CYCLE_1) | instskip(NEXT) | instid1(VALU_DEP_2)
	s_cmp_lg_u32 s6, 0
	v_add_nc_u32_e32 v11, v10, v11
	s_delay_alu instid0(VALU_DEP_2) | instskip(NEXT) | instid1(VALU_DEP_2)
	v_sub_nc_u32_e32 v13, v4, v13
	v_lshrrev_b32_e32 v4, s11, v11
	s_delay_alu instid0(VALU_DEP_2) | instskip(NEXT) | instid1(VALU_DEP_2)
	v_mul_lo_u32 v14, v13, s16
	v_mul_lo_u32 v11, v4, s15
	s_delay_alu instid0(VALU_DEP_1) | instskip(SKIP_2) | instid1(VALU_DEP_3)
	v_sub_nc_u32_e32 v10, v10, v11
	v_mul_lo_u32 v11, v13, s17
	v_mul_lo_u32 v13, v13, s18
	;; [unrolled: 1-line block ×3, first 2 shown]
	s_waitcnt lgkmcnt(0)
	v_mul_lo_u32 v16, v10, s12
	v_mul_lo_u32 v10, v10, s13
	s_delay_alu instid0(VALU_DEP_3) | instskip(NEXT) | instid1(VALU_DEP_3)
	v_add3_u32 v2, v14, v2, v15
	v_add3_u32 v9, v11, v9, v16
	s_delay_alu instid0(VALU_DEP_3)
	v_add3_u32 v8, v13, v8, v10
	s_cbranch_scc1 .LBB167_1580
; %bb.1581:
	s_set_inst_prefetch_distance 0x2
	s_bitcmp1_b32 s5, 0
	s_cselect_b32 s5, -1, 0
	s_delay_alu instid0(SALU_CYCLE_1)
	s_and_b32 vcc_lo, exec_lo, s5
	s_cbranch_vccnz .LBB167_1584
; %bb.1582:
	s_clause 0x3
	s_load_b64 s[6:7], s[2:3], 0x18
	s_load_b32 s5, s[2:3], 0x20
	s_load_b64 s[10:11], s[2:3], 0xd8
	s_load_b32 s2, s[2:3], 0xe0
	s_waitcnt lgkmcnt(0)
	v_mul_hi_u32 v10, s7, v4
	s_delay_alu instid0(VALU_DEP_1) | instskip(NEXT) | instid1(VALU_DEP_1)
	v_add_nc_u32_e32 v10, v4, v10
	v_lshrrev_b32_e32 v10, s5, v10
	s_delay_alu instid0(VALU_DEP_1) | instskip(NEXT) | instid1(VALU_DEP_1)
	v_mul_lo_u32 v10, v10, s6
	v_sub_nc_u32_e32 v4, v4, v10
	s_delay_alu instid0(VALU_DEP_1) | instskip(NEXT) | instid1(VALU_DEP_1)
	v_mad_u64_u32 v[10:11], null, v4, s10, v[2:3]
	v_mad_u64_u32 v[13:14], null, v4, s11, v[9:10]
	;; [unrolled: 1-line block ×3, first 2 shown]
	s_delay_alu instid0(VALU_DEP_2) | instskip(NEXT) | instid1(VALU_DEP_2)
	v_dual_mov_b32 v2, v10 :: v_dual_mov_b32 v9, v13
	v_mov_b32_e32 v8, v14
	s_branch .LBB167_1584
.LBB167_1583:
	s_mov_b32 s4, -1
                                        ; implicit-def: $vgpr2
                                        ; implicit-def: $vgpr9
                                        ; implicit-def: $vgpr8
.LBB167_1584:
	s_delay_alu instid0(SALU_CYCLE_1)
	s_and_not1_b32 vcc_lo, exec_lo, s4
	s_cbranch_vccnz .LBB167_1587
; %bb.1585:
	s_clause 0x1
	s_load_b128 s[4:7], s[20:21], 0x4
	s_load_b128 s[12:15], s[20:21], 0xc4
	s_cmp_lt_u32 s26, 2
	s_waitcnt lgkmcnt(0)
	v_mul_hi_u32 v2, s5, v1
	s_delay_alu instid0(VALU_DEP_1) | instskip(SKIP_1) | instid1(VALU_DEP_1)
	v_add_nc_u32_e32 v2, v1, v2
	s_waitcnt vmcnt(0)
	v_lshrrev_b32_e32 v4, s6, v2
	s_delay_alu instid0(VALU_DEP_1) | instskip(NEXT) | instid1(VALU_DEP_1)
	v_mul_lo_u32 v2, v4, s4
	v_sub_nc_u32_e32 v1, v1, v2
	s_delay_alu instid0(VALU_DEP_1)
	v_mul_lo_u32 v2, v1, s12
	v_mul_lo_u32 v9, v1, s13
	;; [unrolled: 1-line block ×3, first 2 shown]
	s_cbranch_scc1 .LBB167_1587
; %bb.1586:
	s_clause 0x1
	s_load_b128 s[4:7], s[20:21], 0x10
	s_load_b128 s[12:15], s[20:21], 0xd0
	s_waitcnt lgkmcnt(0)
	v_mul_hi_u32 v1, s5, v4
	s_delay_alu instid0(VALU_DEP_1) | instskip(NEXT) | instid1(VALU_DEP_1)
	v_add_nc_u32_e32 v1, v4, v1
	v_lshrrev_b32_e32 v1, s6, v1
	s_delay_alu instid0(VALU_DEP_1) | instskip(NEXT) | instid1(VALU_DEP_1)
	v_mul_lo_u32 v1, v1, s4
	v_sub_nc_u32_e32 v4, v4, v1
	s_delay_alu instid0(VALU_DEP_1) | instskip(SKIP_1) | instid1(VALU_DEP_2)
	v_mad_u64_u32 v[10:11], null, v4, s12, v[2:3]
	v_mad_u64_u32 v[13:14], null, v4, s14, v[8:9]
	;; [unrolled: 1-line block ×3, first 2 shown]
	v_mov_b32_e32 v2, v10
	s_delay_alu instid0(VALU_DEP_3) | instskip(NEXT) | instid1(VALU_DEP_3)
	v_mov_b32_e32 v8, v13
	v_mov_b32_e32 v9, v1
.LBB167_1587:
	v_cmp_ne_u32_e32 vcc_lo, 1, v0
	s_waitcnt vmcnt(0)
	v_add_nc_u32_e32 v4, 0x100, v7
	s_cbranch_vccnz .LBB167_1593
; %bb.1588:
	v_dual_mov_b32 v1, 0 :: v_dual_mov_b32 v10, 0
	v_mov_b32_e32 v11, 0
	s_cmp_lg_u32 s26, 0
	s_mov_b32 s4, 0
	s_cbranch_scc0 .LBB167_1594
; %bb.1589:
	s_min_u32 s5, s27, 15
	v_dual_mov_b32 v10, 0 :: v_dual_mov_b32 v11, 0
	s_add_i32 s2, s5, 1
	v_mov_b32_e32 v1, 0
	v_mov_b32_e32 v7, v4
	s_and_b32 s6, s2, 30
	s_add_u32 s2, s20, 0xffffffec
	s_addc_u32 s3, s21, -1
	s_set_inst_prefetch_distance 0x1
	.p2align	6
.LBB167_1590:                           ; =>This Inner Loop Header: Depth=1
	s_clause 0x2
	s_load_b128 s[12:15], s[2:3], 0x18
	s_load_b64 s[10:11], s[2:3], 0x28
	s_load_b128 s[16:19], s[2:3], 0xd8
	s_waitcnt lgkmcnt(0)
	v_mul_hi_u32 v13, s13, v7
	s_delay_alu instid0(VALU_DEP_1) | instskip(NEXT) | instid1(VALU_DEP_1)
	v_add_nc_u32_e32 v13, v7, v13
	v_lshrrev_b32_e32 v13, s14, v13
	s_delay_alu instid0(VALU_DEP_1)
	v_mul_hi_u32 v14, s10, v13
	v_mul_lo_u32 v15, v13, s12
	s_load_b64 s[12:13], s[2:3], 0xe8
	s_add_u32 s2, s2, 24
	s_addc_u32 s3, s3, 0
	s_add_i32 s6, s6, -2
	s_delay_alu instid0(SALU_CYCLE_1) | instskip(NEXT) | instid1(VALU_DEP_2)
	s_cmp_lg_u32 s6, 0
	v_add_nc_u32_e32 v14, v13, v14
	s_delay_alu instid0(VALU_DEP_2) | instskip(NEXT) | instid1(VALU_DEP_2)
	v_sub_nc_u32_e32 v15, v7, v15
	v_lshrrev_b32_e32 v7, s11, v14
	s_delay_alu instid0(VALU_DEP_2) | instskip(NEXT) | instid1(VALU_DEP_2)
	v_mul_lo_u32 v16, v15, s16
	v_mul_lo_u32 v14, v7, s15
	s_delay_alu instid0(VALU_DEP_1) | instskip(SKIP_2) | instid1(VALU_DEP_3)
	v_sub_nc_u32_e32 v13, v13, v14
	v_mul_lo_u32 v14, v15, s17
	v_mul_lo_u32 v15, v15, s18
	;; [unrolled: 1-line block ×3, first 2 shown]
	s_waitcnt lgkmcnt(0)
	v_mul_lo_u32 v18, v13, s12
	v_mul_lo_u32 v13, v13, s13
	s_delay_alu instid0(VALU_DEP_3) | instskip(NEXT) | instid1(VALU_DEP_3)
	v_add3_u32 v1, v16, v1, v17
	v_add3_u32 v11, v14, v11, v18
	s_delay_alu instid0(VALU_DEP_3)
	v_add3_u32 v10, v15, v10, v13
	s_cbranch_scc1 .LBB167_1590
; %bb.1591:
	s_set_inst_prefetch_distance 0x2
	s_bitcmp1_b32 s5, 0
	s_cselect_b32 s5, -1, 0
	s_delay_alu instid0(SALU_CYCLE_1)
	s_and_b32 vcc_lo, exec_lo, s5
	s_cbranch_vccnz .LBB167_1594
; %bb.1592:
	s_clause 0x3
	s_load_b64 s[6:7], s[2:3], 0x18
	s_load_b32 s5, s[2:3], 0x20
	s_load_b64 s[10:11], s[2:3], 0xd8
	s_load_b32 s2, s[2:3], 0xe0
	s_waitcnt lgkmcnt(0)
	v_mul_hi_u32 v13, s7, v7
	s_delay_alu instid0(VALU_DEP_1) | instskip(NEXT) | instid1(VALU_DEP_1)
	v_add_nc_u32_e32 v13, v7, v13
	v_lshrrev_b32_e32 v13, s5, v13
	s_delay_alu instid0(VALU_DEP_1) | instskip(NEXT) | instid1(VALU_DEP_1)
	v_mul_lo_u32 v13, v13, s6
	v_sub_nc_u32_e32 v7, v7, v13
	s_delay_alu instid0(VALU_DEP_1) | instskip(SKIP_2) | instid1(VALU_DEP_3)
	v_mad_u64_u32 v[13:14], null, v7, s10, v[1:2]
	v_mad_u64_u32 v[14:15], null, v7, s11, v[11:12]
	;; [unrolled: 1-line block ×3, first 2 shown]
	v_mov_b32_e32 v1, v13
	s_delay_alu instid0(VALU_DEP_2)
	v_dual_mov_b32 v11, v14 :: v_dual_mov_b32 v10, v15
	s_branch .LBB167_1594
.LBB167_1593:
	s_mov_b32 s4, -1
                                        ; implicit-def: $vgpr1
                                        ; implicit-def: $vgpr11
                                        ; implicit-def: $vgpr10
.LBB167_1594:
	s_delay_alu instid0(SALU_CYCLE_1)
	s_and_not1_b32 vcc_lo, exec_lo, s4
	s_cbranch_vccnz .LBB167_1597
; %bb.1595:
	s_clause 0x1
	s_load_b128 s[4:7], s[20:21], 0x4
	s_load_b128 s[12:15], s[20:21], 0xc4
	s_cmp_lt_u32 s26, 2
	s_waitcnt lgkmcnt(0)
	v_mul_hi_u32 v1, s5, v4
	s_delay_alu instid0(VALU_DEP_1) | instskip(NEXT) | instid1(VALU_DEP_1)
	v_add_nc_u32_e32 v1, v4, v1
	v_lshrrev_b32_e32 v7, s6, v1
	s_delay_alu instid0(VALU_DEP_1) | instskip(NEXT) | instid1(VALU_DEP_1)
	v_mul_lo_u32 v1, v7, s4
	v_sub_nc_u32_e32 v4, v4, v1
	s_delay_alu instid0(VALU_DEP_1)
	v_mul_lo_u32 v1, v4, s12
	v_mul_lo_u32 v11, v4, s13
	;; [unrolled: 1-line block ×3, first 2 shown]
	s_cbranch_scc1 .LBB167_1597
; %bb.1596:
	s_clause 0x1
	s_load_b128 s[4:7], s[20:21], 0x10
	s_load_b128 s[12:15], s[20:21], 0xd0
	s_waitcnt lgkmcnt(0)
	v_mul_hi_u32 v4, s5, v7
	s_delay_alu instid0(VALU_DEP_1) | instskip(NEXT) | instid1(VALU_DEP_1)
	v_add_nc_u32_e32 v4, v7, v4
	v_lshrrev_b32_e32 v4, s6, v4
	s_delay_alu instid0(VALU_DEP_1) | instskip(NEXT) | instid1(VALU_DEP_1)
	v_mul_lo_u32 v4, v4, s4
	v_sub_nc_u32_e32 v4, v7, v4
	s_delay_alu instid0(VALU_DEP_1) | instskip(SKIP_2) | instid1(VALU_DEP_3)
	v_mad_u64_u32 v[13:14], null, v4, s12, v[1:2]
	v_mad_u64_u32 v[14:15], null, v4, s13, v[11:12]
	v_mad_u64_u32 v[15:16], null, v4, s14, v[10:11]
	v_mov_b32_e32 v1, v13
	s_delay_alu instid0(VALU_DEP_2)
	v_dual_mov_b32 v11, v14 :: v_dual_mov_b32 v10, v15
.LBB167_1597:
	v_cmp_ne_u32_e32 vcc_lo, 1, v0
	s_cbranch_vccnz .LBB167_1603
; %bb.1598:
	v_dual_mov_b32 v0, 0 :: v_dual_mov_b32 v7, 0
	v_mov_b32_e32 v4, 0
	s_cmp_lg_u32 s26, 0
	s_mov_b32 s4, 0
	s_cbranch_scc0 .LBB167_1604
; %bb.1599:
	s_min_u32 s5, s27, 15
	v_dual_mov_b32 v4, 0 :: v_dual_mov_b32 v7, 0
	s_add_i32 s2, s5, 1
	v_dual_mov_b32 v0, 0 :: v_dual_mov_b32 v13, v12
	s_and_b32 s6, s2, 30
	s_add_u32 s2, s20, 0xffffffec
	s_addc_u32 s3, s21, -1
	s_set_inst_prefetch_distance 0x1
	.p2align	6
.LBB167_1600:                           ; =>This Inner Loop Header: Depth=1
	s_clause 0x2
	s_load_b128 s[12:15], s[2:3], 0x18
	s_load_b64 s[10:11], s[2:3], 0x28
	s_load_b128 s[16:19], s[2:3], 0xd8
	s_waitcnt lgkmcnt(0)
	v_mul_hi_u32 v14, s13, v13
	s_delay_alu instid0(VALU_DEP_1) | instskip(NEXT) | instid1(VALU_DEP_1)
	v_add_nc_u32_e32 v14, v13, v14
	v_lshrrev_b32_e32 v14, s14, v14
	s_delay_alu instid0(VALU_DEP_1)
	v_mul_hi_u32 v15, s10, v14
	v_mul_lo_u32 v16, v14, s12
	s_load_b64 s[12:13], s[2:3], 0xe8
	s_add_u32 s2, s2, 24
	s_addc_u32 s3, s3, 0
	s_add_i32 s6, s6, -2
	s_delay_alu instid0(SALU_CYCLE_1) | instskip(NEXT) | instid1(VALU_DEP_2)
	s_cmp_lg_u32 s6, 0
	v_add_nc_u32_e32 v15, v14, v15
	s_delay_alu instid0(VALU_DEP_2) | instskip(NEXT) | instid1(VALU_DEP_2)
	v_sub_nc_u32_e32 v16, v13, v16
	v_lshrrev_b32_e32 v13, s11, v15
	s_delay_alu instid0(VALU_DEP_2) | instskip(NEXT) | instid1(VALU_DEP_2)
	v_mul_lo_u32 v17, v16, s16
	v_mul_lo_u32 v15, v13, s15
	s_delay_alu instid0(VALU_DEP_1) | instskip(SKIP_2) | instid1(VALU_DEP_3)
	v_sub_nc_u32_e32 v14, v14, v15
	v_mul_lo_u32 v15, v16, s17
	v_mul_lo_u32 v16, v16, s18
	;; [unrolled: 1-line block ×3, first 2 shown]
	s_waitcnt lgkmcnt(0)
	v_mul_lo_u32 v19, v14, s12
	v_mul_lo_u32 v14, v14, s13
	s_delay_alu instid0(VALU_DEP_3) | instskip(NEXT) | instid1(VALU_DEP_3)
	v_add3_u32 v0, v17, v0, v18
	v_add3_u32 v7, v15, v7, v19
	s_delay_alu instid0(VALU_DEP_3)
	v_add3_u32 v4, v16, v4, v14
	s_cbranch_scc1 .LBB167_1600
; %bb.1601:
	s_set_inst_prefetch_distance 0x2
	s_bitcmp1_b32 s5, 0
	s_cselect_b32 s5, -1, 0
	s_delay_alu instid0(SALU_CYCLE_1)
	s_and_b32 vcc_lo, exec_lo, s5
	s_cbranch_vccnz .LBB167_1604
; %bb.1602:
	s_clause 0x3
	s_load_b64 s[6:7], s[2:3], 0x18
	s_load_b32 s5, s[2:3], 0x20
	s_load_b64 s[10:11], s[2:3], 0xd8
	s_load_b32 s2, s[2:3], 0xe0
	s_waitcnt lgkmcnt(0)
	v_mul_hi_u32 v14, s7, v13
	s_delay_alu instid0(VALU_DEP_1) | instskip(NEXT) | instid1(VALU_DEP_1)
	v_add_nc_u32_e32 v14, v13, v14
	v_lshrrev_b32_e32 v14, s5, v14
	s_delay_alu instid0(VALU_DEP_1) | instskip(NEXT) | instid1(VALU_DEP_1)
	v_mul_lo_u32 v14, v14, s6
	v_sub_nc_u32_e32 v17, v13, v14
	s_delay_alu instid0(VALU_DEP_1) | instskip(SKIP_2) | instid1(VALU_DEP_2)
	v_mad_u64_u32 v[13:14], null, v17, s10, v[0:1]
	v_mad_u64_u32 v[14:15], null, v17, s11, v[7:8]
	;; [unrolled: 1-line block ×3, first 2 shown]
	v_dual_mov_b32 v0, v13 :: v_dual_mov_b32 v7, v14
	s_delay_alu instid0(VALU_DEP_2)
	v_mov_b32_e32 v4, v15
	s_branch .LBB167_1604
.LBB167_1603:
	s_mov_b32 s4, -1
                                        ; implicit-def: $vgpr0
                                        ; implicit-def: $vgpr7
                                        ; implicit-def: $vgpr4
.LBB167_1604:
	s_delay_alu instid0(SALU_CYCLE_1)
	s_and_not1_b32 vcc_lo, exec_lo, s4
	s_cbranch_vccnz .LBB167_1607
; %bb.1605:
	s_clause 0x1
	s_load_b128 s[4:7], s[20:21], 0x4
	s_load_b128 s[12:15], s[20:21], 0xc4
	s_cmp_lt_u32 s26, 2
	s_waitcnt lgkmcnt(0)
	v_mul_hi_u32 v0, s5, v12
	s_delay_alu instid0(VALU_DEP_1) | instskip(NEXT) | instid1(VALU_DEP_1)
	v_add_nc_u32_e32 v0, v12, v0
	v_lshrrev_b32_e32 v13, s6, v0
	s_delay_alu instid0(VALU_DEP_1) | instskip(NEXT) | instid1(VALU_DEP_1)
	v_mul_lo_u32 v0, v13, s4
	v_sub_nc_u32_e32 v4, v12, v0
	s_delay_alu instid0(VALU_DEP_1)
	v_mul_lo_u32 v0, v4, s12
	v_mul_lo_u32 v7, v4, s13
	;; [unrolled: 1-line block ×3, first 2 shown]
	s_cbranch_scc1 .LBB167_1607
; %bb.1606:
	s_clause 0x1
	s_load_b128 s[4:7], s[20:21], 0x10
	s_load_b128 s[12:15], s[20:21], 0xd0
	s_waitcnt lgkmcnt(0)
	v_mul_hi_u32 v12, s5, v13
	s_delay_alu instid0(VALU_DEP_1) | instskip(NEXT) | instid1(VALU_DEP_1)
	v_add_nc_u32_e32 v12, v13, v12
	v_lshrrev_b32_e32 v12, s6, v12
	s_delay_alu instid0(VALU_DEP_1) | instskip(NEXT) | instid1(VALU_DEP_1)
	v_mul_lo_u32 v12, v12, s4
	v_sub_nc_u32_e32 v16, v13, v12
	s_delay_alu instid0(VALU_DEP_1) | instskip(SKIP_2) | instid1(VALU_DEP_2)
	v_mad_u64_u32 v[12:13], null, v16, s12, v[0:1]
	v_mad_u64_u32 v[13:14], null, v16, s13, v[7:8]
	;; [unrolled: 1-line block ×3, first 2 shown]
	v_dual_mov_b32 v0, v12 :: v_dual_mov_b32 v7, v13
	s_delay_alu instid0(VALU_DEP_2)
	v_mov_b32_e32 v4, v14
.LBB167_1607:
	s_clause 0x1
	s_load_b32 s2, s[0:1], 0x1ac
	s_load_b128 s[4:7], s[20:21], 0x188
	s_mov_b32 s3, 0
	s_waitcnt lgkmcnt(0)
	s_lshr_b32 s0, s2, 8
	s_delay_alu instid0(SALU_CYCLE_1) | instskip(SKIP_1) | instid1(VALU_DEP_1)
	v_and_b32_e64 v16, 0xff, s0
	v_add_co_u32 v12, s0, s6, v6
	v_add_co_ci_u32_e64 v13, null, s7, 0, s0
	s_delay_alu instid0(VALU_DEP_3)
	v_cmp_gt_i16_e32 vcc_lo, 11, v16
	s_cbranch_vccnz .LBB167_1614
; %bb.1608:
	v_cmp_lt_i16_e32 vcc_lo, 25, v16
	s_mov_b32 s1, 0
	s_cbranch_vccz .LBB167_1620
; %bb.1609:
	v_cmp_lt_i16_e32 vcc_lo, 28, v16
	s_cbranch_vccz .LBB167_1622
; %bb.1610:
	v_cmp_lt_i16_e32 vcc_lo, 43, v16
	;; [unrolled: 3-line block ×3, first 2 shown]
	s_cbranch_vccz .LBB167_1628
; %bb.1612:
	v_cmp_eq_u16_e32 vcc_lo, 46, v16
	s_mov_b32 s10, 0
	s_cbranch_vccz .LBB167_1670
; %bb.1613:
	global_load_b32 v6, v[12:13], off
	s_mov_b32 s0, 0
	s_mov_b32 s3, -1
	s_waitcnt vmcnt(0)
	v_lshlrev_b32_e32 v6, 16, v6
	s_delay_alu instid0(VALU_DEP_1)
	v_cvt_f16_f32_e32 v14, v6
	s_branch .LBB167_1672
.LBB167_1614:
	s_mov_b32 s10, s8
                                        ; implicit-def: $vgpr14
	s_cbranch_execz .LBB167_1735
; %bb.1615:
	v_cmp_gt_i16_e32 vcc_lo, 5, v16
	s_cbranch_vccnz .LBB167_1621
; %bb.1616:
	v_cmp_gt_i16_e32 vcc_lo, 8, v16
	s_cbranch_vccnz .LBB167_1623
	;; [unrolled: 3-line block ×3, first 2 shown]
; %bb.1618:
	v_cmp_lt_i16_e32 vcc_lo, 9, v16
	s_cbranch_vccz .LBB167_1629
; %bb.1619:
	global_load_b64 v[14:15], v[12:13], off
	s_mov_b32 s0, 0
	s_waitcnt vmcnt(0)
	v_cvt_f32_f64_e32 v6, v[14:15]
	s_delay_alu instid0(VALU_DEP_1)
	v_cvt_f16_f32_e32 v14, v6
	s_branch .LBB167_1630
.LBB167_1620:
	s_mov_b32 s0, 0
                                        ; implicit-def: $vgpr14
	s_cbranch_execnz .LBB167_1700
	s_branch .LBB167_1731
.LBB167_1621:
                                        ; implicit-def: $vgpr14
	s_branch .LBB167_1647
.LBB167_1622:
	s_mov_b32 s10, -1
	s_mov_b32 s0, 0
                                        ; implicit-def: $vgpr14
	s_branch .LBB167_1681
.LBB167_1623:
                                        ; implicit-def: $vgpr14
	s_branch .LBB167_1636
.LBB167_1624:
	s_mov_b32 s0, 0
                                        ; implicit-def: $vgpr14
	s_cbranch_execnz .LBB167_1677
	s_branch .LBB167_1680
.LBB167_1625:
	s_mov_b32 s0, -1
                                        ; implicit-def: $vgpr14
	s_branch .LBB167_1633
.LBB167_1626:
	s_cbranch_execnz .LBB167_1668
; %bb.1627:
	s_or_b32 s3, s3, exec_lo
	s_and_not1_b32 s2, s2, exec_lo
	s_or_b32 exec_lo, exec_lo, s4
	s_and_saveexec_b32 s4, s2
	s_delay_alu instid0(SALU_CYCLE_1)
	s_xor_b32 s2, exec_lo, s4
	s_cbranch_execnz .LBB167_1526
	s_branch .LBB167_1527
.LBB167_1628:
	s_mov_b32 s10, -1
	s_mov_b32 s0, 0
	s_branch .LBB167_1671
.LBB167_1629:
	s_mov_b32 s0, -1
                                        ; implicit-def: $vgpr14
.LBB167_1630:
	s_delay_alu instid0(SALU_CYCLE_1)
	s_and_not1_b32 vcc_lo, exec_lo, s0
	s_cbranch_vccnz .LBB167_1632
; %bb.1631:
	global_load_b32 v6, v[12:13], off
	s_waitcnt vmcnt(0)
	v_cvt_f16_f32_e32 v14, v6
.LBB167_1632:
	s_mov_b32 s0, 0
.LBB167_1633:
	s_delay_alu instid0(SALU_CYCLE_1)
	s_and_not1_b32 vcc_lo, exec_lo, s0
	s_cbranch_vccnz .LBB167_1635
; %bb.1634:
	global_load_b32 v14, v[12:13], off
.LBB167_1635:
	s_cbranch_execnz .LBB167_1646
.LBB167_1636:
	v_cmp_gt_i16_e32 vcc_lo, 6, v16
	s_cbranch_vccnz .LBB167_1639
; %bb.1637:
	v_cmp_lt_i16_e32 vcc_lo, 6, v16
	s_cbranch_vccz .LBB167_1640
; %bb.1638:
	global_load_b64 v[14:15], v[12:13], off
	s_mov_b32 s0, 0
	s_waitcnt vmcnt(0)
	v_cvt_f32_f64_e32 v6, v[14:15]
	s_delay_alu instid0(VALU_DEP_1)
	v_cvt_f16_f32_e32 v14, v6
	s_branch .LBB167_1641
.LBB167_1639:
	s_mov_b32 s0, -1
                                        ; implicit-def: $vgpr14
	s_branch .LBB167_1644
.LBB167_1640:
	s_mov_b32 s0, -1
                                        ; implicit-def: $vgpr14
.LBB167_1641:
	s_delay_alu instid0(SALU_CYCLE_1)
	s_and_not1_b32 vcc_lo, exec_lo, s0
	s_cbranch_vccnz .LBB167_1643
; %bb.1642:
	global_load_b32 v6, v[12:13], off
	s_waitcnt vmcnt(0)
	v_cvt_f16_f32_e32 v14, v6
.LBB167_1643:
	s_mov_b32 s0, 0
.LBB167_1644:
	s_delay_alu instid0(SALU_CYCLE_1)
	s_and_not1_b32 vcc_lo, exec_lo, s0
	s_cbranch_vccnz .LBB167_1646
; %bb.1645:
	global_load_u16 v14, v[12:13], off
.LBB167_1646:
	s_cbranch_execnz .LBB167_1665
.LBB167_1647:
	v_cmp_gt_i16_e32 vcc_lo, 2, v16
	s_cbranch_vccnz .LBB167_1651
; %bb.1648:
	v_cmp_gt_i16_e32 vcc_lo, 3, v16
	s_cbranch_vccnz .LBB167_1652
; %bb.1649:
	v_cmp_lt_i16_e32 vcc_lo, 3, v16
	s_cbranch_vccz .LBB167_1653
; %bb.1650:
	global_load_b64 v[14:15], v[12:13], off
	s_mov_b32 s0, 0
	s_waitcnt vmcnt(0)
	v_xor_b32_e32 v6, v14, v15
	v_cls_i32_e32 v17, v15
	s_delay_alu instid0(VALU_DEP_2) | instskip(NEXT) | instid1(VALU_DEP_2)
	v_ashrrev_i32_e32 v6, 31, v6
	v_add_nc_u32_e32 v17, -1, v17
	s_delay_alu instid0(VALU_DEP_2) | instskip(NEXT) | instid1(VALU_DEP_1)
	v_add_nc_u32_e32 v6, 32, v6
	v_min_u32_e32 v6, v17, v6
	s_delay_alu instid0(VALU_DEP_1) | instskip(SKIP_1) | instid1(VALU_DEP_2)
	v_lshlrev_b64 v[14:15], v6, v[14:15]
	v_sub_nc_u32_e32 v6, 32, v6
	v_min_u32_e32 v14, 1, v14
	s_delay_alu instid0(VALU_DEP_1) | instskip(NEXT) | instid1(VALU_DEP_1)
	v_or_b32_e32 v14, v15, v14
	v_cvt_f32_i32_e32 v14, v14
	s_delay_alu instid0(VALU_DEP_1) | instskip(NEXT) | instid1(VALU_DEP_1)
	v_ldexp_f32 v6, v14, v6
	v_cvt_f16_f32_e32 v14, v6
	s_branch .LBB167_1654
.LBB167_1651:
                                        ; implicit-def: $vgpr14
	s_branch .LBB167_1660
.LBB167_1652:
	s_mov_b32 s0, -1
                                        ; implicit-def: $vgpr14
	s_branch .LBB167_1657
.LBB167_1653:
	s_mov_b32 s0, -1
                                        ; implicit-def: $vgpr14
.LBB167_1654:
	s_delay_alu instid0(SALU_CYCLE_1)
	s_and_not1_b32 vcc_lo, exec_lo, s0
	s_cbranch_vccnz .LBB167_1656
; %bb.1655:
	global_load_b32 v6, v[12:13], off
	s_waitcnt vmcnt(0)
	v_cvt_f32_i32_e32 v6, v6
	s_delay_alu instid0(VALU_DEP_1)
	v_cvt_f16_f32_e32 v14, v6
.LBB167_1656:
	s_mov_b32 s0, 0
.LBB167_1657:
	s_delay_alu instid0(SALU_CYCLE_1)
	s_and_not1_b32 vcc_lo, exec_lo, s0
	s_cbranch_vccnz .LBB167_1659
; %bb.1658:
	global_load_u16 v6, v[12:13], off
	s_waitcnt vmcnt(0)
	v_cvt_f16_i16_e32 v14, v6
.LBB167_1659:
	s_cbranch_execnz .LBB167_1665
.LBB167_1660:
	v_cmp_lt_i16_e32 vcc_lo, 0, v16
	s_mov_b32 s0, 0
	s_cbranch_vccz .LBB167_1662
; %bb.1661:
	global_load_i8 v6, v[12:13], off
	s_waitcnt vmcnt(0)
	v_cvt_f16_i16_e32 v14, v6
	s_branch .LBB167_1663
.LBB167_1662:
	s_mov_b32 s0, -1
                                        ; implicit-def: $vgpr14
.LBB167_1663:
	s_delay_alu instid0(SALU_CYCLE_1)
	s_and_not1_b32 vcc_lo, exec_lo, s0
	s_cbranch_vccnz .LBB167_1665
; %bb.1664:
	global_load_u8 v6, v[12:13], off
	s_waitcnt vmcnt(0)
	v_cvt_f16_u16_e32 v14, v6
.LBB167_1665:
	s_branch .LBB167_1736
.LBB167_1666:
	s_trap 2
	s_sendmsg_rtn_b32 s0, sendmsg(MSG_RTN_GET_DOORBELL)
	s_mov_b32 ttmp2, m0
	s_waitcnt lgkmcnt(0)
	s_and_b32 s0, s0, 0x3ff
	s_delay_alu instid0(SALU_CYCLE_1) | instskip(NEXT) | instid1(SALU_CYCLE_1)
	s_bitset1_b32 s0, 10
	s_mov_b32 m0, s0
	s_sendmsg sendmsg(MSG_INTERRUPT)
	s_mov_b32 m0, ttmp2
.LBB167_1667:                           ; =>This Inner Loop Header: Depth=1
	s_sethalt 5
	s_branch .LBB167_1667
.LBB167_1668:
	s_trap 2
	s_sendmsg_rtn_b32 s0, sendmsg(MSG_RTN_GET_DOORBELL)
	s_mov_b32 ttmp2, m0
	s_waitcnt lgkmcnt(0)
	s_and_b32 s0, s0, 0x3ff
	s_delay_alu instid0(SALU_CYCLE_1) | instskip(NEXT) | instid1(SALU_CYCLE_1)
	s_bitset1_b32 s0, 10
	s_mov_b32 m0, s0
	s_sendmsg sendmsg(MSG_INTERRUPT)
	s_mov_b32 m0, ttmp2
.LBB167_1669:                           ; =>This Inner Loop Header: Depth=1
	s_sethalt 5
	s_branch .LBB167_1669
.LBB167_1670:
	s_mov_b32 s0, -1
.LBB167_1671:
                                        ; implicit-def: $vgpr14
.LBB167_1672:
	s_and_b32 vcc_lo, exec_lo, s10
	s_cbranch_vccz .LBB167_1675
; %bb.1673:
	v_cmp_eq_u16_e32 vcc_lo, 44, v16
	s_cbranch_vccz .LBB167_1676
; %bb.1674:
	global_load_u8 v6, v[12:13], off
	s_mov_b32 s0, 0
	s_mov_b32 s3, -1
	s_waitcnt vmcnt(0)
	v_lshlrev_b32_e32 v14, 23, v6
	v_cmp_ne_u32_e32 vcc_lo, 0xff, v6
	s_delay_alu instid0(VALU_DEP_2) | instskip(NEXT) | instid1(VALU_DEP_1)
	v_cvt_f16_f32_e32 v14, v14
	v_cndmask_b32_e32 v14, 0x7e00, v14, vcc_lo
	v_cmp_ne_u32_e32 vcc_lo, 0, v6
	s_delay_alu instid0(VALU_DEP_2)
	v_cndmask_b32_e32 v14, 0, v14, vcc_lo
.LBB167_1675:
	s_branch .LBB167_1680
.LBB167_1676:
	s_mov_b32 s0, -1
                                        ; implicit-def: $vgpr14
	s_branch .LBB167_1680
.LBB167_1677:
	v_cmp_eq_u16_e32 vcc_lo, 29, v16
	s_cbranch_vccz .LBB167_1679
; %bb.1678:
	global_load_b64 v[14:15], v[12:13], off
	s_mov_b32 s0, 0
	s_mov_b32 s3, -1
	s_mov_b32 s10, 0
	s_waitcnt vmcnt(0)
	v_clz_i32_u32_e32 v6, v15
	s_delay_alu instid0(VALU_DEP_1) | instskip(NEXT) | instid1(VALU_DEP_1)
	v_min_u32_e32 v6, 32, v6
	v_lshlrev_b64 v[14:15], v6, v[14:15]
	v_sub_nc_u32_e32 v6, 32, v6
	s_delay_alu instid0(VALU_DEP_2) | instskip(NEXT) | instid1(VALU_DEP_1)
	v_min_u32_e32 v14, 1, v14
	v_or_b32_e32 v14, v15, v14
	s_delay_alu instid0(VALU_DEP_1) | instskip(NEXT) | instid1(VALU_DEP_1)
	v_cvt_f32_u32_e32 v14, v14
	v_ldexp_f32 v6, v14, v6
	s_delay_alu instid0(VALU_DEP_1)
	v_cvt_f16_f32_e32 v14, v6
	s_branch .LBB167_1681
.LBB167_1679:
	s_mov_b32 s0, -1
                                        ; implicit-def: $vgpr14
.LBB167_1680:
	s_mov_b32 s10, 0
.LBB167_1681:
	s_delay_alu instid0(SALU_CYCLE_1)
	s_and_b32 vcc_lo, exec_lo, s10
	s_cbranch_vccz .LBB167_1699
; %bb.1682:
	v_cmp_gt_i16_e32 vcc_lo, 27, v16
	s_cbranch_vccnz .LBB167_1685
; %bb.1683:
	v_cmp_lt_i16_e32 vcc_lo, 27, v16
	s_cbranch_vccz .LBB167_1686
; %bb.1684:
	global_load_b32 v6, v[12:13], off
	s_mov_b32 s3, 0
	s_waitcnt vmcnt(0)
	v_cvt_f32_u32_e32 v6, v6
	s_delay_alu instid0(VALU_DEP_1)
	v_cvt_f16_f32_e32 v14, v6
	s_branch .LBB167_1687
.LBB167_1685:
	s_mov_b32 s3, -1
                                        ; implicit-def: $vgpr14
	s_branch .LBB167_1690
.LBB167_1686:
	s_mov_b32 s3, -1
                                        ; implicit-def: $vgpr14
.LBB167_1687:
	s_delay_alu instid0(SALU_CYCLE_1)
	s_and_not1_b32 vcc_lo, exec_lo, s3
	s_cbranch_vccnz .LBB167_1689
; %bb.1688:
	global_load_u16 v6, v[12:13], off
	s_waitcnt vmcnt(0)
	v_cvt_f16_u16_e32 v14, v6
.LBB167_1689:
	s_mov_b32 s3, 0
.LBB167_1690:
	s_delay_alu instid0(SALU_CYCLE_1)
	s_and_not1_b32 vcc_lo, exec_lo, s3
	s_cbranch_vccnz .LBB167_1698
; %bb.1691:
	global_load_u8 v6, v[12:13], off
	s_mov_b32 s3, 0
	s_mov_b32 s11, exec_lo
                                        ; implicit-def: $sgpr10
	s_waitcnt vmcnt(0)
	v_cmpx_lt_i16_e32 0x7f, v6
	s_xor_b32 s11, exec_lo, s11
	s_cbranch_execz .LBB167_1711
; %bb.1692:
	s_mov_b32 s3, -1
	s_mov_b32 s12, exec_lo
                                        ; implicit-def: $sgpr10
	v_cmpx_eq_u16_e32 0x80, v6
; %bb.1693:
	s_movk_i32 s10, 0x7e00
	s_xor_b32 s3, exec_lo, -1
; %bb.1694:
	s_or_b32 exec_lo, exec_lo, s12
	s_delay_alu instid0(SALU_CYCLE_1)
	s_and_b32 s3, s3, exec_lo
	s_or_saveexec_b32 s11, s11
	v_mov_b32_e32 v14, s10
	s_xor_b32 exec_lo, exec_lo, s11
	s_cbranch_execnz .LBB167_1712
.LBB167_1695:
	s_or_b32 exec_lo, exec_lo, s11
	s_and_saveexec_b32 s10, s3
	s_cbranch_execz .LBB167_1697
.LBB167_1696:
	v_and_b32_e32 v14, 0xffff, v6
	v_lshlrev_b32_e32 v6, 24, v6
	s_delay_alu instid0(VALU_DEP_2) | instskip(NEXT) | instid1(VALU_DEP_2)
	v_and_b32_e32 v15, 7, v14
	v_and_b32_e32 v6, 0x80000000, v6
	s_delay_alu instid0(VALU_DEP_2) | instskip(NEXT) | instid1(VALU_DEP_1)
	v_clz_i32_u32_e32 v17, v15
	v_min_u32_e32 v17, 32, v17
	s_delay_alu instid0(VALU_DEP_1) | instskip(SKIP_1) | instid1(VALU_DEP_2)
	v_subrev_nc_u32_e32 v18, 28, v17
	v_sub_nc_u32_e32 v17, 29, v17
	v_lshlrev_b32_e32 v18, v18, v14
	v_bfe_u32 v14, v14, 3, 4
	s_delay_alu instid0(VALU_DEP_2) | instskip(NEXT) | instid1(VALU_DEP_2)
	v_and_b32_e32 v18, 7, v18
	v_cmp_eq_u32_e32 vcc_lo, 0, v14
	s_delay_alu instid0(VALU_DEP_2) | instskip(NEXT) | instid1(VALU_DEP_1)
	v_dual_cndmask_b32 v14, v14, v17 :: v_dual_cndmask_b32 v15, v15, v18
	v_lshl_add_u32 v14, v14, 23, 0x3b800000
	s_delay_alu instid0(VALU_DEP_2) | instskip(NEXT) | instid1(VALU_DEP_1)
	v_lshlrev_b32_e32 v15, 20, v15
	v_or3_b32 v6, v6, v14, v15
	s_delay_alu instid0(VALU_DEP_1)
	v_cvt_f16_f32_e32 v14, v6
.LBB167_1697:
	s_or_b32 exec_lo, exec_lo, s10
.LBB167_1698:
	s_mov_b32 s3, -1
.LBB167_1699:
	s_branch .LBB167_1731
.LBB167_1700:
	v_cmp_lt_i16_e32 vcc_lo, 22, v16
	s_cbranch_vccz .LBB167_1710
; %bb.1701:
	v_cmp_gt_i16_e32 vcc_lo, 24, v16
	s_cbranch_vccnz .LBB167_1713
; %bb.1702:
	v_cmp_lt_i16_e32 vcc_lo, 24, v16
	s_cbranch_vccz .LBB167_1714
; %bb.1703:
	global_load_u8 v6, v[12:13], off
	s_mov_b32 s10, exec_lo
                                        ; implicit-def: $sgpr3
	s_waitcnt vmcnt(0)
	v_cmpx_lt_i16_e32 0x7f, v6
	s_xor_b32 s10, exec_lo, s10
	s_cbranch_execz .LBB167_1725
; %bb.1704:
	s_mov_b32 s1, -1
	s_mov_b32 s11, exec_lo
                                        ; implicit-def: $sgpr3
	v_cmpx_eq_u16_e32 0x80, v6
; %bb.1705:
	s_movk_i32 s3, 0x7e00
	s_xor_b32 s1, exec_lo, -1
; %bb.1706:
	s_or_b32 exec_lo, exec_lo, s11
	s_delay_alu instid0(SALU_CYCLE_1)
	s_and_b32 s1, s1, exec_lo
	s_or_saveexec_b32 s10, s10
	v_mov_b32_e32 v14, s3
	s_xor_b32 exec_lo, exec_lo, s10
	s_cbranch_execnz .LBB167_1726
.LBB167_1707:
	s_or_b32 exec_lo, exec_lo, s10
	s_and_saveexec_b32 s3, s1
	s_cbranch_execz .LBB167_1709
.LBB167_1708:
	v_and_b32_e32 v14, 0xffff, v6
	v_lshlrev_b32_e32 v6, 24, v6
	s_delay_alu instid0(VALU_DEP_2) | instskip(NEXT) | instid1(VALU_DEP_2)
	v_and_b32_e32 v15, 3, v14
	v_and_b32_e32 v6, 0x80000000, v6
	s_delay_alu instid0(VALU_DEP_2) | instskip(NEXT) | instid1(VALU_DEP_1)
	v_clz_i32_u32_e32 v17, v15
	v_min_u32_e32 v17, 32, v17
	s_delay_alu instid0(VALU_DEP_1) | instskip(SKIP_1) | instid1(VALU_DEP_2)
	v_subrev_nc_u32_e32 v18, 29, v17
	v_sub_nc_u32_e32 v17, 30, v17
	v_lshlrev_b32_e32 v18, v18, v14
	v_bfe_u32 v14, v14, 2, 5
	s_delay_alu instid0(VALU_DEP_2) | instskip(NEXT) | instid1(VALU_DEP_2)
	v_and_b32_e32 v18, 3, v18
	v_cmp_eq_u32_e32 vcc_lo, 0, v14
	s_delay_alu instid0(VALU_DEP_2) | instskip(NEXT) | instid1(VALU_DEP_1)
	v_dual_cndmask_b32 v14, v14, v17 :: v_dual_cndmask_b32 v15, v15, v18
	v_lshl_add_u32 v14, v14, 23, 0x37800000
	s_delay_alu instid0(VALU_DEP_2) | instskip(NEXT) | instid1(VALU_DEP_1)
	v_lshlrev_b32_e32 v15, 21, v15
	v_or3_b32 v6, v6, v14, v15
	s_delay_alu instid0(VALU_DEP_1)
	v_cvt_f16_f32_e32 v14, v6
.LBB167_1709:
	s_or_b32 exec_lo, exec_lo, s3
	s_mov_b32 s1, 0
	s_branch .LBB167_1715
.LBB167_1710:
                                        ; implicit-def: $vgpr14
	s_mov_b32 s1, 0
	s_branch .LBB167_1721
.LBB167_1711:
	s_or_saveexec_b32 s11, s11
	v_mov_b32_e32 v14, s10
	s_xor_b32 exec_lo, exec_lo, s11
	s_cbranch_execz .LBB167_1695
.LBB167_1712:
	v_cmp_ne_u16_e32 vcc_lo, 0, v6
	v_mov_b32_e32 v14, v6
	s_and_not1_b32 s3, s3, exec_lo
	s_and_b32 s10, vcc_lo, exec_lo
	s_delay_alu instid0(SALU_CYCLE_1)
	s_or_b32 s3, s3, s10
	s_or_b32 exec_lo, exec_lo, s11
	s_and_saveexec_b32 s10, s3
	s_cbranch_execnz .LBB167_1696
	s_branch .LBB167_1697
.LBB167_1713:
	s_mov_b32 s1, -1
                                        ; implicit-def: $vgpr14
	s_branch .LBB167_1718
.LBB167_1714:
	s_mov_b32 s1, -1
                                        ; implicit-def: $vgpr14
.LBB167_1715:
	s_delay_alu instid0(SALU_CYCLE_1)
	s_and_b32 vcc_lo, exec_lo, s1
	s_cbranch_vccz .LBB167_1717
; %bb.1716:
	global_load_u8 v6, v[12:13], off
	s_waitcnt vmcnt(0)
	v_lshlrev_b32_e32 v6, 24, v6
	s_delay_alu instid0(VALU_DEP_1) | instskip(NEXT) | instid1(VALU_DEP_1)
	v_and_b32_e32 v14, 0x7f000000, v6
	v_clz_i32_u32_e32 v15, v14
	v_cmp_ne_u32_e32 vcc_lo, 0, v14
	v_add_nc_u32_e32 v18, 0x1000000, v14
	s_delay_alu instid0(VALU_DEP_3) | instskip(NEXT) | instid1(VALU_DEP_1)
	v_min_u32_e32 v15, 32, v15
	v_sub_nc_u32_e64 v15, v15, 4 clamp
	s_delay_alu instid0(VALU_DEP_1) | instskip(SKIP_1) | instid1(VALU_DEP_2)
	v_lshlrev_b32_e32 v17, v15, v14
	v_lshlrev_b32_e32 v15, 23, v15
	v_lshrrev_b32_e32 v17, 4, v17
	s_delay_alu instid0(VALU_DEP_1) | instskip(SKIP_1) | instid1(VALU_DEP_2)
	v_sub_nc_u32_e32 v15, v17, v15
	v_ashrrev_i32_e32 v17, 8, v18
	v_add_nc_u32_e32 v15, 0x3c000000, v15
	s_delay_alu instid0(VALU_DEP_1) | instskip(NEXT) | instid1(VALU_DEP_1)
	v_and_or_b32 v15, 0x7f800000, v17, v15
	v_cndmask_b32_e32 v14, 0, v15, vcc_lo
	s_delay_alu instid0(VALU_DEP_1) | instskip(NEXT) | instid1(VALU_DEP_1)
	v_and_or_b32 v6, 0x80000000, v6, v14
	v_cvt_f16_f32_e32 v14, v6
.LBB167_1717:
	s_mov_b32 s1, 0
.LBB167_1718:
	s_delay_alu instid0(SALU_CYCLE_1)
	s_and_not1_b32 vcc_lo, exec_lo, s1
	s_cbranch_vccnz .LBB167_1720
; %bb.1719:
	global_load_u8 v6, v[12:13], off
	s_waitcnt vmcnt(0)
	v_lshlrev_b32_e32 v14, 25, v6
	v_lshlrev_b16 v6, 8, v6
	s_delay_alu instid0(VALU_DEP_1) | instskip(SKIP_1) | instid1(VALU_DEP_2)
	v_and_or_b32 v17, 0x7f00, v6, 0.5
	v_bfe_i32 v6, v6, 0, 16
	v_add_f32_e32 v17, -0.5, v17
	v_lshrrev_b32_e32 v15, 4, v14
	v_cmp_gt_u32_e32 vcc_lo, 0x8000000, v14
	s_delay_alu instid0(VALU_DEP_2) | instskip(NEXT) | instid1(VALU_DEP_1)
	v_or_b32_e32 v15, 0x70000000, v15
	v_mul_f32_e32 v15, 0x7800000, v15
	s_delay_alu instid0(VALU_DEP_1) | instskip(NEXT) | instid1(VALU_DEP_1)
	v_cndmask_b32_e32 v14, v15, v17, vcc_lo
	v_and_or_b32 v6, 0x80000000, v6, v14
	s_delay_alu instid0(VALU_DEP_1)
	v_cvt_f16_f32_e32 v14, v6
.LBB167_1720:
	s_mov_b32 s3, -1
	s_mov_b32 s1, 0
	s_cbranch_execnz .LBB167_1731
.LBB167_1721:
	v_cmp_lt_i16_e32 vcc_lo, 14, v16
	s_cbranch_vccz .LBB167_1724
; %bb.1722:
	v_cmp_eq_u16_e32 vcc_lo, 15, v16
	s_cbranch_vccz .LBB167_1727
; %bb.1723:
	global_load_u16 v6, v[12:13], off
	s_mov_b32 s0, 0
	s_mov_b32 s3, -1
	s_waitcnt vmcnt(0)
	v_lshlrev_b32_e32 v6, 16, v6
	s_delay_alu instid0(VALU_DEP_1)
	v_cvt_f16_f32_e32 v14, v6
	s_branch .LBB167_1729
.LBB167_1724:
	s_mov_b32 s1, -1
	s_branch .LBB167_1728
.LBB167_1725:
	s_or_saveexec_b32 s10, s10
	v_mov_b32_e32 v14, s3
	s_xor_b32 exec_lo, exec_lo, s10
	s_cbranch_execz .LBB167_1707
.LBB167_1726:
	v_cmp_ne_u16_e32 vcc_lo, 0, v6
	v_mov_b32_e32 v14, v6
	s_and_not1_b32 s1, s1, exec_lo
	s_and_b32 s3, vcc_lo, exec_lo
	s_delay_alu instid0(SALU_CYCLE_1)
	s_or_b32 s1, s1, s3
	s_or_b32 exec_lo, exec_lo, s10
	s_and_saveexec_b32 s3, s1
	s_cbranch_execnz .LBB167_1708
	s_branch .LBB167_1709
.LBB167_1727:
	s_mov_b32 s0, -1
.LBB167_1728:
                                        ; implicit-def: $vgpr14
.LBB167_1729:
	s_and_b32 vcc_lo, exec_lo, s1
	s_mov_b32 s1, 0
	s_cbranch_vccz .LBB167_1731
; %bb.1730:
	v_cmp_ne_u16_e64 s0, 11, v16
	s_mov_b32 s1, -1
                                        ; implicit-def: $vgpr14
.LBB167_1731:
	s_delay_alu instid0(VALU_DEP_1)
	s_and_b32 vcc_lo, exec_lo, s0
	s_mov_b32 s10, s8
	s_cbranch_vccnz .LBB167_1755
; %bb.1732:
	s_and_not1_b32 vcc_lo, exec_lo, s1
	s_cbranch_vccnz .LBB167_1734
.LBB167_1733:
	global_load_u8 v6, v[12:13], off
	s_mov_b32 s3, -1
	s_waitcnt vmcnt(0)
	v_cmp_ne_u16_e32 vcc_lo, 0, v6
	v_cndmask_b32_e64 v14, 0, 0x3c00, vcc_lo
.LBB167_1734:
.LBB167_1735:
	s_and_not1_b32 vcc_lo, exec_lo, s3
	s_cbranch_vccnz .LBB167_3049
.LBB167_1736:
	s_load_b64 s[0:1], s[20:21], 0x198
	s_lshr_b32 s2, s2, 16
	s_mov_b32 s11, 0
	v_and_b32_e64 v15, 0xff, s2
	s_delay_alu instid0(VALU_DEP_1) | instskip(SKIP_2) | instid1(VALU_DEP_1)
	v_cmp_gt_i16_e32 vcc_lo, 11, v15
	s_waitcnt lgkmcnt(0)
	v_add_co_u32 v12, s2, s0, v5
	v_add_co_ci_u32_e64 v13, null, s1, 0, s2
	s_cbranch_vccnz .LBB167_1743
; %bb.1737:
	v_cmp_lt_i16_e32 vcc_lo, 25, v15
	s_mov_b32 s3, 0
	s_cbranch_vccz .LBB167_1749
; %bb.1738:
	v_cmp_lt_i16_e32 vcc_lo, 28, v15
	s_cbranch_vccz .LBB167_1751
; %bb.1739:
	v_cmp_lt_i16_e32 vcc_lo, 43, v15
	;; [unrolled: 3-line block ×3, first 2 shown]
	s_cbranch_vccz .LBB167_1757
; %bb.1741:
	v_cmp_eq_u16_e32 vcc_lo, 46, v15
	s_mov_b32 s12, 0
	s_cbranch_vccz .LBB167_1801
; %bb.1742:
	global_load_b32 v5, v[12:13], off
	s_mov_b32 s2, 0
	s_mov_b32 s11, -1
	s_waitcnt vmcnt(0)
	v_lshlrev_b32_e32 v5, 16, v5
	s_delay_alu instid0(VALU_DEP_1) | instskip(NEXT) | instid1(VALU_DEP_1)
	v_trunc_f32_e32 v5, v5
	v_mul_f32_e64 v6, 0x2f800000, |v5|
	s_delay_alu instid0(VALU_DEP_1) | instskip(NEXT) | instid1(VALU_DEP_1)
	v_floor_f32_e32 v6, v6
	v_fma_f32 v6, 0xcf800000, v6, |v5|
	v_ashrrev_i32_e32 v5, 31, v5
	s_delay_alu instid0(VALU_DEP_2) | instskip(NEXT) | instid1(VALU_DEP_1)
	v_cvt_u32_f32_e32 v6, v6
	v_xor_b32_e32 v6, v6, v5
	s_delay_alu instid0(VALU_DEP_1)
	v_sub_nc_u32_e32 v5, v6, v5
	s_branch .LBB167_1803
.LBB167_1743:
                                        ; implicit-def: $vgpr5
	s_cbranch_execz .LBB167_1864
; %bb.1744:
	v_cmp_gt_i16_e32 vcc_lo, 5, v15
	s_cbranch_vccnz .LBB167_1750
; %bb.1745:
	v_cmp_gt_i16_e32 vcc_lo, 8, v15
	s_cbranch_vccnz .LBB167_1752
	;; [unrolled: 3-line block ×3, first 2 shown]
; %bb.1747:
	v_cmp_lt_i16_e32 vcc_lo, 9, v15
	s_cbranch_vccz .LBB167_1760
; %bb.1748:
	global_load_b64 v[5:6], v[12:13], off
	s_mov_b32 s2, 0
	s_waitcnt vmcnt(0)
	v_trunc_f64_e32 v[5:6], v[5:6]
	s_delay_alu instid0(VALU_DEP_1) | instskip(NEXT) | instid1(VALU_DEP_1)
	v_ldexp_f64 v[17:18], v[5:6], 0xffffffe0
	v_floor_f64_e32 v[17:18], v[17:18]
	s_delay_alu instid0(VALU_DEP_1) | instskip(NEXT) | instid1(VALU_DEP_1)
	v_fma_f64 v[5:6], 0xc1f00000, v[17:18], v[5:6]
	v_cvt_u32_f64_e32 v5, v[5:6]
	s_branch .LBB167_1761
.LBB167_1749:
	s_mov_b32 s2, 0
                                        ; implicit-def: $vgpr5
	s_cbranch_execnz .LBB167_1830
	s_branch .LBB167_1860
.LBB167_1750:
                                        ; implicit-def: $vgpr5
	s_branch .LBB167_1779
.LBB167_1751:
	s_mov_b32 s12, -1
	s_mov_b32 s2, 0
                                        ; implicit-def: $vgpr5
	s_branch .LBB167_1813
.LBB167_1752:
	s_mov_b32 s2, -1
                                        ; implicit-def: $vgpr5
	s_branch .LBB167_1767
.LBB167_1753:
	s_mov_b32 s12, -1
	s_mov_b32 s2, 0
                                        ; implicit-def: $vgpr5
	s_branch .LBB167_1808
.LBB167_1754:
	s_mov_b32 s2, -1
                                        ; implicit-def: $vgpr5
	s_branch .LBB167_1764
.LBB167_1755:
	s_cbranch_execnz .LBB167_1799
; %bb.1756:
	s_or_b32 s10, s8, exec_lo
                                        ; implicit-def: $vgpr14
	s_cbranch_execz .LBB167_1733
	s_branch .LBB167_1734
.LBB167_1757:
	s_mov_b32 s12, -1
	s_mov_b32 s2, 0
	s_branch .LBB167_1802
.LBB167_1758:
	s_or_saveexec_b32 s7, s7
                                        ; implicit-def: $sgpr8
	s_delay_alu instid0(SALU_CYCLE_1)
	s_xor_b32 exec_lo, exec_lo, s7
	s_cbranch_execz .LBB167_1477
.LBB167_1759:
	v_add_f32_e64 v4, 0x46000000, |v0|
	s_and_not1_b32 s5, s5, exec_lo
	s_mov_b32 s8, 0
	s_delay_alu instid0(VALU_DEP_1) | instskip(NEXT) | instid1(VALU_DEP_1)
	v_and_b32_e32 v4, 0xff, v4
	v_cmp_ne_u32_e32 vcc_lo, 0, v4
	s_and_b32 s9, vcc_lo, exec_lo
	s_delay_alu instid0(SALU_CYCLE_1)
	s_or_b32 s5, s5, s9
	s_or_b32 exec_lo, exec_lo, s7
	v_mov_b32_e32 v6, s8
	s_and_saveexec_b32 s7, s5
	s_cbranch_execnz .LBB167_1478
	s_branch .LBB167_1479
.LBB167_1760:
	s_mov_b32 s2, -1
                                        ; implicit-def: $vgpr5
.LBB167_1761:
	s_delay_alu instid0(SALU_CYCLE_1)
	s_and_not1_b32 vcc_lo, exec_lo, s2
	s_cbranch_vccnz .LBB167_1763
; %bb.1762:
	global_load_b32 v5, v[12:13], off
	s_waitcnt vmcnt(0)
	v_trunc_f32_e32 v5, v5
	s_delay_alu instid0(VALU_DEP_1) | instskip(NEXT) | instid1(VALU_DEP_1)
	v_mul_f32_e64 v6, 0x2f800000, |v5|
	v_floor_f32_e32 v6, v6
	s_delay_alu instid0(VALU_DEP_1) | instskip(SKIP_1) | instid1(VALU_DEP_2)
	v_fma_f32 v6, 0xcf800000, v6, |v5|
	v_ashrrev_i32_e32 v5, 31, v5
	v_cvt_u32_f32_e32 v6, v6
	s_delay_alu instid0(VALU_DEP_1) | instskip(NEXT) | instid1(VALU_DEP_1)
	v_xor_b32_e32 v6, v6, v5
	v_sub_nc_u32_e32 v5, v6, v5
.LBB167_1763:
	s_mov_b32 s2, 0
.LBB167_1764:
	s_delay_alu instid0(SALU_CYCLE_1)
	s_and_not1_b32 vcc_lo, exec_lo, s2
	s_cbranch_vccnz .LBB167_1766
; %bb.1765:
	global_load_b32 v5, v[12:13], off
	s_waitcnt vmcnt(0)
	v_cvt_f32_f16_e32 v5, v5
	s_delay_alu instid0(VALU_DEP_1)
	v_cvt_i32_f32_e32 v5, v5
.LBB167_1766:
	s_mov_b32 s2, 0
.LBB167_1767:
	s_delay_alu instid0(SALU_CYCLE_1)
	s_and_not1_b32 vcc_lo, exec_lo, s2
	s_cbranch_vccnz .LBB167_1778
; %bb.1768:
	v_cmp_gt_i16_e32 vcc_lo, 6, v15
	s_cbranch_vccnz .LBB167_1771
; %bb.1769:
	v_cmp_lt_i16_e32 vcc_lo, 6, v15
	s_cbranch_vccz .LBB167_1772
; %bb.1770:
	global_load_b64 v[5:6], v[12:13], off
	s_mov_b32 s2, 0
	s_waitcnt vmcnt(0)
	v_trunc_f64_e32 v[5:6], v[5:6]
	s_delay_alu instid0(VALU_DEP_1) | instskip(NEXT) | instid1(VALU_DEP_1)
	v_ldexp_f64 v[17:18], v[5:6], 0xffffffe0
	v_floor_f64_e32 v[17:18], v[17:18]
	s_delay_alu instid0(VALU_DEP_1) | instskip(NEXT) | instid1(VALU_DEP_1)
	v_fma_f64 v[5:6], 0xc1f00000, v[17:18], v[5:6]
	v_cvt_u32_f64_e32 v5, v[5:6]
	s_branch .LBB167_1773
.LBB167_1771:
	s_mov_b32 s2, -1
                                        ; implicit-def: $vgpr5
	s_branch .LBB167_1776
.LBB167_1772:
	s_mov_b32 s2, -1
                                        ; implicit-def: $vgpr5
.LBB167_1773:
	s_delay_alu instid0(SALU_CYCLE_1)
	s_and_not1_b32 vcc_lo, exec_lo, s2
	s_cbranch_vccnz .LBB167_1775
; %bb.1774:
	global_load_b32 v5, v[12:13], off
	s_waitcnt vmcnt(0)
	v_trunc_f32_e32 v5, v5
	s_delay_alu instid0(VALU_DEP_1) | instskip(NEXT) | instid1(VALU_DEP_1)
	v_mul_f32_e64 v6, 0x2f800000, |v5|
	v_floor_f32_e32 v6, v6
	s_delay_alu instid0(VALU_DEP_1) | instskip(SKIP_1) | instid1(VALU_DEP_2)
	v_fma_f32 v6, 0xcf800000, v6, |v5|
	v_ashrrev_i32_e32 v5, 31, v5
	v_cvt_u32_f32_e32 v6, v6
	s_delay_alu instid0(VALU_DEP_1) | instskip(NEXT) | instid1(VALU_DEP_1)
	v_xor_b32_e32 v6, v6, v5
	v_sub_nc_u32_e32 v5, v6, v5
.LBB167_1775:
	s_mov_b32 s2, 0
.LBB167_1776:
	s_delay_alu instid0(SALU_CYCLE_1)
	s_and_not1_b32 vcc_lo, exec_lo, s2
	s_cbranch_vccnz .LBB167_1778
; %bb.1777:
	global_load_u16 v5, v[12:13], off
	s_waitcnt vmcnt(0)
	v_cvt_f32_f16_e32 v5, v5
	s_delay_alu instid0(VALU_DEP_1)
	v_cvt_i32_f32_e32 v5, v5
.LBB167_1778:
	s_cbranch_execnz .LBB167_1798
.LBB167_1779:
	v_cmp_gt_i16_e32 vcc_lo, 2, v15
	s_cbranch_vccnz .LBB167_1783
; %bb.1780:
	v_cmp_gt_i16_e32 vcc_lo, 3, v15
	s_cbranch_vccnz .LBB167_1784
; %bb.1781:
	v_cmp_lt_i16_e32 vcc_lo, 3, v15
	s_cbranch_vccz .LBB167_1785
; %bb.1782:
	global_load_b64 v[5:6], v[12:13], off
	s_mov_b32 s2, 0
	s_branch .LBB167_1786
.LBB167_1783:
	s_mov_b32 s2, -1
                                        ; implicit-def: $vgpr5
	s_branch .LBB167_1792
.LBB167_1784:
	s_mov_b32 s2, -1
                                        ; implicit-def: $vgpr5
	s_branch .LBB167_1789
.LBB167_1785:
	s_mov_b32 s2, -1
                                        ; implicit-def: $vgpr5
.LBB167_1786:
	s_delay_alu instid0(SALU_CYCLE_1)
	s_and_not1_b32 vcc_lo, exec_lo, s2
	s_cbranch_vccnz .LBB167_1788
; %bb.1787:
	global_load_b32 v5, v[12:13], off
.LBB167_1788:
	s_mov_b32 s2, 0
.LBB167_1789:
	s_delay_alu instid0(SALU_CYCLE_1)
	s_and_not1_b32 vcc_lo, exec_lo, s2
	s_cbranch_vccnz .LBB167_1791
; %bb.1790:
	global_load_u16 v5, v[12:13], off
.LBB167_1791:
	s_mov_b32 s2, 0
.LBB167_1792:
	s_delay_alu instid0(SALU_CYCLE_1)
	s_and_not1_b32 vcc_lo, exec_lo, s2
	s_cbranch_vccnz .LBB167_1798
; %bb.1793:
	v_cmp_lt_i16_e32 vcc_lo, 0, v15
	s_mov_b32 s2, 0
	s_cbranch_vccz .LBB167_1795
; %bb.1794:
	global_load_u8 v5, v[12:13], off
	s_branch .LBB167_1796
.LBB167_1795:
	s_mov_b32 s2, -1
                                        ; implicit-def: $vgpr5
.LBB167_1796:
	s_delay_alu instid0(SALU_CYCLE_1)
	s_and_not1_b32 vcc_lo, exec_lo, s2
	s_cbranch_vccnz .LBB167_1798
; %bb.1797:
	global_load_u8 v5, v[12:13], off
.LBB167_1798:
	s_branch .LBB167_1865
.LBB167_1799:
	s_trap 2
	s_sendmsg_rtn_b32 s0, sendmsg(MSG_RTN_GET_DOORBELL)
	s_mov_b32 ttmp2, m0
	s_waitcnt lgkmcnt(0)
	s_and_b32 s0, s0, 0x3ff
	s_delay_alu instid0(SALU_CYCLE_1) | instskip(NEXT) | instid1(SALU_CYCLE_1)
	s_bitset1_b32 s0, 10
	s_mov_b32 m0, s0
	s_sendmsg sendmsg(MSG_INTERRUPT)
	s_mov_b32 m0, ttmp2
.LBB167_1800:                           ; =>This Inner Loop Header: Depth=1
	s_sethalt 5
	s_branch .LBB167_1800
.LBB167_1801:
	s_mov_b32 s2, -1
.LBB167_1802:
                                        ; implicit-def: $vgpr5
.LBB167_1803:
	s_and_b32 vcc_lo, exec_lo, s12
	s_cbranch_vccz .LBB167_1807
; %bb.1804:
	v_cmp_eq_u16_e32 vcc_lo, 44, v15
	s_cbranch_vccz .LBB167_1806
; %bb.1805:
	global_load_u8 v5, v[12:13], off
	s_mov_b32 s2, 0
	s_mov_b32 s11, -1
	s_waitcnt vmcnt(0)
	v_lshlrev_b32_e32 v6, 23, v5
	v_cmp_ne_u32_e32 vcc_lo, 0, v5
	s_delay_alu instid0(VALU_DEP_2) | instskip(NEXT) | instid1(VALU_DEP_1)
	v_trunc_f32_e32 v6, v6
	v_mul_f32_e64 v17, 0x2f800000, |v6|
	s_delay_alu instid0(VALU_DEP_1) | instskip(NEXT) | instid1(VALU_DEP_1)
	v_floor_f32_e32 v17, v17
	v_fma_f32 v17, 0xcf800000, v17, |v6|
	v_ashrrev_i32_e32 v6, 31, v6
	s_delay_alu instid0(VALU_DEP_2) | instskip(NEXT) | instid1(VALU_DEP_1)
	v_cvt_u32_f32_e32 v17, v17
	v_xor_b32_e32 v17, v17, v6
	s_delay_alu instid0(VALU_DEP_1) | instskip(NEXT) | instid1(VALU_DEP_1)
	v_sub_nc_u32_e32 v6, v17, v6
	v_cndmask_b32_e32 v5, 0, v6, vcc_lo
	s_branch .LBB167_1807
.LBB167_1806:
	s_mov_b32 s2, -1
                                        ; implicit-def: $vgpr5
.LBB167_1807:
	s_mov_b32 s12, 0
.LBB167_1808:
	s_delay_alu instid0(SALU_CYCLE_1)
	s_and_b32 vcc_lo, exec_lo, s12
	s_cbranch_vccz .LBB167_1812
; %bb.1809:
	v_cmp_eq_u16_e32 vcc_lo, 29, v15
	s_cbranch_vccz .LBB167_1811
; %bb.1810:
	global_load_b64 v[5:6], v[12:13], off
	s_mov_b32 s2, 0
	s_mov_b32 s11, -1
	s_branch .LBB167_1812
.LBB167_1811:
	s_mov_b32 s2, -1
                                        ; implicit-def: $vgpr5
.LBB167_1812:
	s_mov_b32 s12, 0
.LBB167_1813:
	s_delay_alu instid0(SALU_CYCLE_1)
	s_and_b32 vcc_lo, exec_lo, s12
	s_cbranch_vccz .LBB167_1829
; %bb.1814:
	v_cmp_gt_i16_e32 vcc_lo, 27, v15
	s_cbranch_vccnz .LBB167_1817
; %bb.1815:
	v_cmp_lt_i16_e32 vcc_lo, 27, v15
	s_cbranch_vccz .LBB167_1818
; %bb.1816:
	global_load_b32 v5, v[12:13], off
	s_mov_b32 s11, 0
	s_branch .LBB167_1819
.LBB167_1817:
	s_mov_b32 s11, -1
                                        ; implicit-def: $vgpr5
	s_branch .LBB167_1822
.LBB167_1818:
	s_mov_b32 s11, -1
                                        ; implicit-def: $vgpr5
.LBB167_1819:
	s_delay_alu instid0(SALU_CYCLE_1)
	s_and_not1_b32 vcc_lo, exec_lo, s11
	s_cbranch_vccnz .LBB167_1821
; %bb.1820:
	global_load_u16 v5, v[12:13], off
.LBB167_1821:
	s_mov_b32 s11, 0
.LBB167_1822:
	s_delay_alu instid0(SALU_CYCLE_1)
	s_and_not1_b32 vcc_lo, exec_lo, s11
	s_cbranch_vccnz .LBB167_1828
; %bb.1823:
	global_load_u8 v6, v[12:13], off
	s_mov_b32 s12, 0
	s_mov_b32 s11, exec_lo
                                        ; implicit-def: $sgpr13
	s_waitcnt vmcnt(0)
	v_cmpx_lt_i16_e32 0x7f, v6
	s_xor_b32 s11, exec_lo, s11
	s_cbranch_execz .LBB167_1839
; %bb.1824:
	v_cmp_ne_u16_e32 vcc_lo, 0x80, v6
	s_mov_b32 s13, 0
	s_and_b32 s12, vcc_lo, exec_lo
	s_or_saveexec_b32 s11, s11
	v_mov_b32_e32 v5, s13
	s_xor_b32 exec_lo, exec_lo, s11
	s_cbranch_execnz .LBB167_1840
.LBB167_1825:
	s_or_b32 exec_lo, exec_lo, s11
	s_and_saveexec_b32 s11, s12
	s_cbranch_execz .LBB167_1827
.LBB167_1826:
	v_and_b32_e32 v5, 0xffff, v6
	s_delay_alu instid0(VALU_DEP_1) | instskip(NEXT) | instid1(VALU_DEP_1)
	v_and_b32_e32 v17, 7, v5
	v_clz_i32_u32_e32 v18, v17
	s_delay_alu instid0(VALU_DEP_1) | instskip(NEXT) | instid1(VALU_DEP_1)
	v_min_u32_e32 v18, 32, v18
	v_subrev_nc_u32_e32 v19, 28, v18
	v_sub_nc_u32_e32 v18, 29, v18
	s_delay_alu instid0(VALU_DEP_2) | instskip(SKIP_1) | instid1(VALU_DEP_2)
	v_lshlrev_b32_e32 v19, v19, v5
	v_bfe_u32 v5, v5, 3, 4
	v_and_b32_e32 v19, 7, v19
	s_delay_alu instid0(VALU_DEP_2) | instskip(NEXT) | instid1(VALU_DEP_2)
	v_cmp_eq_u32_e32 vcc_lo, 0, v5
	v_dual_cndmask_b32 v17, v17, v19 :: v_dual_lshlrev_b32 v6, 24, v6
	v_cndmask_b32_e32 v5, v5, v18, vcc_lo
	s_delay_alu instid0(VALU_DEP_2) | instskip(NEXT) | instid1(VALU_DEP_3)
	v_and_b32_e32 v6, 0x80000000, v6
	v_lshlrev_b32_e32 v17, 20, v17
	s_delay_alu instid0(VALU_DEP_3) | instskip(NEXT) | instid1(VALU_DEP_1)
	v_lshl_add_u32 v5, v5, 23, 0x3b800000
	v_or3_b32 v5, v6, v5, v17
	s_delay_alu instid0(VALU_DEP_1) | instskip(NEXT) | instid1(VALU_DEP_1)
	v_trunc_f32_e32 v5, v5
	v_mul_f32_e64 v6, 0x2f800000, |v5|
	s_delay_alu instid0(VALU_DEP_1) | instskip(NEXT) | instid1(VALU_DEP_1)
	v_floor_f32_e32 v6, v6
	v_fma_f32 v6, 0xcf800000, v6, |v5|
	v_ashrrev_i32_e32 v5, 31, v5
	s_delay_alu instid0(VALU_DEP_2) | instskip(NEXT) | instid1(VALU_DEP_1)
	v_cvt_u32_f32_e32 v6, v6
	v_xor_b32_e32 v6, v6, v5
	s_delay_alu instid0(VALU_DEP_1)
	v_sub_nc_u32_e32 v5, v6, v5
.LBB167_1827:
	s_or_b32 exec_lo, exec_lo, s11
.LBB167_1828:
	s_mov_b32 s11, -1
.LBB167_1829:
	s_branch .LBB167_1860
.LBB167_1830:
	v_cmp_lt_i16_e32 vcc_lo, 22, v15
	s_cbranch_vccz .LBB167_1838
; %bb.1831:
	v_cmp_gt_i16_e32 vcc_lo, 24, v15
	s_cbranch_vccnz .LBB167_1841
; %bb.1832:
	v_cmp_lt_i16_e32 vcc_lo, 24, v15
	s_cbranch_vccz .LBB167_1842
; %bb.1833:
	global_load_u8 v6, v[12:13], off
	s_mov_b32 s11, 0
	s_mov_b32 s3, exec_lo
                                        ; implicit-def: $sgpr12
	s_waitcnt vmcnt(0)
	v_cmpx_lt_i16_e32 0x7f, v6
	s_xor_b32 s3, exec_lo, s3
	s_cbranch_execz .LBB167_1854
; %bb.1834:
	v_cmp_ne_u16_e32 vcc_lo, 0x80, v6
	s_mov_b32 s12, 0
	s_and_b32 s11, vcc_lo, exec_lo
	s_or_saveexec_b32 s3, s3
	v_mov_b32_e32 v5, s12
	s_xor_b32 exec_lo, exec_lo, s3
	s_cbranch_execnz .LBB167_1855
.LBB167_1835:
	s_or_b32 exec_lo, exec_lo, s3
	s_and_saveexec_b32 s3, s11
	s_cbranch_execz .LBB167_1837
.LBB167_1836:
	v_and_b32_e32 v5, 0xffff, v6
	s_delay_alu instid0(VALU_DEP_1) | instskip(NEXT) | instid1(VALU_DEP_1)
	v_and_b32_e32 v17, 3, v5
	v_clz_i32_u32_e32 v18, v17
	s_delay_alu instid0(VALU_DEP_1) | instskip(NEXT) | instid1(VALU_DEP_1)
	v_min_u32_e32 v18, 32, v18
	v_subrev_nc_u32_e32 v19, 29, v18
	v_sub_nc_u32_e32 v18, 30, v18
	s_delay_alu instid0(VALU_DEP_2) | instskip(SKIP_1) | instid1(VALU_DEP_2)
	v_lshlrev_b32_e32 v19, v19, v5
	v_bfe_u32 v5, v5, 2, 5
	v_and_b32_e32 v19, 3, v19
	s_delay_alu instid0(VALU_DEP_2) | instskip(NEXT) | instid1(VALU_DEP_2)
	v_cmp_eq_u32_e32 vcc_lo, 0, v5
	v_dual_cndmask_b32 v17, v17, v19 :: v_dual_lshlrev_b32 v6, 24, v6
	v_cndmask_b32_e32 v5, v5, v18, vcc_lo
	s_delay_alu instid0(VALU_DEP_2) | instskip(NEXT) | instid1(VALU_DEP_3)
	v_and_b32_e32 v6, 0x80000000, v6
	v_lshlrev_b32_e32 v17, 21, v17
	s_delay_alu instid0(VALU_DEP_3) | instskip(NEXT) | instid1(VALU_DEP_1)
	v_lshl_add_u32 v5, v5, 23, 0x37800000
	v_or3_b32 v5, v6, v5, v17
	s_delay_alu instid0(VALU_DEP_1) | instskip(NEXT) | instid1(VALU_DEP_1)
	v_trunc_f32_e32 v5, v5
	v_mul_f32_e64 v6, 0x2f800000, |v5|
	s_delay_alu instid0(VALU_DEP_1) | instskip(NEXT) | instid1(VALU_DEP_1)
	v_floor_f32_e32 v6, v6
	v_fma_f32 v6, 0xcf800000, v6, |v5|
	v_ashrrev_i32_e32 v5, 31, v5
	s_delay_alu instid0(VALU_DEP_2) | instskip(NEXT) | instid1(VALU_DEP_1)
	v_cvt_u32_f32_e32 v6, v6
	v_xor_b32_e32 v6, v6, v5
	s_delay_alu instid0(VALU_DEP_1)
	v_sub_nc_u32_e32 v5, v6, v5
.LBB167_1837:
	s_or_b32 exec_lo, exec_lo, s3
	s_mov_b32 s3, 0
	s_branch .LBB167_1843
.LBB167_1838:
	s_mov_b32 s3, -1
                                        ; implicit-def: $vgpr5
	s_branch .LBB167_1849
.LBB167_1839:
	s_or_saveexec_b32 s11, s11
	v_mov_b32_e32 v5, s13
	s_xor_b32 exec_lo, exec_lo, s11
	s_cbranch_execz .LBB167_1825
.LBB167_1840:
	v_cmp_ne_u16_e32 vcc_lo, 0, v6
	v_mov_b32_e32 v5, 0
	s_and_not1_b32 s12, s12, exec_lo
	s_and_b32 s13, vcc_lo, exec_lo
	s_delay_alu instid0(SALU_CYCLE_1)
	s_or_b32 s12, s12, s13
	s_or_b32 exec_lo, exec_lo, s11
	s_and_saveexec_b32 s11, s12
	s_cbranch_execnz .LBB167_1826
	s_branch .LBB167_1827
.LBB167_1841:
	s_mov_b32 s3, -1
                                        ; implicit-def: $vgpr5
	s_branch .LBB167_1846
.LBB167_1842:
	s_mov_b32 s3, -1
                                        ; implicit-def: $vgpr5
.LBB167_1843:
	s_delay_alu instid0(SALU_CYCLE_1)
	s_and_b32 vcc_lo, exec_lo, s3
	s_cbranch_vccz .LBB167_1845
; %bb.1844:
	global_load_u8 v5, v[12:13], off
	s_waitcnt vmcnt(0)
	v_lshlrev_b32_e32 v5, 24, v5
	s_delay_alu instid0(VALU_DEP_1) | instskip(NEXT) | instid1(VALU_DEP_1)
	v_and_b32_e32 v6, 0x7f000000, v5
	v_clz_i32_u32_e32 v17, v6
	v_cmp_ne_u32_e32 vcc_lo, 0, v6
	v_add_nc_u32_e32 v19, 0x1000000, v6
	s_delay_alu instid0(VALU_DEP_3) | instskip(NEXT) | instid1(VALU_DEP_1)
	v_min_u32_e32 v17, 32, v17
	v_sub_nc_u32_e64 v17, v17, 4 clamp
	s_delay_alu instid0(VALU_DEP_1) | instskip(SKIP_1) | instid1(VALU_DEP_2)
	v_lshlrev_b32_e32 v18, v17, v6
	v_lshlrev_b32_e32 v17, 23, v17
	v_lshrrev_b32_e32 v18, 4, v18
	s_delay_alu instid0(VALU_DEP_1) | instskip(SKIP_1) | instid1(VALU_DEP_2)
	v_sub_nc_u32_e32 v17, v18, v17
	v_ashrrev_i32_e32 v18, 8, v19
	v_add_nc_u32_e32 v17, 0x3c000000, v17
	s_delay_alu instid0(VALU_DEP_1) | instskip(NEXT) | instid1(VALU_DEP_1)
	v_and_or_b32 v17, 0x7f800000, v18, v17
	v_cndmask_b32_e32 v6, 0, v17, vcc_lo
	s_delay_alu instid0(VALU_DEP_1) | instskip(NEXT) | instid1(VALU_DEP_1)
	v_and_or_b32 v5, 0x80000000, v5, v6
	v_trunc_f32_e32 v5, v5
	s_delay_alu instid0(VALU_DEP_1) | instskip(NEXT) | instid1(VALU_DEP_1)
	v_mul_f32_e64 v6, 0x2f800000, |v5|
	v_floor_f32_e32 v6, v6
	s_delay_alu instid0(VALU_DEP_1) | instskip(SKIP_1) | instid1(VALU_DEP_2)
	v_fma_f32 v6, 0xcf800000, v6, |v5|
	v_ashrrev_i32_e32 v5, 31, v5
	v_cvt_u32_f32_e32 v6, v6
	s_delay_alu instid0(VALU_DEP_1) | instskip(NEXT) | instid1(VALU_DEP_1)
	v_xor_b32_e32 v6, v6, v5
	v_sub_nc_u32_e32 v5, v6, v5
.LBB167_1845:
	s_mov_b32 s3, 0
.LBB167_1846:
	s_delay_alu instid0(SALU_CYCLE_1)
	s_and_not1_b32 vcc_lo, exec_lo, s3
	s_cbranch_vccnz .LBB167_1848
; %bb.1847:
	global_load_u8 v5, v[12:13], off
	s_waitcnt vmcnt(0)
	v_lshlrev_b32_e32 v6, 25, v5
	v_lshlrev_b16 v5, 8, v5
	s_delay_alu instid0(VALU_DEP_2) | instskip(NEXT) | instid1(VALU_DEP_2)
	v_lshrrev_b32_e32 v17, 4, v6
	v_and_or_b32 v18, 0x7f00, v5, 0.5
	v_cmp_gt_u32_e32 vcc_lo, 0x8000000, v6
	v_bfe_i32 v5, v5, 0, 16
	s_delay_alu instid0(VALU_DEP_4) | instskip(NEXT) | instid1(VALU_DEP_1)
	v_or_b32_e32 v17, 0x70000000, v17
	v_dual_add_f32 v18, -0.5, v18 :: v_dual_mul_f32 v17, 0x7800000, v17
	s_delay_alu instid0(VALU_DEP_1) | instskip(NEXT) | instid1(VALU_DEP_1)
	v_cndmask_b32_e32 v6, v17, v18, vcc_lo
	v_and_or_b32 v5, 0x80000000, v5, v6
	s_delay_alu instid0(VALU_DEP_1) | instskip(NEXT) | instid1(VALU_DEP_1)
	v_trunc_f32_e32 v5, v5
	v_mul_f32_e64 v6, 0x2f800000, |v5|
	s_delay_alu instid0(VALU_DEP_1) | instskip(NEXT) | instid1(VALU_DEP_1)
	v_floor_f32_e32 v6, v6
	v_fma_f32 v6, 0xcf800000, v6, |v5|
	v_ashrrev_i32_e32 v5, 31, v5
	s_delay_alu instid0(VALU_DEP_2) | instskip(NEXT) | instid1(VALU_DEP_1)
	v_cvt_u32_f32_e32 v6, v6
	v_xor_b32_e32 v6, v6, v5
	s_delay_alu instid0(VALU_DEP_1)
	v_sub_nc_u32_e32 v5, v6, v5
.LBB167_1848:
	s_mov_b32 s3, 0
	s_mov_b32 s11, -1
.LBB167_1849:
	s_and_not1_b32 vcc_lo, exec_lo, s3
	s_mov_b32 s3, 0
	s_cbranch_vccnz .LBB167_1860
; %bb.1850:
	v_cmp_lt_i16_e32 vcc_lo, 14, v15
	s_cbranch_vccz .LBB167_1853
; %bb.1851:
	v_cmp_eq_u16_e32 vcc_lo, 15, v15
	s_cbranch_vccz .LBB167_1856
; %bb.1852:
	global_load_u16 v5, v[12:13], off
	s_mov_b32 s2, 0
	s_mov_b32 s11, -1
	s_waitcnt vmcnt(0)
	v_lshlrev_b32_e32 v5, 16, v5
	s_delay_alu instid0(VALU_DEP_1) | instskip(NEXT) | instid1(VALU_DEP_1)
	v_trunc_f32_e32 v5, v5
	v_mul_f32_e64 v6, 0x2f800000, |v5|
	s_delay_alu instid0(VALU_DEP_1) | instskip(NEXT) | instid1(VALU_DEP_1)
	v_floor_f32_e32 v6, v6
	v_fma_f32 v6, 0xcf800000, v6, |v5|
	v_ashrrev_i32_e32 v5, 31, v5
	s_delay_alu instid0(VALU_DEP_2) | instskip(NEXT) | instid1(VALU_DEP_1)
	v_cvt_u32_f32_e32 v6, v6
	v_xor_b32_e32 v6, v6, v5
	s_delay_alu instid0(VALU_DEP_1)
	v_sub_nc_u32_e32 v5, v6, v5
	s_branch .LBB167_1858
.LBB167_1853:
	s_mov_b32 s3, -1
	s_branch .LBB167_1857
.LBB167_1854:
	s_or_saveexec_b32 s3, s3
	v_mov_b32_e32 v5, s12
	s_xor_b32 exec_lo, exec_lo, s3
	s_cbranch_execz .LBB167_1835
.LBB167_1855:
	v_cmp_ne_u16_e32 vcc_lo, 0, v6
	v_mov_b32_e32 v5, 0
	s_and_not1_b32 s11, s11, exec_lo
	s_and_b32 s12, vcc_lo, exec_lo
	s_delay_alu instid0(SALU_CYCLE_1)
	s_or_b32 s11, s11, s12
	s_or_b32 exec_lo, exec_lo, s3
	s_and_saveexec_b32 s3, s11
	s_cbranch_execnz .LBB167_1836
	s_branch .LBB167_1837
.LBB167_1856:
	s_mov_b32 s2, -1
.LBB167_1857:
                                        ; implicit-def: $vgpr5
.LBB167_1858:
	s_and_b32 vcc_lo, exec_lo, s3
	s_mov_b32 s3, 0
	s_cbranch_vccz .LBB167_1860
; %bb.1859:
	v_cmp_ne_u16_e64 s2, 11, v15
	s_mov_b32 s3, -1
                                        ; implicit-def: $vgpr5
.LBB167_1860:
	s_delay_alu instid0(VALU_DEP_1)
	s_and_b32 vcc_lo, exec_lo, s2
	s_cbranch_vccnz .LBB167_1884
; %bb.1861:
	s_and_not1_b32 vcc_lo, exec_lo, s3
	s_cbranch_vccnz .LBB167_1863
.LBB167_1862:
	global_load_u8 v5, v[12:13], off
	s_mov_b32 s11, -1
	s_waitcnt vmcnt(0)
	v_cmp_ne_u16_e32 vcc_lo, 0, v5
	v_cndmask_b32_e64 v5, 0, 1, vcc_lo
.LBB167_1863:
.LBB167_1864:
	s_and_not1_b32 vcc_lo, exec_lo, s11
	s_cbranch_vccnz .LBB167_3049
.LBB167_1865:
	v_cmp_gt_i16_e32 vcc_lo, 11, v16
	v_add_co_u32 v12, s2, s6, v9
	s_delay_alu instid0(VALU_DEP_1)
	v_add_co_ci_u32_e64 v13, null, s7, 0, s2
	s_mov_b32 s11, 0
	s_cbranch_vccnz .LBB167_1872
; %bb.1866:
	v_cmp_lt_i16_e32 vcc_lo, 25, v16
	s_mov_b32 s3, 0
	s_cbranch_vccz .LBB167_1878
; %bb.1867:
	v_cmp_lt_i16_e32 vcc_lo, 28, v16
	s_cbranch_vccz .LBB167_1880
; %bb.1868:
	v_cmp_lt_i16_e32 vcc_lo, 43, v16
	;; [unrolled: 3-line block ×3, first 2 shown]
	s_cbranch_vccz .LBB167_1888
; %bb.1870:
	v_cmp_eq_u16_e32 vcc_lo, 46, v16
	s_mov_b32 s12, 0
	s_cbranch_vccz .LBB167_1931
; %bb.1871:
	global_load_b32 v6, v[12:13], off
	s_mov_b32 s2, 0
	s_mov_b32 s11, -1
	s_waitcnt vmcnt(0)
	v_lshlrev_b32_e32 v6, 16, v6
	s_delay_alu instid0(VALU_DEP_1)
	v_cvt_f16_f32_e32 v17, v6
	s_branch .LBB167_1933
.LBB167_1872:
                                        ; implicit-def: $vgpr17
	s_cbranch_execz .LBB167_1999
; %bb.1873:
	v_cmp_gt_i16_e32 vcc_lo, 5, v16
	s_cbranch_vccnz .LBB167_1879
; %bb.1874:
	v_cmp_gt_i16_e32 vcc_lo, 8, v16
	s_cbranch_vccnz .LBB167_1881
	;; [unrolled: 3-line block ×3, first 2 shown]
; %bb.1876:
	v_cmp_lt_i16_e32 vcc_lo, 9, v16
	s_cbranch_vccz .LBB167_1889
; %bb.1877:
	global_load_b64 v[17:18], v[12:13], off
	s_mov_b32 s2, 0
	s_waitcnt vmcnt(0)
	v_cvt_f32_f64_e32 v6, v[17:18]
	s_delay_alu instid0(VALU_DEP_1)
	v_cvt_f16_f32_e32 v17, v6
	s_branch .LBB167_1890
.LBB167_1878:
	s_mov_b32 s12, -1
	s_mov_b32 s2, 0
                                        ; implicit-def: $vgpr17
	s_branch .LBB167_1962
.LBB167_1879:
	s_mov_b32 s2, -1
                                        ; implicit-def: $vgpr17
	s_branch .LBB167_1908
.LBB167_1880:
	s_mov_b32 s12, -1
	s_mov_b32 s2, 0
                                        ; implicit-def: $vgpr17
	s_branch .LBB167_1943
.LBB167_1881:
	s_mov_b32 s2, -1
                                        ; implicit-def: $vgpr17
	s_branch .LBB167_1896
.LBB167_1882:
	s_mov_b32 s12, -1
	s_mov_b32 s2, 0
                                        ; implicit-def: $vgpr17
	s_branch .LBB167_1938
.LBB167_1883:
	s_mov_b32 s2, -1
                                        ; implicit-def: $vgpr17
	s_branch .LBB167_1893
.LBB167_1884:
	s_cbranch_execnz .LBB167_1929
; %bb.1885:
	s_or_b32 s10, s10, exec_lo
                                        ; implicit-def: $vgpr5
	s_cbranch_execz .LBB167_1862
	s_branch .LBB167_1863
.LBB167_1886:
	s_or_saveexec_b32 s8, s8
                                        ; implicit-def: $sgpr9
	s_delay_alu instid0(SALU_CYCLE_1)
	s_xor_b32 exec_lo, exec_lo, s8
	s_cbranch_execz .LBB167_1489
.LBB167_1887:
	v_add_f32_e64 v4, 0x42800000, |v0|
	s_and_not1_b32 s7, s7, exec_lo
	s_mov_b32 s9, 0
	s_delay_alu instid0(VALU_DEP_1) | instskip(NEXT) | instid1(VALU_DEP_1)
	v_and_b32_e32 v4, 0xff, v4
	v_cmp_ne_u32_e32 vcc_lo, 0, v4
	s_and_b32 s10, vcc_lo, exec_lo
	s_delay_alu instid0(SALU_CYCLE_1)
	s_or_b32 s7, s7, s10
	s_or_b32 exec_lo, exec_lo, s8
	v_mov_b32_e32 v6, s9
	s_and_saveexec_b32 s8, s7
	s_cbranch_execnz .LBB167_1490
	s_branch .LBB167_1491
.LBB167_1888:
	s_mov_b32 s12, -1
	s_mov_b32 s2, 0
	s_branch .LBB167_1932
.LBB167_1889:
	s_mov_b32 s2, -1
                                        ; implicit-def: $vgpr17
.LBB167_1890:
	s_delay_alu instid0(SALU_CYCLE_1)
	s_and_not1_b32 vcc_lo, exec_lo, s2
	s_cbranch_vccnz .LBB167_1892
; %bb.1891:
	global_load_b32 v6, v[12:13], off
	s_waitcnt vmcnt(0)
	v_cvt_f16_f32_e32 v17, v6
.LBB167_1892:
	s_mov_b32 s2, 0
.LBB167_1893:
	s_delay_alu instid0(SALU_CYCLE_1)
	s_and_not1_b32 vcc_lo, exec_lo, s2
	s_cbranch_vccnz .LBB167_1895
; %bb.1894:
	global_load_b32 v17, v[12:13], off
.LBB167_1895:
	s_mov_b32 s2, 0
.LBB167_1896:
	s_delay_alu instid0(SALU_CYCLE_1)
	s_and_not1_b32 vcc_lo, exec_lo, s2
	s_cbranch_vccnz .LBB167_1907
; %bb.1897:
	v_cmp_gt_i16_e32 vcc_lo, 6, v16
	s_cbranch_vccnz .LBB167_1900
; %bb.1898:
	v_cmp_lt_i16_e32 vcc_lo, 6, v16
	s_cbranch_vccz .LBB167_1901
; %bb.1899:
	global_load_b64 v[17:18], v[12:13], off
	s_mov_b32 s2, 0
	s_waitcnt vmcnt(0)
	v_cvt_f32_f64_e32 v6, v[17:18]
	s_delay_alu instid0(VALU_DEP_1)
	v_cvt_f16_f32_e32 v17, v6
	s_branch .LBB167_1902
.LBB167_1900:
	s_mov_b32 s2, -1
                                        ; implicit-def: $vgpr17
	s_branch .LBB167_1905
.LBB167_1901:
	s_mov_b32 s2, -1
                                        ; implicit-def: $vgpr17
.LBB167_1902:
	s_delay_alu instid0(SALU_CYCLE_1)
	s_and_not1_b32 vcc_lo, exec_lo, s2
	s_cbranch_vccnz .LBB167_1904
; %bb.1903:
	global_load_b32 v6, v[12:13], off
	s_waitcnt vmcnt(0)
	v_cvt_f16_f32_e32 v17, v6
.LBB167_1904:
	s_mov_b32 s2, 0
.LBB167_1905:
	s_delay_alu instid0(SALU_CYCLE_1)
	s_and_not1_b32 vcc_lo, exec_lo, s2
	s_cbranch_vccnz .LBB167_1907
; %bb.1906:
	global_load_u16 v17, v[12:13], off
.LBB167_1907:
	s_mov_b32 s2, 0
.LBB167_1908:
	s_delay_alu instid0(SALU_CYCLE_1)
	s_and_not1_b32 vcc_lo, exec_lo, s2
	s_cbranch_vccnz .LBB167_1928
; %bb.1909:
	v_cmp_gt_i16_e32 vcc_lo, 2, v16
	s_cbranch_vccnz .LBB167_1913
; %bb.1910:
	v_cmp_gt_i16_e32 vcc_lo, 3, v16
	s_cbranch_vccnz .LBB167_1914
; %bb.1911:
	v_cmp_lt_i16_e32 vcc_lo, 3, v16
	s_cbranch_vccz .LBB167_1915
; %bb.1912:
	global_load_b64 v[17:18], v[12:13], off
	s_mov_b32 s2, 0
	s_waitcnt vmcnt(0)
	v_xor_b32_e32 v6, v17, v18
	v_cls_i32_e32 v9, v18
	s_delay_alu instid0(VALU_DEP_2) | instskip(NEXT) | instid1(VALU_DEP_2)
	v_ashrrev_i32_e32 v6, 31, v6
	v_add_nc_u32_e32 v9, -1, v9
	s_delay_alu instid0(VALU_DEP_2) | instskip(NEXT) | instid1(VALU_DEP_1)
	v_add_nc_u32_e32 v6, 32, v6
	v_min_u32_e32 v6, v9, v6
	s_delay_alu instid0(VALU_DEP_1) | instskip(SKIP_1) | instid1(VALU_DEP_2)
	v_lshlrev_b64 v[17:18], v6, v[17:18]
	v_sub_nc_u32_e32 v6, 32, v6
	v_min_u32_e32 v9, 1, v17
	s_delay_alu instid0(VALU_DEP_1) | instskip(NEXT) | instid1(VALU_DEP_1)
	v_or_b32_e32 v9, v18, v9
	v_cvt_f32_i32_e32 v9, v9
	s_delay_alu instid0(VALU_DEP_1) | instskip(NEXT) | instid1(VALU_DEP_1)
	v_ldexp_f32 v6, v9, v6
	v_cvt_f16_f32_e32 v17, v6
	s_branch .LBB167_1916
.LBB167_1913:
	s_mov_b32 s2, -1
                                        ; implicit-def: $vgpr17
	s_branch .LBB167_1922
.LBB167_1914:
	s_mov_b32 s2, -1
                                        ; implicit-def: $vgpr17
	s_branch .LBB167_1919
.LBB167_1915:
	s_mov_b32 s2, -1
                                        ; implicit-def: $vgpr17
.LBB167_1916:
	s_delay_alu instid0(SALU_CYCLE_1)
	s_and_not1_b32 vcc_lo, exec_lo, s2
	s_cbranch_vccnz .LBB167_1918
; %bb.1917:
	global_load_b32 v6, v[12:13], off
	s_waitcnt vmcnt(0)
	v_cvt_f32_i32_e32 v6, v6
	s_delay_alu instid0(VALU_DEP_1)
	v_cvt_f16_f32_e32 v17, v6
.LBB167_1918:
	s_mov_b32 s2, 0
.LBB167_1919:
	s_delay_alu instid0(SALU_CYCLE_1)
	s_and_not1_b32 vcc_lo, exec_lo, s2
	s_cbranch_vccnz .LBB167_1921
; %bb.1920:
	global_load_u16 v6, v[12:13], off
	s_waitcnt vmcnt(0)
	v_cvt_f16_i16_e32 v17, v6
.LBB167_1921:
	s_mov_b32 s2, 0
.LBB167_1922:
	s_delay_alu instid0(SALU_CYCLE_1)
	s_and_not1_b32 vcc_lo, exec_lo, s2
	s_cbranch_vccnz .LBB167_1928
; %bb.1923:
	v_cmp_lt_i16_e32 vcc_lo, 0, v16
	s_mov_b32 s2, 0
	s_cbranch_vccz .LBB167_1925
; %bb.1924:
	global_load_i8 v6, v[12:13], off
	s_waitcnt vmcnt(0)
	v_cvt_f16_i16_e32 v17, v6
	s_branch .LBB167_1926
.LBB167_1925:
	s_mov_b32 s2, -1
                                        ; implicit-def: $vgpr17
.LBB167_1926:
	s_delay_alu instid0(SALU_CYCLE_1)
	s_and_not1_b32 vcc_lo, exec_lo, s2
	s_cbranch_vccnz .LBB167_1928
; %bb.1927:
	global_load_u8 v6, v[12:13], off
	s_waitcnt vmcnt(0)
	v_cvt_f16_u16_e32 v17, v6
.LBB167_1928:
	s_branch .LBB167_2000
.LBB167_1929:
	s_trap 2
	s_sendmsg_rtn_b32 s0, sendmsg(MSG_RTN_GET_DOORBELL)
	s_mov_b32 ttmp2, m0
	s_waitcnt lgkmcnt(0)
	s_and_b32 s0, s0, 0x3ff
	s_delay_alu instid0(SALU_CYCLE_1) | instskip(NEXT) | instid1(SALU_CYCLE_1)
	s_bitset1_b32 s0, 10
	s_mov_b32 m0, s0
	s_sendmsg sendmsg(MSG_INTERRUPT)
	s_mov_b32 m0, ttmp2
.LBB167_1930:                           ; =>This Inner Loop Header: Depth=1
	s_sethalt 5
	s_branch .LBB167_1930
.LBB167_1931:
	s_mov_b32 s2, -1
.LBB167_1932:
                                        ; implicit-def: $vgpr17
.LBB167_1933:
	s_and_b32 vcc_lo, exec_lo, s12
	s_cbranch_vccz .LBB167_1937
; %bb.1934:
	v_cmp_eq_u16_e32 vcc_lo, 44, v16
	s_cbranch_vccz .LBB167_1936
; %bb.1935:
	global_load_u8 v6, v[12:13], off
	s_mov_b32 s2, 0
	s_mov_b32 s11, -1
	s_waitcnt vmcnt(0)
	v_lshlrev_b32_e32 v9, 23, v6
	v_cmp_ne_u32_e32 vcc_lo, 0xff, v6
	s_delay_alu instid0(VALU_DEP_2) | instskip(NEXT) | instid1(VALU_DEP_1)
	v_cvt_f16_f32_e32 v9, v9
	v_cndmask_b32_e32 v9, 0x7e00, v9, vcc_lo
	v_cmp_ne_u32_e32 vcc_lo, 0, v6
	s_delay_alu instid0(VALU_DEP_2)
	v_cndmask_b32_e32 v17, 0, v9, vcc_lo
	s_branch .LBB167_1937
.LBB167_1936:
	s_mov_b32 s2, -1
                                        ; implicit-def: $vgpr17
.LBB167_1937:
	s_mov_b32 s12, 0
.LBB167_1938:
	s_delay_alu instid0(SALU_CYCLE_1)
	s_and_b32 vcc_lo, exec_lo, s12
	s_cbranch_vccz .LBB167_1942
; %bb.1939:
	v_cmp_eq_u16_e32 vcc_lo, 29, v16
	s_cbranch_vccz .LBB167_1941
; %bb.1940:
	global_load_b64 v[17:18], v[12:13], off
	s_mov_b32 s2, 0
	s_mov_b32 s11, -1
	s_mov_b32 s12, 0
	s_waitcnt vmcnt(0)
	v_clz_i32_u32_e32 v6, v18
	s_delay_alu instid0(VALU_DEP_1) | instskip(NEXT) | instid1(VALU_DEP_1)
	v_min_u32_e32 v6, 32, v6
	v_lshlrev_b64 v[17:18], v6, v[17:18]
	v_sub_nc_u32_e32 v6, 32, v6
	s_delay_alu instid0(VALU_DEP_2) | instskip(NEXT) | instid1(VALU_DEP_1)
	v_min_u32_e32 v9, 1, v17
	v_or_b32_e32 v9, v18, v9
	s_delay_alu instid0(VALU_DEP_1) | instskip(NEXT) | instid1(VALU_DEP_1)
	v_cvt_f32_u32_e32 v9, v9
	v_ldexp_f32 v6, v9, v6
	s_delay_alu instid0(VALU_DEP_1)
	v_cvt_f16_f32_e32 v17, v6
	s_branch .LBB167_1943
.LBB167_1941:
	s_mov_b32 s2, -1
                                        ; implicit-def: $vgpr17
.LBB167_1942:
	s_mov_b32 s12, 0
.LBB167_1943:
	s_delay_alu instid0(SALU_CYCLE_1)
	s_and_b32 vcc_lo, exec_lo, s12
	s_cbranch_vccz .LBB167_1961
; %bb.1944:
	v_cmp_gt_i16_e32 vcc_lo, 27, v16
	s_cbranch_vccnz .LBB167_1947
; %bb.1945:
	v_cmp_lt_i16_e32 vcc_lo, 27, v16
	s_cbranch_vccz .LBB167_1948
; %bb.1946:
	global_load_b32 v6, v[12:13], off
	s_mov_b32 s11, 0
	s_waitcnt vmcnt(0)
	v_cvt_f32_u32_e32 v6, v6
	s_delay_alu instid0(VALU_DEP_1)
	v_cvt_f16_f32_e32 v17, v6
	s_branch .LBB167_1949
.LBB167_1947:
	s_mov_b32 s11, -1
                                        ; implicit-def: $vgpr17
	s_branch .LBB167_1952
.LBB167_1948:
	s_mov_b32 s11, -1
                                        ; implicit-def: $vgpr17
.LBB167_1949:
	s_delay_alu instid0(SALU_CYCLE_1)
	s_and_not1_b32 vcc_lo, exec_lo, s11
	s_cbranch_vccnz .LBB167_1951
; %bb.1950:
	global_load_u16 v6, v[12:13], off
	s_waitcnt vmcnt(0)
	v_cvt_f16_u16_e32 v17, v6
.LBB167_1951:
	s_mov_b32 s11, 0
.LBB167_1952:
	s_delay_alu instid0(SALU_CYCLE_1)
	s_and_not1_b32 vcc_lo, exec_lo, s11
	s_cbranch_vccnz .LBB167_1960
; %bb.1953:
	global_load_u8 v6, v[12:13], off
	s_mov_b32 s11, 0
	s_mov_b32 s13, exec_lo
                                        ; implicit-def: $sgpr12
	s_waitcnt vmcnt(0)
	v_cmpx_lt_i16_e32 0x7f, v6
	s_xor_b32 s13, exec_lo, s13
	s_cbranch_execz .LBB167_1974
; %bb.1954:
	s_mov_b32 s11, -1
	s_mov_b32 s14, exec_lo
                                        ; implicit-def: $sgpr12
	v_cmpx_eq_u16_e32 0x80, v6
; %bb.1955:
	s_movk_i32 s12, 0x7e00
	s_xor_b32 s11, exec_lo, -1
; %bb.1956:
	s_or_b32 exec_lo, exec_lo, s14
	s_delay_alu instid0(SALU_CYCLE_1)
	s_and_b32 s11, s11, exec_lo
	s_or_saveexec_b32 s13, s13
	v_mov_b32_e32 v17, s12
	s_xor_b32 exec_lo, exec_lo, s13
	s_cbranch_execnz .LBB167_1975
.LBB167_1957:
	s_or_b32 exec_lo, exec_lo, s13
	s_and_saveexec_b32 s12, s11
	s_cbranch_execz .LBB167_1959
.LBB167_1958:
	v_and_b32_e32 v9, 0xffff, v6
	s_delay_alu instid0(VALU_DEP_1) | instskip(NEXT) | instid1(VALU_DEP_1)
	v_and_b32_e32 v17, 7, v9
	v_clz_i32_u32_e32 v18, v17
	s_delay_alu instid0(VALU_DEP_1) | instskip(NEXT) | instid1(VALU_DEP_1)
	v_min_u32_e32 v18, 32, v18
	v_subrev_nc_u32_e32 v19, 28, v18
	v_sub_nc_u32_e32 v18, 29, v18
	s_delay_alu instid0(VALU_DEP_2) | instskip(SKIP_1) | instid1(VALU_DEP_2)
	v_lshlrev_b32_e32 v19, v19, v9
	v_bfe_u32 v9, v9, 3, 4
	v_and_b32_e32 v19, 7, v19
	s_delay_alu instid0(VALU_DEP_2) | instskip(NEXT) | instid1(VALU_DEP_2)
	v_cmp_eq_u32_e32 vcc_lo, 0, v9
	v_dual_cndmask_b32 v17, v17, v19 :: v_dual_lshlrev_b32 v6, 24, v6
	v_cndmask_b32_e32 v9, v9, v18, vcc_lo
	s_delay_alu instid0(VALU_DEP_2) | instskip(NEXT) | instid1(VALU_DEP_3)
	v_and_b32_e32 v6, 0x80000000, v6
	v_lshlrev_b32_e32 v17, 20, v17
	s_delay_alu instid0(VALU_DEP_3) | instskip(NEXT) | instid1(VALU_DEP_1)
	v_lshl_add_u32 v9, v9, 23, 0x3b800000
	v_or3_b32 v6, v6, v9, v17
	s_delay_alu instid0(VALU_DEP_1)
	v_cvt_f16_f32_e32 v17, v6
.LBB167_1959:
	s_or_b32 exec_lo, exec_lo, s12
.LBB167_1960:
	s_mov_b32 s11, -1
.LBB167_1961:
	s_mov_b32 s12, 0
.LBB167_1962:
	s_delay_alu instid0(SALU_CYCLE_1)
	s_and_b32 vcc_lo, exec_lo, s12
	s_cbranch_vccz .LBB167_1995
; %bb.1963:
	v_cmp_lt_i16_e32 vcc_lo, 22, v16
	s_cbranch_vccz .LBB167_1973
; %bb.1964:
	v_cmp_gt_i16_e32 vcc_lo, 24, v16
	s_cbranch_vccnz .LBB167_1976
; %bb.1965:
	v_cmp_lt_i16_e32 vcc_lo, 24, v16
	s_cbranch_vccz .LBB167_1977
; %bb.1966:
	global_load_u8 v6, v[12:13], off
	s_mov_b32 s12, exec_lo
                                        ; implicit-def: $sgpr11
	s_waitcnt vmcnt(0)
	v_cmpx_lt_i16_e32 0x7f, v6
	s_xor_b32 s12, exec_lo, s12
	s_cbranch_execz .LBB167_1989
; %bb.1967:
	s_mov_b32 s3, -1
	s_mov_b32 s13, exec_lo
                                        ; implicit-def: $sgpr11
	v_cmpx_eq_u16_e32 0x80, v6
; %bb.1968:
	s_movk_i32 s11, 0x7e00
	s_xor_b32 s3, exec_lo, -1
; %bb.1969:
	s_or_b32 exec_lo, exec_lo, s13
	s_delay_alu instid0(SALU_CYCLE_1)
	s_and_b32 s3, s3, exec_lo
	s_or_saveexec_b32 s12, s12
	v_mov_b32_e32 v17, s11
	s_xor_b32 exec_lo, exec_lo, s12
	s_cbranch_execnz .LBB167_1990
.LBB167_1970:
	s_or_b32 exec_lo, exec_lo, s12
	s_and_saveexec_b32 s11, s3
	s_cbranch_execz .LBB167_1972
.LBB167_1971:
	v_and_b32_e32 v9, 0xffff, v6
	s_delay_alu instid0(VALU_DEP_1) | instskip(NEXT) | instid1(VALU_DEP_1)
	v_and_b32_e32 v17, 3, v9
	v_clz_i32_u32_e32 v18, v17
	s_delay_alu instid0(VALU_DEP_1) | instskip(NEXT) | instid1(VALU_DEP_1)
	v_min_u32_e32 v18, 32, v18
	v_subrev_nc_u32_e32 v19, 29, v18
	v_sub_nc_u32_e32 v18, 30, v18
	s_delay_alu instid0(VALU_DEP_2) | instskip(SKIP_1) | instid1(VALU_DEP_2)
	v_lshlrev_b32_e32 v19, v19, v9
	v_bfe_u32 v9, v9, 2, 5
	v_and_b32_e32 v19, 3, v19
	s_delay_alu instid0(VALU_DEP_2) | instskip(NEXT) | instid1(VALU_DEP_2)
	v_cmp_eq_u32_e32 vcc_lo, 0, v9
	v_dual_cndmask_b32 v17, v17, v19 :: v_dual_lshlrev_b32 v6, 24, v6
	v_cndmask_b32_e32 v9, v9, v18, vcc_lo
	s_delay_alu instid0(VALU_DEP_2) | instskip(NEXT) | instid1(VALU_DEP_3)
	v_and_b32_e32 v6, 0x80000000, v6
	v_lshlrev_b32_e32 v17, 21, v17
	s_delay_alu instid0(VALU_DEP_3) | instskip(NEXT) | instid1(VALU_DEP_1)
	v_lshl_add_u32 v9, v9, 23, 0x37800000
	v_or3_b32 v6, v6, v9, v17
	s_delay_alu instid0(VALU_DEP_1)
	v_cvt_f16_f32_e32 v17, v6
.LBB167_1972:
	s_or_b32 exec_lo, exec_lo, s11
	s_mov_b32 s3, 0
	s_branch .LBB167_1978
.LBB167_1973:
	s_mov_b32 s3, -1
                                        ; implicit-def: $vgpr17
	s_branch .LBB167_1984
.LBB167_1974:
	s_or_saveexec_b32 s13, s13
	v_mov_b32_e32 v17, s12
	s_xor_b32 exec_lo, exec_lo, s13
	s_cbranch_execz .LBB167_1957
.LBB167_1975:
	v_cmp_ne_u16_e32 vcc_lo, 0, v6
	v_mov_b32_e32 v17, v6
	s_and_not1_b32 s11, s11, exec_lo
	s_and_b32 s12, vcc_lo, exec_lo
	s_delay_alu instid0(SALU_CYCLE_1)
	s_or_b32 s11, s11, s12
	s_or_b32 exec_lo, exec_lo, s13
	s_and_saveexec_b32 s12, s11
	s_cbranch_execnz .LBB167_1958
	s_branch .LBB167_1959
.LBB167_1976:
	s_mov_b32 s3, -1
                                        ; implicit-def: $vgpr17
	s_branch .LBB167_1981
.LBB167_1977:
	s_mov_b32 s3, -1
                                        ; implicit-def: $vgpr17
.LBB167_1978:
	s_delay_alu instid0(SALU_CYCLE_1)
	s_and_b32 vcc_lo, exec_lo, s3
	s_cbranch_vccz .LBB167_1980
; %bb.1979:
	global_load_u8 v6, v[12:13], off
	s_waitcnt vmcnt(0)
	v_lshlrev_b32_e32 v6, 24, v6
	s_delay_alu instid0(VALU_DEP_1) | instskip(NEXT) | instid1(VALU_DEP_1)
	v_and_b32_e32 v9, 0x7f000000, v6
	v_clz_i32_u32_e32 v17, v9
	v_add_nc_u32_e32 v19, 0x1000000, v9
	v_cmp_ne_u32_e32 vcc_lo, 0, v9
	s_delay_alu instid0(VALU_DEP_3) | instskip(NEXT) | instid1(VALU_DEP_1)
	v_min_u32_e32 v17, 32, v17
	v_sub_nc_u32_e64 v17, v17, 4 clamp
	s_delay_alu instid0(VALU_DEP_1) | instskip(SKIP_1) | instid1(VALU_DEP_2)
	v_lshlrev_b32_e32 v18, v17, v9
	v_lshlrev_b32_e32 v17, 23, v17
	v_lshrrev_b32_e32 v18, 4, v18
	s_delay_alu instid0(VALU_DEP_1) | instskip(SKIP_1) | instid1(VALU_DEP_2)
	v_sub_nc_u32_e32 v17, v18, v17
	v_ashrrev_i32_e32 v18, 8, v19
	v_add_nc_u32_e32 v17, 0x3c000000, v17
	s_delay_alu instid0(VALU_DEP_1) | instskip(NEXT) | instid1(VALU_DEP_1)
	v_and_or_b32 v17, 0x7f800000, v18, v17
	v_cndmask_b32_e32 v9, 0, v17, vcc_lo
	s_delay_alu instid0(VALU_DEP_1) | instskip(NEXT) | instid1(VALU_DEP_1)
	v_and_or_b32 v6, 0x80000000, v6, v9
	v_cvt_f16_f32_e32 v17, v6
.LBB167_1980:
	s_mov_b32 s3, 0
.LBB167_1981:
	s_delay_alu instid0(SALU_CYCLE_1)
	s_and_not1_b32 vcc_lo, exec_lo, s3
	s_cbranch_vccnz .LBB167_1983
; %bb.1982:
	global_load_u8 v6, v[12:13], off
	s_waitcnt vmcnt(0)
	v_lshlrev_b32_e32 v9, 25, v6
	v_lshlrev_b16 v6, 8, v6
	s_delay_alu instid0(VALU_DEP_2) | instskip(NEXT) | instid1(VALU_DEP_2)
	v_lshrrev_b32_e32 v17, 4, v9
	v_and_or_b32 v18, 0x7f00, v6, 0.5
	v_cmp_gt_u32_e32 vcc_lo, 0x8000000, v9
	v_bfe_i32 v6, v6, 0, 16
	s_delay_alu instid0(VALU_DEP_4) | instskip(NEXT) | instid1(VALU_DEP_1)
	v_or_b32_e32 v17, 0x70000000, v17
	v_dual_add_f32 v18, -0.5, v18 :: v_dual_mul_f32 v17, 0x7800000, v17
	s_delay_alu instid0(VALU_DEP_1) | instskip(NEXT) | instid1(VALU_DEP_1)
	v_cndmask_b32_e32 v9, v17, v18, vcc_lo
	v_and_or_b32 v6, 0x80000000, v6, v9
	s_delay_alu instid0(VALU_DEP_1)
	v_cvt_f16_f32_e32 v17, v6
.LBB167_1983:
	s_mov_b32 s3, 0
	s_mov_b32 s11, -1
.LBB167_1984:
	s_and_not1_b32 vcc_lo, exec_lo, s3
	s_mov_b32 s3, 0
	s_cbranch_vccnz .LBB167_1995
; %bb.1985:
	v_cmp_lt_i16_e32 vcc_lo, 14, v16
	s_cbranch_vccz .LBB167_1988
; %bb.1986:
	v_cmp_eq_u16_e32 vcc_lo, 15, v16
	s_cbranch_vccz .LBB167_1991
; %bb.1987:
	global_load_u16 v6, v[12:13], off
	s_mov_b32 s2, 0
	s_mov_b32 s11, -1
	s_waitcnt vmcnt(0)
	v_lshlrev_b32_e32 v6, 16, v6
	s_delay_alu instid0(VALU_DEP_1)
	v_cvt_f16_f32_e32 v17, v6
	s_branch .LBB167_1993
.LBB167_1988:
	s_mov_b32 s3, -1
	s_branch .LBB167_1992
.LBB167_1989:
	s_or_saveexec_b32 s12, s12
	v_mov_b32_e32 v17, s11
	s_xor_b32 exec_lo, exec_lo, s12
	s_cbranch_execz .LBB167_1970
.LBB167_1990:
	v_cmp_ne_u16_e32 vcc_lo, 0, v6
	v_mov_b32_e32 v17, v6
	s_and_not1_b32 s3, s3, exec_lo
	s_and_b32 s11, vcc_lo, exec_lo
	s_delay_alu instid0(SALU_CYCLE_1)
	s_or_b32 s3, s3, s11
	s_or_b32 exec_lo, exec_lo, s12
	s_and_saveexec_b32 s11, s3
	s_cbranch_execnz .LBB167_1971
	s_branch .LBB167_1972
.LBB167_1991:
	s_mov_b32 s2, -1
.LBB167_1992:
                                        ; implicit-def: $vgpr17
.LBB167_1993:
	s_and_b32 vcc_lo, exec_lo, s3
	s_mov_b32 s3, 0
	s_cbranch_vccz .LBB167_1995
; %bb.1994:
	v_cmp_ne_u16_e64 s2, 11, v16
	s_mov_b32 s3, -1
                                        ; implicit-def: $vgpr17
.LBB167_1995:
	s_delay_alu instid0(VALU_DEP_1)
	s_and_b32 vcc_lo, exec_lo, s2
	s_cbranch_vccnz .LBB167_2011
; %bb.1996:
	s_and_not1_b32 vcc_lo, exec_lo, s3
	s_cbranch_vccnz .LBB167_1998
.LBB167_1997:
	global_load_u8 v6, v[12:13], off
	s_mov_b32 s11, -1
	s_waitcnt vmcnt(0)
	v_cmp_ne_u16_e32 vcc_lo, 0, v6
	v_cndmask_b32_e64 v17, 0, 0x3c00, vcc_lo
.LBB167_1998:
.LBB167_1999:
	s_and_not1_b32 vcc_lo, exec_lo, s11
	s_cbranch_vccnz .LBB167_3049
.LBB167_2000:
	v_cmp_gt_i16_e32 vcc_lo, 11, v15
	v_add_co_u32 v12, s2, s0, v8
	s_delay_alu instid0(VALU_DEP_1)
	v_add_co_ci_u32_e64 v13, null, s1, 0, s2
	s_mov_b32 s11, 0
	s_cbranch_vccnz .LBB167_2007
; %bb.2001:
	v_cmp_lt_i16_e32 vcc_lo, 25, v15
	s_mov_b32 s3, 0
	s_cbranch_vccz .LBB167_2008
; %bb.2002:
	v_cmp_lt_i16_e32 vcc_lo, 28, v15
	s_cbranch_vccz .LBB167_2009
; %bb.2003:
	v_cmp_lt_i16_e32 vcc_lo, 43, v15
	;; [unrolled: 3-line block ×3, first 2 shown]
	s_cbranch_vccz .LBB167_2013
; %bb.2005:
	v_cmp_eq_u16_e32 vcc_lo, 46, v15
	s_mov_b32 s12, 0
	s_cbranch_vccz .LBB167_2016
; %bb.2006:
	global_load_b32 v6, v[12:13], off
	s_mov_b32 s2, 0
	s_mov_b32 s11, -1
	s_waitcnt vmcnt(0)
	v_lshlrev_b32_e32 v6, 16, v6
	s_delay_alu instid0(VALU_DEP_1) | instskip(NEXT) | instid1(VALU_DEP_1)
	v_trunc_f32_e32 v6, v6
	v_mul_f32_e64 v8, 0x2f800000, |v6|
	s_delay_alu instid0(VALU_DEP_1) | instskip(NEXT) | instid1(VALU_DEP_1)
	v_floor_f32_e32 v8, v8
	v_fma_f32 v8, 0xcf800000, v8, |v6|
	v_ashrrev_i32_e32 v6, 31, v6
	s_delay_alu instid0(VALU_DEP_2) | instskip(NEXT) | instid1(VALU_DEP_1)
	v_cvt_u32_f32_e32 v8, v8
	v_xor_b32_e32 v8, v8, v6
	s_delay_alu instid0(VALU_DEP_1)
	v_sub_nc_u32_e32 v8, v8, v6
	s_branch .LBB167_2018
.LBB167_2007:
	s_mov_b32 s2, -1
                                        ; implicit-def: $vgpr8
	s_branch .LBB167_2080
.LBB167_2008:
	s_mov_b32 s12, -1
	s_mov_b32 s2, 0
                                        ; implicit-def: $vgpr8
	s_branch .LBB167_2045
.LBB167_2009:
	s_mov_b32 s12, -1
	s_mov_b32 s2, 0
                                        ; implicit-def: $vgpr8
	s_branch .LBB167_2028
.LBB167_2010:
	s_mov_b32 s12, -1
	s_mov_b32 s2, 0
                                        ; implicit-def: $vgpr8
	s_branch .LBB167_2023
.LBB167_2011:
	s_cbranch_execnz .LBB167_2014
; %bb.2012:
	s_or_b32 s10, s10, exec_lo
                                        ; implicit-def: $vgpr17
	s_cbranch_execz .LBB167_1997
	s_branch .LBB167_1998
.LBB167_2013:
	s_mov_b32 s12, -1
	s_mov_b32 s2, 0
	s_branch .LBB167_2017
.LBB167_2014:
	s_trap 2
	s_sendmsg_rtn_b32 s0, sendmsg(MSG_RTN_GET_DOORBELL)
	s_mov_b32 ttmp2, m0
	s_waitcnt lgkmcnt(0)
	s_and_b32 s0, s0, 0x3ff
	s_delay_alu instid0(SALU_CYCLE_1) | instskip(NEXT) | instid1(SALU_CYCLE_1)
	s_bitset1_b32 s0, 10
	s_mov_b32 m0, s0
	s_sendmsg sendmsg(MSG_INTERRUPT)
	s_mov_b32 m0, ttmp2
.LBB167_2015:                           ; =>This Inner Loop Header: Depth=1
	s_sethalt 5
	s_branch .LBB167_2015
.LBB167_2016:
	s_mov_b32 s2, -1
.LBB167_2017:
                                        ; implicit-def: $vgpr8
.LBB167_2018:
	s_and_b32 vcc_lo, exec_lo, s12
	s_cbranch_vccz .LBB167_2022
; %bb.2019:
	v_cmp_eq_u16_e32 vcc_lo, 44, v15
	s_cbranch_vccz .LBB167_2021
; %bb.2020:
	global_load_u8 v6, v[12:13], off
	s_mov_b32 s2, 0
	s_mov_b32 s11, -1
	s_waitcnt vmcnt(0)
	v_lshlrev_b32_e32 v8, 23, v6
	v_cmp_ne_u32_e32 vcc_lo, 0, v6
	s_delay_alu instid0(VALU_DEP_2) | instskip(NEXT) | instid1(VALU_DEP_1)
	v_trunc_f32_e32 v8, v8
	v_mul_f32_e64 v9, 0x2f800000, |v8|
	s_delay_alu instid0(VALU_DEP_1) | instskip(NEXT) | instid1(VALU_DEP_1)
	v_floor_f32_e32 v9, v9
	v_fma_f32 v9, 0xcf800000, v9, |v8|
	v_ashrrev_i32_e32 v8, 31, v8
	s_delay_alu instid0(VALU_DEP_2) | instskip(NEXT) | instid1(VALU_DEP_1)
	v_cvt_u32_f32_e32 v9, v9
	v_xor_b32_e32 v9, v9, v8
	s_delay_alu instid0(VALU_DEP_1) | instskip(NEXT) | instid1(VALU_DEP_1)
	v_sub_nc_u32_e32 v8, v9, v8
	v_cndmask_b32_e32 v8, 0, v8, vcc_lo
	s_branch .LBB167_2022
.LBB167_2021:
	s_mov_b32 s2, -1
                                        ; implicit-def: $vgpr8
.LBB167_2022:
	s_mov_b32 s12, 0
.LBB167_2023:
	s_delay_alu instid0(SALU_CYCLE_1)
	s_and_b32 vcc_lo, exec_lo, s12
	s_cbranch_vccz .LBB167_2027
; %bb.2024:
	v_cmp_eq_u16_e32 vcc_lo, 29, v15
	s_cbranch_vccz .LBB167_2026
; %bb.2025:
	global_load_b64 v[8:9], v[12:13], off
	s_mov_b32 s2, 0
	s_mov_b32 s11, -1
	s_branch .LBB167_2027
.LBB167_2026:
	s_mov_b32 s2, -1
                                        ; implicit-def: $vgpr8
.LBB167_2027:
	s_mov_b32 s12, 0
.LBB167_2028:
	s_delay_alu instid0(SALU_CYCLE_1)
	s_and_b32 vcc_lo, exec_lo, s12
	s_cbranch_vccz .LBB167_2044
; %bb.2029:
	v_cmp_gt_i16_e32 vcc_lo, 27, v15
	s_cbranch_vccnz .LBB167_2032
; %bb.2030:
	v_cmp_lt_i16_e32 vcc_lo, 27, v15
	s_cbranch_vccz .LBB167_2033
; %bb.2031:
	global_load_b32 v8, v[12:13], off
	s_mov_b32 s11, 0
	s_branch .LBB167_2034
.LBB167_2032:
	s_mov_b32 s11, -1
                                        ; implicit-def: $vgpr8
	s_branch .LBB167_2037
.LBB167_2033:
	s_mov_b32 s11, -1
                                        ; implicit-def: $vgpr8
.LBB167_2034:
	s_delay_alu instid0(SALU_CYCLE_1)
	s_and_not1_b32 vcc_lo, exec_lo, s11
	s_cbranch_vccnz .LBB167_2036
; %bb.2035:
	global_load_u16 v8, v[12:13], off
.LBB167_2036:
	s_mov_b32 s11, 0
.LBB167_2037:
	s_delay_alu instid0(SALU_CYCLE_1)
	s_and_not1_b32 vcc_lo, exec_lo, s11
	s_cbranch_vccnz .LBB167_2043
; %bb.2038:
	global_load_u8 v6, v[12:13], off
	s_mov_b32 s12, 0
	s_mov_b32 s11, exec_lo
                                        ; implicit-def: $sgpr13
	s_waitcnt vmcnt(0)
	v_cmpx_lt_i16_e32 0x7f, v6
	s_xor_b32 s11, exec_lo, s11
	s_cbranch_execz .LBB167_2055
; %bb.2039:
	v_cmp_ne_u16_e32 vcc_lo, 0x80, v6
	s_mov_b32 s13, 0
	s_and_b32 s12, vcc_lo, exec_lo
	s_or_saveexec_b32 s11, s11
	v_mov_b32_e32 v8, s13
	s_xor_b32 exec_lo, exec_lo, s11
	s_cbranch_execnz .LBB167_2056
.LBB167_2040:
	s_or_b32 exec_lo, exec_lo, s11
	s_and_saveexec_b32 s11, s12
	s_cbranch_execz .LBB167_2042
.LBB167_2041:
	v_and_b32_e32 v8, 0xffff, v6
	v_lshlrev_b32_e32 v6, 24, v6
	s_delay_alu instid0(VALU_DEP_2) | instskip(NEXT) | instid1(VALU_DEP_2)
	v_and_b32_e32 v9, 7, v8
	v_and_b32_e32 v6, 0x80000000, v6
	s_delay_alu instid0(VALU_DEP_2) | instskip(NEXT) | instid1(VALU_DEP_1)
	v_clz_i32_u32_e32 v18, v9
	v_min_u32_e32 v18, 32, v18
	s_delay_alu instid0(VALU_DEP_1) | instskip(SKIP_1) | instid1(VALU_DEP_2)
	v_subrev_nc_u32_e32 v19, 28, v18
	v_sub_nc_u32_e32 v18, 29, v18
	v_lshlrev_b32_e32 v19, v19, v8
	v_bfe_u32 v8, v8, 3, 4
	s_delay_alu instid0(VALU_DEP_2) | instskip(NEXT) | instid1(VALU_DEP_2)
	v_and_b32_e32 v19, 7, v19
	v_cmp_eq_u32_e32 vcc_lo, 0, v8
	s_delay_alu instid0(VALU_DEP_2) | instskip(NEXT) | instid1(VALU_DEP_1)
	v_dual_cndmask_b32 v8, v8, v18 :: v_dual_cndmask_b32 v9, v9, v19
	v_lshl_add_u32 v8, v8, 23, 0x3b800000
	s_delay_alu instid0(VALU_DEP_2) | instskip(NEXT) | instid1(VALU_DEP_1)
	v_lshlrev_b32_e32 v9, 20, v9
	v_or3_b32 v6, v6, v8, v9
	s_delay_alu instid0(VALU_DEP_1) | instskip(NEXT) | instid1(VALU_DEP_1)
	v_trunc_f32_e32 v6, v6
	v_mul_f32_e64 v8, 0x2f800000, |v6|
	s_delay_alu instid0(VALU_DEP_1) | instskip(NEXT) | instid1(VALU_DEP_1)
	v_floor_f32_e32 v8, v8
	v_fma_f32 v8, 0xcf800000, v8, |v6|
	v_ashrrev_i32_e32 v6, 31, v6
	s_delay_alu instid0(VALU_DEP_2) | instskip(NEXT) | instid1(VALU_DEP_1)
	v_cvt_u32_f32_e32 v8, v8
	v_xor_b32_e32 v8, v8, v6
	s_delay_alu instid0(VALU_DEP_1)
	v_sub_nc_u32_e32 v8, v8, v6
.LBB167_2042:
	s_or_b32 exec_lo, exec_lo, s11
.LBB167_2043:
	s_mov_b32 s11, -1
.LBB167_2044:
	s_mov_b32 s12, 0
.LBB167_2045:
	s_delay_alu instid0(SALU_CYCLE_1)
	s_and_b32 vcc_lo, exec_lo, s12
	s_cbranch_vccz .LBB167_2076
; %bb.2046:
	v_cmp_lt_i16_e32 vcc_lo, 22, v15
	s_cbranch_vccz .LBB167_2054
; %bb.2047:
	v_cmp_gt_i16_e32 vcc_lo, 24, v15
	s_cbranch_vccnz .LBB167_2057
; %bb.2048:
	v_cmp_lt_i16_e32 vcc_lo, 24, v15
	s_cbranch_vccz .LBB167_2058
; %bb.2049:
	global_load_u8 v6, v[12:13], off
	s_mov_b32 s11, 0
	s_mov_b32 s3, exec_lo
                                        ; implicit-def: $sgpr12
	s_waitcnt vmcnt(0)
	v_cmpx_lt_i16_e32 0x7f, v6
	s_xor_b32 s3, exec_lo, s3
	s_cbranch_execz .LBB167_2070
; %bb.2050:
	v_cmp_ne_u16_e32 vcc_lo, 0x80, v6
	s_mov_b32 s12, 0
	s_and_b32 s11, vcc_lo, exec_lo
	s_or_saveexec_b32 s3, s3
	v_mov_b32_e32 v8, s12
	s_xor_b32 exec_lo, exec_lo, s3
	s_cbranch_execnz .LBB167_2071
.LBB167_2051:
	s_or_b32 exec_lo, exec_lo, s3
	s_and_saveexec_b32 s3, s11
	s_cbranch_execz .LBB167_2053
.LBB167_2052:
	v_and_b32_e32 v8, 0xffff, v6
	v_lshlrev_b32_e32 v6, 24, v6
	s_delay_alu instid0(VALU_DEP_2) | instskip(NEXT) | instid1(VALU_DEP_2)
	v_and_b32_e32 v9, 3, v8
	v_and_b32_e32 v6, 0x80000000, v6
	s_delay_alu instid0(VALU_DEP_2) | instskip(NEXT) | instid1(VALU_DEP_1)
	v_clz_i32_u32_e32 v18, v9
	v_min_u32_e32 v18, 32, v18
	s_delay_alu instid0(VALU_DEP_1) | instskip(SKIP_1) | instid1(VALU_DEP_2)
	v_subrev_nc_u32_e32 v19, 29, v18
	v_sub_nc_u32_e32 v18, 30, v18
	v_lshlrev_b32_e32 v19, v19, v8
	v_bfe_u32 v8, v8, 2, 5
	s_delay_alu instid0(VALU_DEP_2) | instskip(NEXT) | instid1(VALU_DEP_2)
	v_and_b32_e32 v19, 3, v19
	v_cmp_eq_u32_e32 vcc_lo, 0, v8
	s_delay_alu instid0(VALU_DEP_2) | instskip(NEXT) | instid1(VALU_DEP_1)
	v_dual_cndmask_b32 v8, v8, v18 :: v_dual_cndmask_b32 v9, v9, v19
	v_lshl_add_u32 v8, v8, 23, 0x37800000
	s_delay_alu instid0(VALU_DEP_2) | instskip(NEXT) | instid1(VALU_DEP_1)
	v_lshlrev_b32_e32 v9, 21, v9
	v_or3_b32 v6, v6, v8, v9
	s_delay_alu instid0(VALU_DEP_1) | instskip(NEXT) | instid1(VALU_DEP_1)
	v_trunc_f32_e32 v6, v6
	v_mul_f32_e64 v8, 0x2f800000, |v6|
	s_delay_alu instid0(VALU_DEP_1) | instskip(NEXT) | instid1(VALU_DEP_1)
	v_floor_f32_e32 v8, v8
	v_fma_f32 v8, 0xcf800000, v8, |v6|
	v_ashrrev_i32_e32 v6, 31, v6
	s_delay_alu instid0(VALU_DEP_2) | instskip(NEXT) | instid1(VALU_DEP_1)
	v_cvt_u32_f32_e32 v8, v8
	v_xor_b32_e32 v8, v8, v6
	s_delay_alu instid0(VALU_DEP_1)
	v_sub_nc_u32_e32 v8, v8, v6
.LBB167_2053:
	s_or_b32 exec_lo, exec_lo, s3
	s_mov_b32 s3, 0
	s_branch .LBB167_2059
.LBB167_2054:
	s_mov_b32 s3, -1
                                        ; implicit-def: $vgpr8
	s_branch .LBB167_2065
.LBB167_2055:
	s_or_saveexec_b32 s11, s11
	v_mov_b32_e32 v8, s13
	s_xor_b32 exec_lo, exec_lo, s11
	s_cbranch_execz .LBB167_2040
.LBB167_2056:
	v_cmp_ne_u16_e32 vcc_lo, 0, v6
	v_mov_b32_e32 v8, 0
	s_and_not1_b32 s12, s12, exec_lo
	s_and_b32 s13, vcc_lo, exec_lo
	s_delay_alu instid0(SALU_CYCLE_1)
	s_or_b32 s12, s12, s13
	s_or_b32 exec_lo, exec_lo, s11
	s_and_saveexec_b32 s11, s12
	s_cbranch_execnz .LBB167_2041
	s_branch .LBB167_2042
.LBB167_2057:
	s_mov_b32 s3, -1
                                        ; implicit-def: $vgpr8
	s_branch .LBB167_2062
.LBB167_2058:
	s_mov_b32 s3, -1
                                        ; implicit-def: $vgpr8
.LBB167_2059:
	s_delay_alu instid0(SALU_CYCLE_1)
	s_and_b32 vcc_lo, exec_lo, s3
	s_cbranch_vccz .LBB167_2061
; %bb.2060:
	global_load_u8 v6, v[12:13], off
	s_waitcnt vmcnt(0)
	v_lshlrev_b32_e32 v6, 24, v6
	s_delay_alu instid0(VALU_DEP_1) | instskip(NEXT) | instid1(VALU_DEP_1)
	v_and_b32_e32 v8, 0x7f000000, v6
	v_clz_i32_u32_e32 v9, v8
	v_cmp_ne_u32_e32 vcc_lo, 0, v8
	v_add_nc_u32_e32 v19, 0x1000000, v8
	s_delay_alu instid0(VALU_DEP_3) | instskip(NEXT) | instid1(VALU_DEP_1)
	v_min_u32_e32 v9, 32, v9
	v_sub_nc_u32_e64 v9, v9, 4 clamp
	s_delay_alu instid0(VALU_DEP_1) | instskip(SKIP_1) | instid1(VALU_DEP_2)
	v_lshlrev_b32_e32 v18, v9, v8
	v_lshlrev_b32_e32 v9, 23, v9
	v_lshrrev_b32_e32 v18, 4, v18
	s_delay_alu instid0(VALU_DEP_1) | instskip(SKIP_1) | instid1(VALU_DEP_2)
	v_sub_nc_u32_e32 v9, v18, v9
	v_ashrrev_i32_e32 v18, 8, v19
	v_add_nc_u32_e32 v9, 0x3c000000, v9
	s_delay_alu instid0(VALU_DEP_1) | instskip(NEXT) | instid1(VALU_DEP_1)
	v_and_or_b32 v9, 0x7f800000, v18, v9
	v_cndmask_b32_e32 v8, 0, v9, vcc_lo
	s_delay_alu instid0(VALU_DEP_1) | instskip(NEXT) | instid1(VALU_DEP_1)
	v_and_or_b32 v6, 0x80000000, v6, v8
	v_trunc_f32_e32 v6, v6
	s_delay_alu instid0(VALU_DEP_1) | instskip(NEXT) | instid1(VALU_DEP_1)
	v_mul_f32_e64 v8, 0x2f800000, |v6|
	v_floor_f32_e32 v8, v8
	s_delay_alu instid0(VALU_DEP_1) | instskip(SKIP_1) | instid1(VALU_DEP_2)
	v_fma_f32 v8, 0xcf800000, v8, |v6|
	v_ashrrev_i32_e32 v6, 31, v6
	v_cvt_u32_f32_e32 v8, v8
	s_delay_alu instid0(VALU_DEP_1) | instskip(NEXT) | instid1(VALU_DEP_1)
	v_xor_b32_e32 v8, v8, v6
	v_sub_nc_u32_e32 v8, v8, v6
.LBB167_2061:
	s_mov_b32 s3, 0
.LBB167_2062:
	s_delay_alu instid0(SALU_CYCLE_1)
	s_and_not1_b32 vcc_lo, exec_lo, s3
	s_cbranch_vccnz .LBB167_2064
; %bb.2063:
	global_load_u8 v6, v[12:13], off
	s_waitcnt vmcnt(0)
	v_lshlrev_b32_e32 v8, 25, v6
	v_lshlrev_b16 v6, 8, v6
	s_delay_alu instid0(VALU_DEP_2) | instskip(NEXT) | instid1(VALU_DEP_2)
	v_lshrrev_b32_e32 v9, 4, v8
	v_and_or_b32 v18, 0x7f00, v6, 0.5
	v_bfe_i32 v6, v6, 0, 16
	s_delay_alu instid0(VALU_DEP_3) | instskip(NEXT) | instid1(VALU_DEP_1)
	v_or_b32_e32 v9, 0x70000000, v9
	v_dual_add_f32 v18, -0.5, v18 :: v_dual_mul_f32 v9, 0x7800000, v9
	v_cmp_gt_u32_e32 vcc_lo, 0x8000000, v8
	s_delay_alu instid0(VALU_DEP_2) | instskip(NEXT) | instid1(VALU_DEP_1)
	v_cndmask_b32_e32 v8, v9, v18, vcc_lo
	v_and_or_b32 v6, 0x80000000, v6, v8
	s_delay_alu instid0(VALU_DEP_1) | instskip(NEXT) | instid1(VALU_DEP_1)
	v_trunc_f32_e32 v6, v6
	v_mul_f32_e64 v8, 0x2f800000, |v6|
	s_delay_alu instid0(VALU_DEP_1) | instskip(NEXT) | instid1(VALU_DEP_1)
	v_floor_f32_e32 v8, v8
	v_fma_f32 v8, 0xcf800000, v8, |v6|
	v_ashrrev_i32_e32 v6, 31, v6
	s_delay_alu instid0(VALU_DEP_2) | instskip(NEXT) | instid1(VALU_DEP_1)
	v_cvt_u32_f32_e32 v8, v8
	v_xor_b32_e32 v8, v8, v6
	s_delay_alu instid0(VALU_DEP_1)
	v_sub_nc_u32_e32 v8, v8, v6
.LBB167_2064:
	s_mov_b32 s3, 0
	s_mov_b32 s11, -1
.LBB167_2065:
	s_and_not1_b32 vcc_lo, exec_lo, s3
	s_mov_b32 s3, 0
	s_cbranch_vccnz .LBB167_2076
; %bb.2066:
	v_cmp_lt_i16_e32 vcc_lo, 14, v15
	s_cbranch_vccz .LBB167_2069
; %bb.2067:
	v_cmp_eq_u16_e32 vcc_lo, 15, v15
	s_cbranch_vccz .LBB167_2072
; %bb.2068:
	global_load_u16 v6, v[12:13], off
	s_mov_b32 s2, 0
	s_mov_b32 s11, -1
	s_waitcnt vmcnt(0)
	v_lshlrev_b32_e32 v6, 16, v6
	s_delay_alu instid0(VALU_DEP_1) | instskip(NEXT) | instid1(VALU_DEP_1)
	v_trunc_f32_e32 v6, v6
	v_mul_f32_e64 v8, 0x2f800000, |v6|
	s_delay_alu instid0(VALU_DEP_1) | instskip(NEXT) | instid1(VALU_DEP_1)
	v_floor_f32_e32 v8, v8
	v_fma_f32 v8, 0xcf800000, v8, |v6|
	v_ashrrev_i32_e32 v6, 31, v6
	s_delay_alu instid0(VALU_DEP_2) | instskip(NEXT) | instid1(VALU_DEP_1)
	v_cvt_u32_f32_e32 v8, v8
	v_xor_b32_e32 v8, v8, v6
	s_delay_alu instid0(VALU_DEP_1)
	v_sub_nc_u32_e32 v8, v8, v6
	s_branch .LBB167_2074
.LBB167_2069:
	s_mov_b32 s3, -1
	s_branch .LBB167_2073
.LBB167_2070:
	s_or_saveexec_b32 s3, s3
	v_mov_b32_e32 v8, s12
	s_xor_b32 exec_lo, exec_lo, s3
	s_cbranch_execz .LBB167_2051
.LBB167_2071:
	v_cmp_ne_u16_e32 vcc_lo, 0, v6
	v_mov_b32_e32 v8, 0
	s_and_not1_b32 s11, s11, exec_lo
	s_and_b32 s12, vcc_lo, exec_lo
	s_delay_alu instid0(SALU_CYCLE_1)
	s_or_b32 s11, s11, s12
	s_or_b32 exec_lo, exec_lo, s3
	s_and_saveexec_b32 s3, s11
	s_cbranch_execnz .LBB167_2052
	s_branch .LBB167_2053
.LBB167_2072:
	s_mov_b32 s2, -1
.LBB167_2073:
                                        ; implicit-def: $vgpr8
.LBB167_2074:
	s_and_b32 vcc_lo, exec_lo, s3
	s_mov_b32 s3, 0
	s_cbranch_vccz .LBB167_2076
; %bb.2075:
	v_cmp_ne_u16_e64 s2, 11, v15
	s_mov_b32 s3, -1
                                        ; implicit-def: $vgpr8
.LBB167_2076:
	s_delay_alu instid0(VALU_DEP_1)
	s_and_b32 vcc_lo, exec_lo, s2
	s_cbranch_vccnz .LBB167_2141
; %bb.2077:
	s_and_not1_b32 vcc_lo, exec_lo, s3
	s_cbranch_vccnz .LBB167_2079
.LBB167_2078:
	global_load_u8 v6, v[12:13], off
	s_mov_b32 s11, -1
	s_waitcnt vmcnt(0)
	v_cmp_ne_u16_e32 vcc_lo, 0, v6
	v_cndmask_b32_e64 v8, 0, 1, vcc_lo
.LBB167_2079:
	s_mov_b32 s2, 0
.LBB167_2080:
	s_delay_alu instid0(SALU_CYCLE_1)
	s_and_b32 vcc_lo, exec_lo, s2
	s_cbranch_vccz .LBB167_2129
; %bb.2081:
	v_cmp_gt_i16_e32 vcc_lo, 5, v15
	s_cbranch_vccnz .LBB167_2086
; %bb.2082:
	v_cmp_gt_i16_e32 vcc_lo, 8, v15
	s_cbranch_vccnz .LBB167_2087
	;; [unrolled: 3-line block ×3, first 2 shown]
; %bb.2084:
	v_cmp_lt_i16_e32 vcc_lo, 9, v15
	s_cbranch_vccz .LBB167_2089
; %bb.2085:
	global_load_b64 v[8:9], v[12:13], off
	s_mov_b32 s2, 0
	s_waitcnt vmcnt(0)
	v_trunc_f64_e32 v[8:9], v[8:9]
	s_delay_alu instid0(VALU_DEP_1) | instskip(NEXT) | instid1(VALU_DEP_1)
	v_ldexp_f64 v[18:19], v[8:9], 0xffffffe0
	v_floor_f64_e32 v[18:19], v[18:19]
	s_delay_alu instid0(VALU_DEP_1) | instskip(NEXT) | instid1(VALU_DEP_1)
	v_fma_f64 v[8:9], 0xc1f00000, v[18:19], v[8:9]
	v_cvt_u32_f64_e32 v8, v[8:9]
	s_branch .LBB167_2090
.LBB167_2086:
	s_mov_b32 s2, -1
                                        ; implicit-def: $vgpr8
	s_branch .LBB167_2108
.LBB167_2087:
	s_mov_b32 s2, -1
                                        ; implicit-def: $vgpr8
	s_branch .LBB167_2096
.LBB167_2088:
	s_mov_b32 s2, -1
                                        ; implicit-def: $vgpr8
	s_branch .LBB167_2093
.LBB167_2089:
	s_mov_b32 s2, -1
                                        ; implicit-def: $vgpr8
.LBB167_2090:
	s_delay_alu instid0(SALU_CYCLE_1)
	s_and_not1_b32 vcc_lo, exec_lo, s2
	s_cbranch_vccnz .LBB167_2092
; %bb.2091:
	global_load_b32 v6, v[12:13], off
	s_waitcnt vmcnt(0)
	v_trunc_f32_e32 v6, v6
	s_delay_alu instid0(VALU_DEP_1) | instskip(NEXT) | instid1(VALU_DEP_1)
	v_mul_f32_e64 v8, 0x2f800000, |v6|
	v_floor_f32_e32 v8, v8
	s_delay_alu instid0(VALU_DEP_1) | instskip(SKIP_1) | instid1(VALU_DEP_2)
	v_fma_f32 v8, 0xcf800000, v8, |v6|
	v_ashrrev_i32_e32 v6, 31, v6
	v_cvt_u32_f32_e32 v8, v8
	s_delay_alu instid0(VALU_DEP_1) | instskip(NEXT) | instid1(VALU_DEP_1)
	v_xor_b32_e32 v8, v8, v6
	v_sub_nc_u32_e32 v8, v8, v6
.LBB167_2092:
	s_mov_b32 s2, 0
.LBB167_2093:
	s_delay_alu instid0(SALU_CYCLE_1)
	s_and_not1_b32 vcc_lo, exec_lo, s2
	s_cbranch_vccnz .LBB167_2095
; %bb.2094:
	global_load_b32 v6, v[12:13], off
	s_waitcnt vmcnt(0)
	v_cvt_f32_f16_e32 v6, v6
	s_delay_alu instid0(VALU_DEP_1)
	v_cvt_i32_f32_e32 v8, v6
.LBB167_2095:
	s_mov_b32 s2, 0
.LBB167_2096:
	s_delay_alu instid0(SALU_CYCLE_1)
	s_and_not1_b32 vcc_lo, exec_lo, s2
	s_cbranch_vccnz .LBB167_2107
; %bb.2097:
	v_cmp_gt_i16_e32 vcc_lo, 6, v15
	s_cbranch_vccnz .LBB167_2100
; %bb.2098:
	v_cmp_lt_i16_e32 vcc_lo, 6, v15
	s_cbranch_vccz .LBB167_2101
; %bb.2099:
	global_load_b64 v[8:9], v[12:13], off
	s_mov_b32 s2, 0
	s_waitcnt vmcnt(0)
	v_trunc_f64_e32 v[8:9], v[8:9]
	s_delay_alu instid0(VALU_DEP_1) | instskip(NEXT) | instid1(VALU_DEP_1)
	v_ldexp_f64 v[18:19], v[8:9], 0xffffffe0
	v_floor_f64_e32 v[18:19], v[18:19]
	s_delay_alu instid0(VALU_DEP_1) | instskip(NEXT) | instid1(VALU_DEP_1)
	v_fma_f64 v[8:9], 0xc1f00000, v[18:19], v[8:9]
	v_cvt_u32_f64_e32 v8, v[8:9]
	s_branch .LBB167_2102
.LBB167_2100:
	s_mov_b32 s2, -1
                                        ; implicit-def: $vgpr8
	s_branch .LBB167_2105
.LBB167_2101:
	s_mov_b32 s2, -1
                                        ; implicit-def: $vgpr8
.LBB167_2102:
	s_delay_alu instid0(SALU_CYCLE_1)
	s_and_not1_b32 vcc_lo, exec_lo, s2
	s_cbranch_vccnz .LBB167_2104
; %bb.2103:
	global_load_b32 v6, v[12:13], off
	s_waitcnt vmcnt(0)
	v_trunc_f32_e32 v6, v6
	s_delay_alu instid0(VALU_DEP_1) | instskip(NEXT) | instid1(VALU_DEP_1)
	v_mul_f32_e64 v8, 0x2f800000, |v6|
	v_floor_f32_e32 v8, v8
	s_delay_alu instid0(VALU_DEP_1) | instskip(SKIP_1) | instid1(VALU_DEP_2)
	v_fma_f32 v8, 0xcf800000, v8, |v6|
	v_ashrrev_i32_e32 v6, 31, v6
	v_cvt_u32_f32_e32 v8, v8
	s_delay_alu instid0(VALU_DEP_1) | instskip(NEXT) | instid1(VALU_DEP_1)
	v_xor_b32_e32 v8, v8, v6
	v_sub_nc_u32_e32 v8, v8, v6
.LBB167_2104:
	s_mov_b32 s2, 0
.LBB167_2105:
	s_delay_alu instid0(SALU_CYCLE_1)
	s_and_not1_b32 vcc_lo, exec_lo, s2
	s_cbranch_vccnz .LBB167_2107
; %bb.2106:
	global_load_u16 v6, v[12:13], off
	s_waitcnt vmcnt(0)
	v_cvt_f32_f16_e32 v6, v6
	s_delay_alu instid0(VALU_DEP_1)
	v_cvt_i32_f32_e32 v8, v6
.LBB167_2107:
	s_mov_b32 s2, 0
.LBB167_2108:
	s_delay_alu instid0(SALU_CYCLE_1)
	s_and_not1_b32 vcc_lo, exec_lo, s2
	s_cbranch_vccnz .LBB167_2128
; %bb.2109:
	v_cmp_gt_i16_e32 vcc_lo, 2, v15
	s_cbranch_vccnz .LBB167_2113
; %bb.2110:
	v_cmp_gt_i16_e32 vcc_lo, 3, v15
	s_cbranch_vccnz .LBB167_2114
; %bb.2111:
	v_cmp_lt_i16_e32 vcc_lo, 3, v15
	s_cbranch_vccz .LBB167_2115
; %bb.2112:
	global_load_b64 v[8:9], v[12:13], off
	s_mov_b32 s2, 0
	s_branch .LBB167_2116
.LBB167_2113:
	s_mov_b32 s2, -1
                                        ; implicit-def: $vgpr8
	s_branch .LBB167_2122
.LBB167_2114:
	s_mov_b32 s2, -1
                                        ; implicit-def: $vgpr8
	s_branch .LBB167_2119
.LBB167_2115:
	s_mov_b32 s2, -1
                                        ; implicit-def: $vgpr8
.LBB167_2116:
	s_delay_alu instid0(SALU_CYCLE_1)
	s_and_not1_b32 vcc_lo, exec_lo, s2
	s_cbranch_vccnz .LBB167_2118
; %bb.2117:
	global_load_b32 v8, v[12:13], off
.LBB167_2118:
	s_mov_b32 s2, 0
.LBB167_2119:
	s_delay_alu instid0(SALU_CYCLE_1)
	s_and_not1_b32 vcc_lo, exec_lo, s2
	s_cbranch_vccnz .LBB167_2121
; %bb.2120:
	global_load_u16 v8, v[12:13], off
.LBB167_2121:
	s_mov_b32 s2, 0
.LBB167_2122:
	s_delay_alu instid0(SALU_CYCLE_1)
	s_and_not1_b32 vcc_lo, exec_lo, s2
	s_cbranch_vccnz .LBB167_2128
; %bb.2123:
	v_cmp_lt_i16_e32 vcc_lo, 0, v15
	s_mov_b32 s2, 0
	s_cbranch_vccz .LBB167_2125
; %bb.2124:
	global_load_u8 v8, v[12:13], off
	s_branch .LBB167_2126
.LBB167_2125:
	s_mov_b32 s2, -1
                                        ; implicit-def: $vgpr8
.LBB167_2126:
	s_delay_alu instid0(SALU_CYCLE_1)
	s_and_not1_b32 vcc_lo, exec_lo, s2
	s_cbranch_vccnz .LBB167_2128
; %bb.2127:
	global_load_u8 v8, v[12:13], off
.LBB167_2128:
	s_mov_b32 s11, -1
.LBB167_2129:
	s_delay_alu instid0(SALU_CYCLE_1)
	s_and_not1_b32 vcc_lo, exec_lo, s11
	s_cbranch_vccnz .LBB167_3049
; %bb.2130:
	v_cmp_gt_i16_e32 vcc_lo, 11, v16
	v_add_co_u32 v11, s2, s6, v11
	s_delay_alu instid0(VALU_DEP_1)
	v_add_co_ci_u32_e64 v12, null, s7, 0, s2
	s_mov_b32 s11, 0
	s_cbranch_vccnz .LBB167_2137
; %bb.2131:
	v_cmp_lt_i16_e32 vcc_lo, 25, v16
	s_mov_b32 s3, 0
	s_cbranch_vccz .LBB167_2138
; %bb.2132:
	v_cmp_lt_i16_e32 vcc_lo, 28, v16
	s_cbranch_vccz .LBB167_2139
; %bb.2133:
	v_cmp_lt_i16_e32 vcc_lo, 43, v16
	;; [unrolled: 3-line block ×3, first 2 shown]
	s_cbranch_vccz .LBB167_2143
; %bb.2135:
	v_cmp_eq_u16_e32 vcc_lo, 46, v16
	s_mov_b32 s12, 0
	s_cbranch_vccz .LBB167_2146
; %bb.2136:
	global_load_b32 v6, v[11:12], off
	s_mov_b32 s2, 0
	s_mov_b32 s11, -1
	s_waitcnt vmcnt(0)
	v_lshlrev_b32_e32 v6, 16, v6
	s_delay_alu instid0(VALU_DEP_1)
	v_cvt_f16_f32_e32 v13, v6
	s_branch .LBB167_2148
.LBB167_2137:
	s_mov_b32 s2, -1
                                        ; implicit-def: $vgpr13
	s_branch .LBB167_2214
.LBB167_2138:
	s_mov_b32 s12, -1
	s_mov_b32 s2, 0
                                        ; implicit-def: $vgpr13
	s_branch .LBB167_2177
.LBB167_2139:
	s_mov_b32 s12, -1
	s_mov_b32 s2, 0
                                        ; implicit-def: $vgpr13
	s_branch .LBB167_2158
.LBB167_2140:
	s_mov_b32 s12, -1
	s_mov_b32 s2, 0
                                        ; implicit-def: $vgpr13
	s_branch .LBB167_2153
.LBB167_2141:
	s_cbranch_execnz .LBB167_2144
; %bb.2142:
	s_or_b32 s10, s10, exec_lo
                                        ; implicit-def: $vgpr8
	s_cbranch_execz .LBB167_2078
	s_branch .LBB167_2079
.LBB167_2143:
	s_mov_b32 s12, -1
	s_mov_b32 s2, 0
	s_branch .LBB167_2147
.LBB167_2144:
	s_trap 2
	s_sendmsg_rtn_b32 s0, sendmsg(MSG_RTN_GET_DOORBELL)
	s_mov_b32 ttmp2, m0
	s_waitcnt lgkmcnt(0)
	s_and_b32 s0, s0, 0x3ff
	s_delay_alu instid0(SALU_CYCLE_1) | instskip(NEXT) | instid1(SALU_CYCLE_1)
	s_bitset1_b32 s0, 10
	s_mov_b32 m0, s0
	s_sendmsg sendmsg(MSG_INTERRUPT)
	s_mov_b32 m0, ttmp2
.LBB167_2145:                           ; =>This Inner Loop Header: Depth=1
	s_sethalt 5
	s_branch .LBB167_2145
.LBB167_2146:
	s_mov_b32 s2, -1
.LBB167_2147:
                                        ; implicit-def: $vgpr13
.LBB167_2148:
	s_and_b32 vcc_lo, exec_lo, s12
	s_cbranch_vccz .LBB167_2152
; %bb.2149:
	v_cmp_eq_u16_e32 vcc_lo, 44, v16
	s_cbranch_vccz .LBB167_2151
; %bb.2150:
	global_load_u8 v6, v[11:12], off
	s_mov_b32 s2, 0
	s_mov_b32 s11, -1
	s_waitcnt vmcnt(0)
	v_lshlrev_b32_e32 v9, 23, v6
	v_cmp_ne_u32_e32 vcc_lo, 0xff, v6
	s_delay_alu instid0(VALU_DEP_2) | instskip(NEXT) | instid1(VALU_DEP_1)
	v_cvt_f16_f32_e32 v9, v9
	v_cndmask_b32_e32 v9, 0x7e00, v9, vcc_lo
	v_cmp_ne_u32_e32 vcc_lo, 0, v6
	s_delay_alu instid0(VALU_DEP_2)
	v_cndmask_b32_e32 v13, 0, v9, vcc_lo
	s_branch .LBB167_2152
.LBB167_2151:
	s_mov_b32 s2, -1
                                        ; implicit-def: $vgpr13
.LBB167_2152:
	s_mov_b32 s12, 0
.LBB167_2153:
	s_delay_alu instid0(SALU_CYCLE_1)
	s_and_b32 vcc_lo, exec_lo, s12
	s_cbranch_vccz .LBB167_2157
; %bb.2154:
	v_cmp_eq_u16_e32 vcc_lo, 29, v16
	s_cbranch_vccz .LBB167_2156
; %bb.2155:
	global_load_b64 v[18:19], v[11:12], off
	s_mov_b32 s2, 0
	s_mov_b32 s11, -1
	s_mov_b32 s12, 0
	s_waitcnt vmcnt(0)
	v_clz_i32_u32_e32 v6, v19
	s_delay_alu instid0(VALU_DEP_1) | instskip(NEXT) | instid1(VALU_DEP_1)
	v_min_u32_e32 v6, 32, v6
	v_lshlrev_b64 v[18:19], v6, v[18:19]
	v_sub_nc_u32_e32 v6, 32, v6
	s_delay_alu instid0(VALU_DEP_2) | instskip(NEXT) | instid1(VALU_DEP_1)
	v_min_u32_e32 v9, 1, v18
	v_or_b32_e32 v9, v19, v9
	s_delay_alu instid0(VALU_DEP_1) | instskip(NEXT) | instid1(VALU_DEP_1)
	v_cvt_f32_u32_e32 v9, v9
	v_ldexp_f32 v6, v9, v6
	s_delay_alu instid0(VALU_DEP_1)
	v_cvt_f16_f32_e32 v13, v6
	s_branch .LBB167_2158
.LBB167_2156:
	s_mov_b32 s2, -1
                                        ; implicit-def: $vgpr13
.LBB167_2157:
	s_mov_b32 s12, 0
.LBB167_2158:
	s_delay_alu instid0(SALU_CYCLE_1)
	s_and_b32 vcc_lo, exec_lo, s12
	s_cbranch_vccz .LBB167_2176
; %bb.2159:
	v_cmp_gt_i16_e32 vcc_lo, 27, v16
	s_cbranch_vccnz .LBB167_2162
; %bb.2160:
	v_cmp_lt_i16_e32 vcc_lo, 27, v16
	s_cbranch_vccz .LBB167_2163
; %bb.2161:
	global_load_b32 v6, v[11:12], off
	s_mov_b32 s11, 0
	s_waitcnt vmcnt(0)
	v_cvt_f32_u32_e32 v6, v6
	s_delay_alu instid0(VALU_DEP_1)
	v_cvt_f16_f32_e32 v13, v6
	s_branch .LBB167_2164
.LBB167_2162:
	s_mov_b32 s11, -1
                                        ; implicit-def: $vgpr13
	s_branch .LBB167_2167
.LBB167_2163:
	s_mov_b32 s11, -1
                                        ; implicit-def: $vgpr13
.LBB167_2164:
	s_delay_alu instid0(SALU_CYCLE_1)
	s_and_not1_b32 vcc_lo, exec_lo, s11
	s_cbranch_vccnz .LBB167_2166
; %bb.2165:
	global_load_u16 v6, v[11:12], off
	s_waitcnt vmcnt(0)
	v_cvt_f16_u16_e32 v13, v6
.LBB167_2166:
	s_mov_b32 s11, 0
.LBB167_2167:
	s_delay_alu instid0(SALU_CYCLE_1)
	s_and_not1_b32 vcc_lo, exec_lo, s11
	s_cbranch_vccnz .LBB167_2175
; %bb.2168:
	global_load_u8 v6, v[11:12], off
	s_mov_b32 s11, 0
	s_mov_b32 s13, exec_lo
                                        ; implicit-def: $sgpr12
	s_waitcnt vmcnt(0)
	v_cmpx_lt_i16_e32 0x7f, v6
	s_xor_b32 s13, exec_lo, s13
	s_cbranch_execz .LBB167_2189
; %bb.2169:
	s_mov_b32 s11, -1
	s_mov_b32 s14, exec_lo
                                        ; implicit-def: $sgpr12
	v_cmpx_eq_u16_e32 0x80, v6
; %bb.2170:
	s_movk_i32 s12, 0x7e00
	s_xor_b32 s11, exec_lo, -1
; %bb.2171:
	s_or_b32 exec_lo, exec_lo, s14
	s_delay_alu instid0(SALU_CYCLE_1)
	s_and_b32 s11, s11, exec_lo
	s_or_saveexec_b32 s13, s13
	v_mov_b32_e32 v13, s12
	s_xor_b32 exec_lo, exec_lo, s13
	s_cbranch_execnz .LBB167_2190
.LBB167_2172:
	s_or_b32 exec_lo, exec_lo, s13
	s_and_saveexec_b32 s12, s11
	s_cbranch_execz .LBB167_2174
.LBB167_2173:
	v_and_b32_e32 v9, 0xffff, v6
	s_delay_alu instid0(VALU_DEP_1) | instskip(NEXT) | instid1(VALU_DEP_1)
	v_and_b32_e32 v13, 7, v9
	v_clz_i32_u32_e32 v18, v13
	s_delay_alu instid0(VALU_DEP_1) | instskip(NEXT) | instid1(VALU_DEP_1)
	v_min_u32_e32 v18, 32, v18
	v_subrev_nc_u32_e32 v19, 28, v18
	v_sub_nc_u32_e32 v18, 29, v18
	s_delay_alu instid0(VALU_DEP_2) | instskip(SKIP_1) | instid1(VALU_DEP_2)
	v_lshlrev_b32_e32 v19, v19, v9
	v_bfe_u32 v9, v9, 3, 4
	v_and_b32_e32 v19, 7, v19
	s_delay_alu instid0(VALU_DEP_2) | instskip(NEXT) | instid1(VALU_DEP_2)
	v_cmp_eq_u32_e32 vcc_lo, 0, v9
	v_dual_cndmask_b32 v13, v13, v19 :: v_dual_lshlrev_b32 v6, 24, v6
	v_cndmask_b32_e32 v9, v9, v18, vcc_lo
	s_delay_alu instid0(VALU_DEP_2) | instskip(NEXT) | instid1(VALU_DEP_3)
	v_and_b32_e32 v6, 0x80000000, v6
	v_lshlrev_b32_e32 v13, 20, v13
	s_delay_alu instid0(VALU_DEP_3) | instskip(NEXT) | instid1(VALU_DEP_1)
	v_lshl_add_u32 v9, v9, 23, 0x3b800000
	v_or3_b32 v6, v6, v9, v13
	s_delay_alu instid0(VALU_DEP_1)
	v_cvt_f16_f32_e32 v13, v6
.LBB167_2174:
	s_or_b32 exec_lo, exec_lo, s12
.LBB167_2175:
	s_mov_b32 s11, -1
.LBB167_2176:
	s_mov_b32 s12, 0
.LBB167_2177:
	s_delay_alu instid0(SALU_CYCLE_1)
	s_and_b32 vcc_lo, exec_lo, s12
	s_cbranch_vccz .LBB167_2210
; %bb.2178:
	v_cmp_lt_i16_e32 vcc_lo, 22, v16
	s_cbranch_vccz .LBB167_2188
; %bb.2179:
	v_cmp_gt_i16_e32 vcc_lo, 24, v16
	s_cbranch_vccnz .LBB167_2191
; %bb.2180:
	v_cmp_lt_i16_e32 vcc_lo, 24, v16
	s_cbranch_vccz .LBB167_2192
; %bb.2181:
	global_load_u8 v6, v[11:12], off
	s_mov_b32 s12, exec_lo
                                        ; implicit-def: $sgpr11
	s_waitcnt vmcnt(0)
	v_cmpx_lt_i16_e32 0x7f, v6
	s_xor_b32 s12, exec_lo, s12
	s_cbranch_execz .LBB167_2204
; %bb.2182:
	s_mov_b32 s3, -1
	s_mov_b32 s13, exec_lo
                                        ; implicit-def: $sgpr11
	v_cmpx_eq_u16_e32 0x80, v6
; %bb.2183:
	s_movk_i32 s11, 0x7e00
	s_xor_b32 s3, exec_lo, -1
; %bb.2184:
	s_or_b32 exec_lo, exec_lo, s13
	s_delay_alu instid0(SALU_CYCLE_1)
	s_and_b32 s3, s3, exec_lo
	s_or_saveexec_b32 s12, s12
	v_mov_b32_e32 v13, s11
	s_xor_b32 exec_lo, exec_lo, s12
	s_cbranch_execnz .LBB167_2205
.LBB167_2185:
	s_or_b32 exec_lo, exec_lo, s12
	s_and_saveexec_b32 s11, s3
	s_cbranch_execz .LBB167_2187
.LBB167_2186:
	v_and_b32_e32 v9, 0xffff, v6
	s_delay_alu instid0(VALU_DEP_1) | instskip(NEXT) | instid1(VALU_DEP_1)
	v_and_b32_e32 v13, 3, v9
	v_clz_i32_u32_e32 v18, v13
	s_delay_alu instid0(VALU_DEP_1) | instskip(NEXT) | instid1(VALU_DEP_1)
	v_min_u32_e32 v18, 32, v18
	v_subrev_nc_u32_e32 v19, 29, v18
	v_sub_nc_u32_e32 v18, 30, v18
	s_delay_alu instid0(VALU_DEP_2) | instskip(SKIP_1) | instid1(VALU_DEP_2)
	v_lshlrev_b32_e32 v19, v19, v9
	v_bfe_u32 v9, v9, 2, 5
	v_and_b32_e32 v19, 3, v19
	s_delay_alu instid0(VALU_DEP_2) | instskip(NEXT) | instid1(VALU_DEP_2)
	v_cmp_eq_u32_e32 vcc_lo, 0, v9
	v_dual_cndmask_b32 v13, v13, v19 :: v_dual_lshlrev_b32 v6, 24, v6
	v_cndmask_b32_e32 v9, v9, v18, vcc_lo
	s_delay_alu instid0(VALU_DEP_2) | instskip(NEXT) | instid1(VALU_DEP_3)
	v_and_b32_e32 v6, 0x80000000, v6
	v_lshlrev_b32_e32 v13, 21, v13
	s_delay_alu instid0(VALU_DEP_3) | instskip(NEXT) | instid1(VALU_DEP_1)
	v_lshl_add_u32 v9, v9, 23, 0x37800000
	v_or3_b32 v6, v6, v9, v13
	s_delay_alu instid0(VALU_DEP_1)
	v_cvt_f16_f32_e32 v13, v6
.LBB167_2187:
	s_or_b32 exec_lo, exec_lo, s11
	s_mov_b32 s3, 0
	s_branch .LBB167_2193
.LBB167_2188:
	s_mov_b32 s3, -1
                                        ; implicit-def: $vgpr13
	s_branch .LBB167_2199
.LBB167_2189:
	s_or_saveexec_b32 s13, s13
	v_mov_b32_e32 v13, s12
	s_xor_b32 exec_lo, exec_lo, s13
	s_cbranch_execz .LBB167_2172
.LBB167_2190:
	v_cmp_ne_u16_e32 vcc_lo, 0, v6
	v_mov_b32_e32 v13, v6
	s_and_not1_b32 s11, s11, exec_lo
	s_and_b32 s12, vcc_lo, exec_lo
	s_delay_alu instid0(SALU_CYCLE_1)
	s_or_b32 s11, s11, s12
	s_or_b32 exec_lo, exec_lo, s13
	s_and_saveexec_b32 s12, s11
	s_cbranch_execnz .LBB167_2173
	s_branch .LBB167_2174
.LBB167_2191:
	s_mov_b32 s3, -1
                                        ; implicit-def: $vgpr13
	s_branch .LBB167_2196
.LBB167_2192:
	s_mov_b32 s3, -1
                                        ; implicit-def: $vgpr13
.LBB167_2193:
	s_delay_alu instid0(SALU_CYCLE_1)
	s_and_b32 vcc_lo, exec_lo, s3
	s_cbranch_vccz .LBB167_2195
; %bb.2194:
	global_load_u8 v6, v[11:12], off
	s_waitcnt vmcnt(0)
	v_lshlrev_b32_e32 v6, 24, v6
	s_delay_alu instid0(VALU_DEP_1) | instskip(NEXT) | instid1(VALU_DEP_1)
	v_and_b32_e32 v9, 0x7f000000, v6
	v_clz_i32_u32_e32 v13, v9
	v_add_nc_u32_e32 v19, 0x1000000, v9
	v_cmp_ne_u32_e32 vcc_lo, 0, v9
	s_delay_alu instid0(VALU_DEP_3) | instskip(NEXT) | instid1(VALU_DEP_1)
	v_min_u32_e32 v13, 32, v13
	v_sub_nc_u32_e64 v13, v13, 4 clamp
	s_delay_alu instid0(VALU_DEP_1) | instskip(SKIP_1) | instid1(VALU_DEP_2)
	v_lshlrev_b32_e32 v18, v13, v9
	v_lshlrev_b32_e32 v13, 23, v13
	v_lshrrev_b32_e32 v18, 4, v18
	s_delay_alu instid0(VALU_DEP_1) | instskip(SKIP_1) | instid1(VALU_DEP_2)
	v_sub_nc_u32_e32 v13, v18, v13
	v_ashrrev_i32_e32 v18, 8, v19
	v_add_nc_u32_e32 v13, 0x3c000000, v13
	s_delay_alu instid0(VALU_DEP_1) | instskip(NEXT) | instid1(VALU_DEP_1)
	v_and_or_b32 v13, 0x7f800000, v18, v13
	v_cndmask_b32_e32 v9, 0, v13, vcc_lo
	s_delay_alu instid0(VALU_DEP_1) | instskip(NEXT) | instid1(VALU_DEP_1)
	v_and_or_b32 v6, 0x80000000, v6, v9
	v_cvt_f16_f32_e32 v13, v6
.LBB167_2195:
	s_mov_b32 s3, 0
.LBB167_2196:
	s_delay_alu instid0(SALU_CYCLE_1)
	s_and_not1_b32 vcc_lo, exec_lo, s3
	s_cbranch_vccnz .LBB167_2198
; %bb.2197:
	global_load_u8 v6, v[11:12], off
	s_waitcnt vmcnt(0)
	v_lshlrev_b32_e32 v9, 25, v6
	v_lshlrev_b16 v6, 8, v6
	s_delay_alu instid0(VALU_DEP_2) | instskip(NEXT) | instid1(VALU_DEP_2)
	v_lshrrev_b32_e32 v13, 4, v9
	v_and_or_b32 v18, 0x7f00, v6, 0.5
	v_cmp_gt_u32_e32 vcc_lo, 0x8000000, v9
	v_bfe_i32 v6, v6, 0, 16
	s_delay_alu instid0(VALU_DEP_4) | instskip(NEXT) | instid1(VALU_DEP_1)
	v_or_b32_e32 v13, 0x70000000, v13
	v_dual_add_f32 v18, -0.5, v18 :: v_dual_mul_f32 v13, 0x7800000, v13
	s_delay_alu instid0(VALU_DEP_1) | instskip(NEXT) | instid1(VALU_DEP_1)
	v_cndmask_b32_e32 v9, v13, v18, vcc_lo
	v_and_or_b32 v6, 0x80000000, v6, v9
	s_delay_alu instid0(VALU_DEP_1)
	v_cvt_f16_f32_e32 v13, v6
.LBB167_2198:
	s_mov_b32 s3, 0
	s_mov_b32 s11, -1
.LBB167_2199:
	s_and_not1_b32 vcc_lo, exec_lo, s3
	s_mov_b32 s3, 0
	s_cbranch_vccnz .LBB167_2210
; %bb.2200:
	v_cmp_lt_i16_e32 vcc_lo, 14, v16
	s_cbranch_vccz .LBB167_2203
; %bb.2201:
	v_cmp_eq_u16_e32 vcc_lo, 15, v16
	s_cbranch_vccz .LBB167_2206
; %bb.2202:
	global_load_u16 v6, v[11:12], off
	s_mov_b32 s2, 0
	s_mov_b32 s11, -1
	s_waitcnt vmcnt(0)
	v_lshlrev_b32_e32 v6, 16, v6
	s_delay_alu instid0(VALU_DEP_1)
	v_cvt_f16_f32_e32 v13, v6
	s_branch .LBB167_2208
.LBB167_2203:
	s_mov_b32 s3, -1
	s_branch .LBB167_2207
.LBB167_2204:
	s_or_saveexec_b32 s12, s12
	v_mov_b32_e32 v13, s11
	s_xor_b32 exec_lo, exec_lo, s12
	s_cbranch_execz .LBB167_2185
.LBB167_2205:
	v_cmp_ne_u16_e32 vcc_lo, 0, v6
	v_mov_b32_e32 v13, v6
	s_and_not1_b32 s3, s3, exec_lo
	s_and_b32 s11, vcc_lo, exec_lo
	s_delay_alu instid0(SALU_CYCLE_1)
	s_or_b32 s3, s3, s11
	s_or_b32 exec_lo, exec_lo, s12
	s_and_saveexec_b32 s11, s3
	s_cbranch_execnz .LBB167_2186
	s_branch .LBB167_2187
.LBB167_2206:
	s_mov_b32 s2, -1
.LBB167_2207:
                                        ; implicit-def: $vgpr13
.LBB167_2208:
	s_and_b32 vcc_lo, exec_lo, s3
	s_mov_b32 s3, 0
	s_cbranch_vccz .LBB167_2210
; %bb.2209:
	v_cmp_ne_u16_e64 s2, 11, v16
	s_mov_b32 s3, -1
                                        ; implicit-def: $vgpr13
.LBB167_2210:
	s_delay_alu instid0(VALU_DEP_1)
	s_and_b32 vcc_lo, exec_lo, s2
	s_cbranch_vccnz .LBB167_2275
; %bb.2211:
	s_and_not1_b32 vcc_lo, exec_lo, s3
	s_cbranch_vccnz .LBB167_2213
.LBB167_2212:
	global_load_u8 v6, v[11:12], off
	s_mov_b32 s11, -1
	s_waitcnt vmcnt(0)
	v_cmp_ne_u16_e32 vcc_lo, 0, v6
	v_cndmask_b32_e64 v13, 0, 0x3c00, vcc_lo
.LBB167_2213:
	s_mov_b32 s2, 0
.LBB167_2214:
	s_delay_alu instid0(SALU_CYCLE_1)
	s_and_b32 vcc_lo, exec_lo, s2
	s_cbranch_vccz .LBB167_2263
; %bb.2215:
	v_cmp_gt_i16_e32 vcc_lo, 5, v16
	s_cbranch_vccnz .LBB167_2220
; %bb.2216:
	v_cmp_gt_i16_e32 vcc_lo, 8, v16
	s_cbranch_vccnz .LBB167_2221
; %bb.2217:
	v_cmp_gt_i16_e32 vcc_lo, 9, v16
	s_cbranch_vccnz .LBB167_2222
; %bb.2218:
	v_cmp_lt_i16_e32 vcc_lo, 9, v16
	s_cbranch_vccz .LBB167_2223
; %bb.2219:
	global_load_b64 v[18:19], v[11:12], off
	s_mov_b32 s2, 0
	s_waitcnt vmcnt(0)
	v_cvt_f32_f64_e32 v6, v[18:19]
	s_delay_alu instid0(VALU_DEP_1)
	v_cvt_f16_f32_e32 v13, v6
	s_branch .LBB167_2224
.LBB167_2220:
	s_mov_b32 s2, -1
                                        ; implicit-def: $vgpr13
	s_branch .LBB167_2242
.LBB167_2221:
	s_mov_b32 s2, -1
                                        ; implicit-def: $vgpr13
	s_branch .LBB167_2230
.LBB167_2222:
	s_mov_b32 s2, -1
                                        ; implicit-def: $vgpr13
	s_branch .LBB167_2227
.LBB167_2223:
	s_mov_b32 s2, -1
                                        ; implicit-def: $vgpr13
.LBB167_2224:
	s_delay_alu instid0(SALU_CYCLE_1)
	s_and_not1_b32 vcc_lo, exec_lo, s2
	s_cbranch_vccnz .LBB167_2226
; %bb.2225:
	global_load_b32 v6, v[11:12], off
	s_waitcnt vmcnt(0)
	v_cvt_f16_f32_e32 v13, v6
.LBB167_2226:
	s_mov_b32 s2, 0
.LBB167_2227:
	s_delay_alu instid0(SALU_CYCLE_1)
	s_and_not1_b32 vcc_lo, exec_lo, s2
	s_cbranch_vccnz .LBB167_2229
; %bb.2228:
	global_load_b32 v13, v[11:12], off
.LBB167_2229:
	s_mov_b32 s2, 0
.LBB167_2230:
	s_delay_alu instid0(SALU_CYCLE_1)
	s_and_not1_b32 vcc_lo, exec_lo, s2
	s_cbranch_vccnz .LBB167_2241
; %bb.2231:
	v_cmp_gt_i16_e32 vcc_lo, 6, v16
	s_cbranch_vccnz .LBB167_2234
; %bb.2232:
	v_cmp_lt_i16_e32 vcc_lo, 6, v16
	s_cbranch_vccz .LBB167_2235
; %bb.2233:
	global_load_b64 v[18:19], v[11:12], off
	s_mov_b32 s2, 0
	s_waitcnt vmcnt(0)
	v_cvt_f32_f64_e32 v6, v[18:19]
	s_delay_alu instid0(VALU_DEP_1)
	v_cvt_f16_f32_e32 v13, v6
	s_branch .LBB167_2236
.LBB167_2234:
	s_mov_b32 s2, -1
                                        ; implicit-def: $vgpr13
	s_branch .LBB167_2239
.LBB167_2235:
	s_mov_b32 s2, -1
                                        ; implicit-def: $vgpr13
.LBB167_2236:
	s_delay_alu instid0(SALU_CYCLE_1)
	s_and_not1_b32 vcc_lo, exec_lo, s2
	s_cbranch_vccnz .LBB167_2238
; %bb.2237:
	global_load_b32 v6, v[11:12], off
	s_waitcnt vmcnt(0)
	v_cvt_f16_f32_e32 v13, v6
.LBB167_2238:
	s_mov_b32 s2, 0
.LBB167_2239:
	s_delay_alu instid0(SALU_CYCLE_1)
	s_and_not1_b32 vcc_lo, exec_lo, s2
	s_cbranch_vccnz .LBB167_2241
; %bb.2240:
	global_load_u16 v13, v[11:12], off
.LBB167_2241:
	s_mov_b32 s2, 0
.LBB167_2242:
	s_delay_alu instid0(SALU_CYCLE_1)
	s_and_not1_b32 vcc_lo, exec_lo, s2
	s_cbranch_vccnz .LBB167_2262
; %bb.2243:
	v_cmp_gt_i16_e32 vcc_lo, 2, v16
	s_cbranch_vccnz .LBB167_2247
; %bb.2244:
	v_cmp_gt_i16_e32 vcc_lo, 3, v16
	s_cbranch_vccnz .LBB167_2248
; %bb.2245:
	v_cmp_lt_i16_e32 vcc_lo, 3, v16
	s_cbranch_vccz .LBB167_2249
; %bb.2246:
	global_load_b64 v[18:19], v[11:12], off
	s_mov_b32 s2, 0
	s_waitcnt vmcnt(0)
	v_xor_b32_e32 v6, v18, v19
	v_cls_i32_e32 v9, v19
	s_delay_alu instid0(VALU_DEP_2) | instskip(NEXT) | instid1(VALU_DEP_2)
	v_ashrrev_i32_e32 v6, 31, v6
	v_add_nc_u32_e32 v9, -1, v9
	s_delay_alu instid0(VALU_DEP_2) | instskip(NEXT) | instid1(VALU_DEP_1)
	v_add_nc_u32_e32 v6, 32, v6
	v_min_u32_e32 v6, v9, v6
	s_delay_alu instid0(VALU_DEP_1) | instskip(SKIP_1) | instid1(VALU_DEP_2)
	v_lshlrev_b64 v[18:19], v6, v[18:19]
	v_sub_nc_u32_e32 v6, 32, v6
	v_min_u32_e32 v9, 1, v18
	s_delay_alu instid0(VALU_DEP_1) | instskip(NEXT) | instid1(VALU_DEP_1)
	v_or_b32_e32 v9, v19, v9
	v_cvt_f32_i32_e32 v9, v9
	s_delay_alu instid0(VALU_DEP_1) | instskip(NEXT) | instid1(VALU_DEP_1)
	v_ldexp_f32 v6, v9, v6
	v_cvt_f16_f32_e32 v13, v6
	s_branch .LBB167_2250
.LBB167_2247:
	s_mov_b32 s2, -1
                                        ; implicit-def: $vgpr13
	s_branch .LBB167_2256
.LBB167_2248:
	s_mov_b32 s2, -1
                                        ; implicit-def: $vgpr13
	s_branch .LBB167_2253
.LBB167_2249:
	s_mov_b32 s2, -1
                                        ; implicit-def: $vgpr13
.LBB167_2250:
	s_delay_alu instid0(SALU_CYCLE_1)
	s_and_not1_b32 vcc_lo, exec_lo, s2
	s_cbranch_vccnz .LBB167_2252
; %bb.2251:
	global_load_b32 v6, v[11:12], off
	s_waitcnt vmcnt(0)
	v_cvt_f32_i32_e32 v6, v6
	s_delay_alu instid0(VALU_DEP_1)
	v_cvt_f16_f32_e32 v13, v6
.LBB167_2252:
	s_mov_b32 s2, 0
.LBB167_2253:
	s_delay_alu instid0(SALU_CYCLE_1)
	s_and_not1_b32 vcc_lo, exec_lo, s2
	s_cbranch_vccnz .LBB167_2255
; %bb.2254:
	global_load_u16 v6, v[11:12], off
	s_waitcnt vmcnt(0)
	v_cvt_f16_i16_e32 v13, v6
.LBB167_2255:
	s_mov_b32 s2, 0
.LBB167_2256:
	s_delay_alu instid0(SALU_CYCLE_1)
	s_and_not1_b32 vcc_lo, exec_lo, s2
	s_cbranch_vccnz .LBB167_2262
; %bb.2257:
	v_cmp_lt_i16_e32 vcc_lo, 0, v16
	s_mov_b32 s2, 0
	s_cbranch_vccz .LBB167_2259
; %bb.2258:
	global_load_i8 v6, v[11:12], off
	s_waitcnt vmcnt(0)
	v_cvt_f16_i16_e32 v13, v6
	s_branch .LBB167_2260
.LBB167_2259:
	s_mov_b32 s2, -1
                                        ; implicit-def: $vgpr13
.LBB167_2260:
	s_delay_alu instid0(SALU_CYCLE_1)
	s_and_not1_b32 vcc_lo, exec_lo, s2
	s_cbranch_vccnz .LBB167_2262
; %bb.2261:
	global_load_u8 v6, v[11:12], off
	s_waitcnt vmcnt(0)
	v_cvt_f16_u16_e32 v13, v6
.LBB167_2262:
	s_mov_b32 s11, -1
.LBB167_2263:
	s_delay_alu instid0(SALU_CYCLE_1)
	s_and_not1_b32 vcc_lo, exec_lo, s11
	s_cbranch_vccnz .LBB167_3049
; %bb.2264:
	v_cmp_gt_i16_e32 vcc_lo, 11, v15
	v_add_co_u32 v11, s2, s0, v10
	s_delay_alu instid0(VALU_DEP_1)
	v_add_co_ci_u32_e64 v12, null, s1, 0, s2
	s_mov_b32 s11, 0
	s_cbranch_vccnz .LBB167_2271
; %bb.2265:
	v_cmp_lt_i16_e32 vcc_lo, 25, v15
	s_mov_b32 s3, 0
	s_cbranch_vccz .LBB167_2272
; %bb.2266:
	v_cmp_lt_i16_e32 vcc_lo, 28, v15
	s_cbranch_vccz .LBB167_2273
; %bb.2267:
	v_cmp_lt_i16_e32 vcc_lo, 43, v15
	;; [unrolled: 3-line block ×3, first 2 shown]
	s_cbranch_vccz .LBB167_2277
; %bb.2269:
	v_cmp_eq_u16_e32 vcc_lo, 46, v15
	s_mov_b32 s12, 0
	s_cbranch_vccz .LBB167_2282
; %bb.2270:
	global_load_b32 v6, v[11:12], off
	s_mov_b32 s2, 0
	s_mov_b32 s11, -1
	s_waitcnt vmcnt(0)
	v_lshlrev_b32_e32 v6, 16, v6
	s_delay_alu instid0(VALU_DEP_1) | instskip(NEXT) | instid1(VALU_DEP_1)
	v_trunc_f32_e32 v6, v6
	v_mul_f32_e64 v9, 0x2f800000, |v6|
	s_delay_alu instid0(VALU_DEP_1) | instskip(NEXT) | instid1(VALU_DEP_1)
	v_floor_f32_e32 v9, v9
	v_fma_f32 v9, 0xcf800000, v9, |v6|
	v_ashrrev_i32_e32 v6, 31, v6
	s_delay_alu instid0(VALU_DEP_2) | instskip(NEXT) | instid1(VALU_DEP_1)
	v_cvt_u32_f32_e32 v9, v9
	v_xor_b32_e32 v9, v9, v6
	s_delay_alu instid0(VALU_DEP_1)
	v_sub_nc_u32_e32 v9, v9, v6
	s_branch .LBB167_2284
.LBB167_2271:
	s_mov_b32 s2, -1
                                        ; implicit-def: $vgpr9
	s_branch .LBB167_2346
.LBB167_2272:
	s_mov_b32 s12, -1
	s_mov_b32 s2, 0
                                        ; implicit-def: $vgpr9
	s_branch .LBB167_2311
.LBB167_2273:
	s_mov_b32 s12, -1
	s_mov_b32 s2, 0
                                        ; implicit-def: $vgpr9
	s_branch .LBB167_2294
.LBB167_2274:
	s_mov_b32 s12, -1
	s_mov_b32 s2, 0
                                        ; implicit-def: $vgpr9
	s_branch .LBB167_2289
.LBB167_2275:
	s_cbranch_execnz .LBB167_2278
; %bb.2276:
	s_or_b32 s10, s10, exec_lo
                                        ; implicit-def: $vgpr13
	s_cbranch_execz .LBB167_2212
	s_branch .LBB167_2213
.LBB167_2277:
	s_mov_b32 s12, -1
	s_mov_b32 s2, 0
	s_branch .LBB167_2283
.LBB167_2278:
	s_trap 2
	s_sendmsg_rtn_b32 s0, sendmsg(MSG_RTN_GET_DOORBELL)
	s_mov_b32 ttmp2, m0
	s_waitcnt lgkmcnt(0)
	s_and_b32 s0, s0, 0x3ff
	s_delay_alu instid0(SALU_CYCLE_1) | instskip(NEXT) | instid1(SALU_CYCLE_1)
	s_bitset1_b32 s0, 10
	s_mov_b32 m0, s0
	s_sendmsg sendmsg(MSG_INTERRUPT)
	s_mov_b32 m0, ttmp2
.LBB167_2279:                           ; =>This Inner Loop Header: Depth=1
	s_sethalt 5
	s_branch .LBB167_2279
.LBB167_2280:
	s_or_saveexec_b32 s50, s50
                                        ; implicit-def: $sgpr51
	s_delay_alu instid0(SALU_CYCLE_1)
	s_xor_b32 exec_lo, exec_lo, s50
	s_cbranch_execz .LBB167_1161
.LBB167_2281:
	v_add_f32_e64 v5, 0x42800000, |v4|
	s_and_not1_b32 s49, s49, exec_lo
	s_mov_b32 s51, 0
	s_delay_alu instid0(VALU_DEP_1) | instskip(NEXT) | instid1(VALU_DEP_1)
	v_and_b32_e32 v5, 0xff, v5
	v_cmp_ne_u32_e32 vcc_lo, 0, v5
	s_and_b32 s52, vcc_lo, exec_lo
	s_delay_alu instid0(SALU_CYCLE_1)
	s_or_b32 s49, s49, s52
	s_or_b32 exec_lo, exec_lo, s50
	v_mov_b32_e32 v6, s51
	s_and_saveexec_b32 s50, s49
	s_cbranch_execnz .LBB167_1162
	s_branch .LBB167_1163
.LBB167_2282:
	s_mov_b32 s2, -1
.LBB167_2283:
                                        ; implicit-def: $vgpr9
.LBB167_2284:
	s_and_b32 vcc_lo, exec_lo, s12
	s_cbranch_vccz .LBB167_2288
; %bb.2285:
	v_cmp_eq_u16_e32 vcc_lo, 44, v15
	s_cbranch_vccz .LBB167_2287
; %bb.2286:
	global_load_u8 v6, v[11:12], off
	s_mov_b32 s2, 0
	s_mov_b32 s11, -1
	s_waitcnt vmcnt(0)
	v_lshlrev_b32_e32 v9, 23, v6
	v_cmp_ne_u32_e32 vcc_lo, 0, v6
	s_delay_alu instid0(VALU_DEP_2) | instskip(NEXT) | instid1(VALU_DEP_1)
	v_trunc_f32_e32 v9, v9
	v_mul_f32_e64 v10, 0x2f800000, |v9|
	s_delay_alu instid0(VALU_DEP_1) | instskip(NEXT) | instid1(VALU_DEP_1)
	v_floor_f32_e32 v10, v10
	v_fma_f32 v10, 0xcf800000, v10, |v9|
	v_ashrrev_i32_e32 v9, 31, v9
	s_delay_alu instid0(VALU_DEP_2) | instskip(NEXT) | instid1(VALU_DEP_1)
	v_cvt_u32_f32_e32 v10, v10
	v_xor_b32_e32 v10, v10, v9
	s_delay_alu instid0(VALU_DEP_1) | instskip(NEXT) | instid1(VALU_DEP_1)
	v_sub_nc_u32_e32 v9, v10, v9
	v_cndmask_b32_e32 v9, 0, v9, vcc_lo
	s_branch .LBB167_2288
.LBB167_2287:
	s_mov_b32 s2, -1
                                        ; implicit-def: $vgpr9
.LBB167_2288:
	s_mov_b32 s12, 0
.LBB167_2289:
	s_delay_alu instid0(SALU_CYCLE_1)
	s_and_b32 vcc_lo, exec_lo, s12
	s_cbranch_vccz .LBB167_2293
; %bb.2290:
	v_cmp_eq_u16_e32 vcc_lo, 29, v15
	s_cbranch_vccz .LBB167_2292
; %bb.2291:
	global_load_b64 v[9:10], v[11:12], off
	s_mov_b32 s2, 0
	s_mov_b32 s11, -1
	s_branch .LBB167_2293
.LBB167_2292:
	s_mov_b32 s2, -1
                                        ; implicit-def: $vgpr9
.LBB167_2293:
	s_mov_b32 s12, 0
.LBB167_2294:
	s_delay_alu instid0(SALU_CYCLE_1)
	s_and_b32 vcc_lo, exec_lo, s12
	s_cbranch_vccz .LBB167_2310
; %bb.2295:
	v_cmp_gt_i16_e32 vcc_lo, 27, v15
	s_cbranch_vccnz .LBB167_2298
; %bb.2296:
	v_cmp_lt_i16_e32 vcc_lo, 27, v15
	s_cbranch_vccz .LBB167_2299
; %bb.2297:
	global_load_b32 v9, v[11:12], off
	s_mov_b32 s11, 0
	s_branch .LBB167_2300
.LBB167_2298:
	s_mov_b32 s11, -1
                                        ; implicit-def: $vgpr9
	s_branch .LBB167_2303
.LBB167_2299:
	s_mov_b32 s11, -1
                                        ; implicit-def: $vgpr9
.LBB167_2300:
	s_delay_alu instid0(SALU_CYCLE_1)
	s_and_not1_b32 vcc_lo, exec_lo, s11
	s_cbranch_vccnz .LBB167_2302
; %bb.2301:
	global_load_u16 v9, v[11:12], off
.LBB167_2302:
	s_mov_b32 s11, 0
.LBB167_2303:
	s_delay_alu instid0(SALU_CYCLE_1)
	s_and_not1_b32 vcc_lo, exec_lo, s11
	s_cbranch_vccnz .LBB167_2309
; %bb.2304:
	global_load_u8 v6, v[11:12], off
	s_mov_b32 s12, 0
	s_mov_b32 s11, exec_lo
                                        ; implicit-def: $sgpr13
	s_waitcnt vmcnt(0)
	v_cmpx_lt_i16_e32 0x7f, v6
	s_xor_b32 s11, exec_lo, s11
	s_cbranch_execz .LBB167_2321
; %bb.2305:
	v_cmp_ne_u16_e32 vcc_lo, 0x80, v6
	s_mov_b32 s13, 0
	s_and_b32 s12, vcc_lo, exec_lo
	s_or_saveexec_b32 s11, s11
	v_mov_b32_e32 v9, s13
	s_xor_b32 exec_lo, exec_lo, s11
	s_cbranch_execnz .LBB167_2322
.LBB167_2306:
	s_or_b32 exec_lo, exec_lo, s11
	s_and_saveexec_b32 s11, s12
	s_cbranch_execz .LBB167_2308
.LBB167_2307:
	v_and_b32_e32 v9, 0xffff, v6
	v_lshlrev_b32_e32 v6, 24, v6
	s_delay_alu instid0(VALU_DEP_2) | instskip(NEXT) | instid1(VALU_DEP_2)
	v_and_b32_e32 v10, 7, v9
	v_and_b32_e32 v6, 0x80000000, v6
	s_delay_alu instid0(VALU_DEP_2) | instskip(NEXT) | instid1(VALU_DEP_1)
	v_clz_i32_u32_e32 v18, v10
	v_min_u32_e32 v18, 32, v18
	s_delay_alu instid0(VALU_DEP_1) | instskip(SKIP_1) | instid1(VALU_DEP_2)
	v_subrev_nc_u32_e32 v19, 28, v18
	v_sub_nc_u32_e32 v18, 29, v18
	v_lshlrev_b32_e32 v19, v19, v9
	v_bfe_u32 v9, v9, 3, 4
	s_delay_alu instid0(VALU_DEP_2) | instskip(NEXT) | instid1(VALU_DEP_2)
	v_and_b32_e32 v19, 7, v19
	v_cmp_eq_u32_e32 vcc_lo, 0, v9
	s_delay_alu instid0(VALU_DEP_2) | instskip(NEXT) | instid1(VALU_DEP_1)
	v_dual_cndmask_b32 v9, v9, v18 :: v_dual_cndmask_b32 v10, v10, v19
	v_lshl_add_u32 v9, v9, 23, 0x3b800000
	s_delay_alu instid0(VALU_DEP_2) | instskip(NEXT) | instid1(VALU_DEP_1)
	v_lshlrev_b32_e32 v10, 20, v10
	v_or3_b32 v6, v6, v9, v10
	s_delay_alu instid0(VALU_DEP_1) | instskip(NEXT) | instid1(VALU_DEP_1)
	v_trunc_f32_e32 v6, v6
	v_mul_f32_e64 v9, 0x2f800000, |v6|
	s_delay_alu instid0(VALU_DEP_1) | instskip(NEXT) | instid1(VALU_DEP_1)
	v_floor_f32_e32 v9, v9
	v_fma_f32 v9, 0xcf800000, v9, |v6|
	v_ashrrev_i32_e32 v6, 31, v6
	s_delay_alu instid0(VALU_DEP_2) | instskip(NEXT) | instid1(VALU_DEP_1)
	v_cvt_u32_f32_e32 v9, v9
	v_xor_b32_e32 v9, v9, v6
	s_delay_alu instid0(VALU_DEP_1)
	v_sub_nc_u32_e32 v9, v9, v6
.LBB167_2308:
	s_or_b32 exec_lo, exec_lo, s11
.LBB167_2309:
	s_mov_b32 s11, -1
.LBB167_2310:
	s_mov_b32 s12, 0
.LBB167_2311:
	s_delay_alu instid0(SALU_CYCLE_1)
	s_and_b32 vcc_lo, exec_lo, s12
	s_cbranch_vccz .LBB167_2342
; %bb.2312:
	v_cmp_lt_i16_e32 vcc_lo, 22, v15
	s_cbranch_vccz .LBB167_2320
; %bb.2313:
	v_cmp_gt_i16_e32 vcc_lo, 24, v15
	s_cbranch_vccnz .LBB167_2323
; %bb.2314:
	v_cmp_lt_i16_e32 vcc_lo, 24, v15
	s_cbranch_vccz .LBB167_2324
; %bb.2315:
	global_load_u8 v6, v[11:12], off
	s_mov_b32 s11, 0
	s_mov_b32 s3, exec_lo
                                        ; implicit-def: $sgpr12
	s_waitcnt vmcnt(0)
	v_cmpx_lt_i16_e32 0x7f, v6
	s_xor_b32 s3, exec_lo, s3
	s_cbranch_execz .LBB167_2336
; %bb.2316:
	v_cmp_ne_u16_e32 vcc_lo, 0x80, v6
	s_mov_b32 s12, 0
	s_and_b32 s11, vcc_lo, exec_lo
	s_or_saveexec_b32 s3, s3
	v_mov_b32_e32 v9, s12
	s_xor_b32 exec_lo, exec_lo, s3
	s_cbranch_execnz .LBB167_2337
.LBB167_2317:
	s_or_b32 exec_lo, exec_lo, s3
	s_and_saveexec_b32 s3, s11
	s_cbranch_execz .LBB167_2319
.LBB167_2318:
	v_and_b32_e32 v9, 0xffff, v6
	v_lshlrev_b32_e32 v6, 24, v6
	s_delay_alu instid0(VALU_DEP_2) | instskip(NEXT) | instid1(VALU_DEP_2)
	v_and_b32_e32 v10, 3, v9
	v_and_b32_e32 v6, 0x80000000, v6
	s_delay_alu instid0(VALU_DEP_2) | instskip(NEXT) | instid1(VALU_DEP_1)
	v_clz_i32_u32_e32 v18, v10
	v_min_u32_e32 v18, 32, v18
	s_delay_alu instid0(VALU_DEP_1) | instskip(SKIP_1) | instid1(VALU_DEP_2)
	v_subrev_nc_u32_e32 v19, 29, v18
	v_sub_nc_u32_e32 v18, 30, v18
	v_lshlrev_b32_e32 v19, v19, v9
	v_bfe_u32 v9, v9, 2, 5
	s_delay_alu instid0(VALU_DEP_2) | instskip(NEXT) | instid1(VALU_DEP_2)
	v_and_b32_e32 v19, 3, v19
	v_cmp_eq_u32_e32 vcc_lo, 0, v9
	s_delay_alu instid0(VALU_DEP_2) | instskip(NEXT) | instid1(VALU_DEP_1)
	v_dual_cndmask_b32 v9, v9, v18 :: v_dual_cndmask_b32 v10, v10, v19
	v_lshl_add_u32 v9, v9, 23, 0x37800000
	s_delay_alu instid0(VALU_DEP_2) | instskip(NEXT) | instid1(VALU_DEP_1)
	v_lshlrev_b32_e32 v10, 21, v10
	v_or3_b32 v6, v6, v9, v10
	s_delay_alu instid0(VALU_DEP_1) | instskip(NEXT) | instid1(VALU_DEP_1)
	v_trunc_f32_e32 v6, v6
	v_mul_f32_e64 v9, 0x2f800000, |v6|
	s_delay_alu instid0(VALU_DEP_1) | instskip(NEXT) | instid1(VALU_DEP_1)
	v_floor_f32_e32 v9, v9
	v_fma_f32 v9, 0xcf800000, v9, |v6|
	v_ashrrev_i32_e32 v6, 31, v6
	s_delay_alu instid0(VALU_DEP_2) | instskip(NEXT) | instid1(VALU_DEP_1)
	v_cvt_u32_f32_e32 v9, v9
	v_xor_b32_e32 v9, v9, v6
	s_delay_alu instid0(VALU_DEP_1)
	v_sub_nc_u32_e32 v9, v9, v6
.LBB167_2319:
	s_or_b32 exec_lo, exec_lo, s3
	s_mov_b32 s3, 0
	s_branch .LBB167_2325
.LBB167_2320:
	s_mov_b32 s3, -1
                                        ; implicit-def: $vgpr9
	s_branch .LBB167_2331
.LBB167_2321:
	s_or_saveexec_b32 s11, s11
	v_mov_b32_e32 v9, s13
	s_xor_b32 exec_lo, exec_lo, s11
	s_cbranch_execz .LBB167_2306
.LBB167_2322:
	v_cmp_ne_u16_e32 vcc_lo, 0, v6
	v_mov_b32_e32 v9, 0
	s_and_not1_b32 s12, s12, exec_lo
	s_and_b32 s13, vcc_lo, exec_lo
	s_delay_alu instid0(SALU_CYCLE_1)
	s_or_b32 s12, s12, s13
	s_or_b32 exec_lo, exec_lo, s11
	s_and_saveexec_b32 s11, s12
	s_cbranch_execnz .LBB167_2307
	s_branch .LBB167_2308
.LBB167_2323:
	s_mov_b32 s3, -1
                                        ; implicit-def: $vgpr9
	s_branch .LBB167_2328
.LBB167_2324:
	s_mov_b32 s3, -1
                                        ; implicit-def: $vgpr9
.LBB167_2325:
	s_delay_alu instid0(SALU_CYCLE_1)
	s_and_b32 vcc_lo, exec_lo, s3
	s_cbranch_vccz .LBB167_2327
; %bb.2326:
	global_load_u8 v6, v[11:12], off
	s_waitcnt vmcnt(0)
	v_lshlrev_b32_e32 v6, 24, v6
	s_delay_alu instid0(VALU_DEP_1) | instskip(NEXT) | instid1(VALU_DEP_1)
	v_and_b32_e32 v9, 0x7f000000, v6
	v_clz_i32_u32_e32 v10, v9
	v_cmp_ne_u32_e32 vcc_lo, 0, v9
	v_add_nc_u32_e32 v19, 0x1000000, v9
	s_delay_alu instid0(VALU_DEP_3) | instskip(NEXT) | instid1(VALU_DEP_1)
	v_min_u32_e32 v10, 32, v10
	v_sub_nc_u32_e64 v10, v10, 4 clamp
	s_delay_alu instid0(VALU_DEP_1) | instskip(SKIP_1) | instid1(VALU_DEP_2)
	v_lshlrev_b32_e32 v18, v10, v9
	v_lshlrev_b32_e32 v10, 23, v10
	v_lshrrev_b32_e32 v18, 4, v18
	s_delay_alu instid0(VALU_DEP_1) | instskip(SKIP_1) | instid1(VALU_DEP_2)
	v_sub_nc_u32_e32 v10, v18, v10
	v_ashrrev_i32_e32 v18, 8, v19
	v_add_nc_u32_e32 v10, 0x3c000000, v10
	s_delay_alu instid0(VALU_DEP_1) | instskip(NEXT) | instid1(VALU_DEP_1)
	v_and_or_b32 v10, 0x7f800000, v18, v10
	v_cndmask_b32_e32 v9, 0, v10, vcc_lo
	s_delay_alu instid0(VALU_DEP_1) | instskip(NEXT) | instid1(VALU_DEP_1)
	v_and_or_b32 v6, 0x80000000, v6, v9
	v_trunc_f32_e32 v6, v6
	s_delay_alu instid0(VALU_DEP_1) | instskip(NEXT) | instid1(VALU_DEP_1)
	v_mul_f32_e64 v9, 0x2f800000, |v6|
	v_floor_f32_e32 v9, v9
	s_delay_alu instid0(VALU_DEP_1) | instskip(SKIP_1) | instid1(VALU_DEP_2)
	v_fma_f32 v9, 0xcf800000, v9, |v6|
	v_ashrrev_i32_e32 v6, 31, v6
	v_cvt_u32_f32_e32 v9, v9
	s_delay_alu instid0(VALU_DEP_1) | instskip(NEXT) | instid1(VALU_DEP_1)
	v_xor_b32_e32 v9, v9, v6
	v_sub_nc_u32_e32 v9, v9, v6
.LBB167_2327:
	s_mov_b32 s3, 0
.LBB167_2328:
	s_delay_alu instid0(SALU_CYCLE_1)
	s_and_not1_b32 vcc_lo, exec_lo, s3
	s_cbranch_vccnz .LBB167_2330
; %bb.2329:
	global_load_u8 v6, v[11:12], off
	s_waitcnt vmcnt(0)
	v_lshlrev_b32_e32 v9, 25, v6
	v_lshlrev_b16 v6, 8, v6
	s_delay_alu instid0(VALU_DEP_2) | instskip(NEXT) | instid1(VALU_DEP_2)
	v_lshrrev_b32_e32 v10, 4, v9
	v_and_or_b32 v18, 0x7f00, v6, 0.5
	v_cmp_gt_u32_e32 vcc_lo, 0x8000000, v9
	v_bfe_i32 v6, v6, 0, 16
	s_delay_alu instid0(VALU_DEP_4) | instskip(NEXT) | instid1(VALU_DEP_4)
	v_or_b32_e32 v10, 0x70000000, v10
	v_add_f32_e32 v18, -0.5, v18
	s_delay_alu instid0(VALU_DEP_2) | instskip(NEXT) | instid1(VALU_DEP_1)
	v_mul_f32_e32 v10, 0x7800000, v10
	v_cndmask_b32_e32 v9, v10, v18, vcc_lo
	s_delay_alu instid0(VALU_DEP_1) | instskip(NEXT) | instid1(VALU_DEP_1)
	v_and_or_b32 v6, 0x80000000, v6, v9
	v_trunc_f32_e32 v6, v6
	s_delay_alu instid0(VALU_DEP_1) | instskip(NEXT) | instid1(VALU_DEP_1)
	v_mul_f32_e64 v9, 0x2f800000, |v6|
	v_floor_f32_e32 v9, v9
	s_delay_alu instid0(VALU_DEP_1) | instskip(SKIP_1) | instid1(VALU_DEP_2)
	v_fma_f32 v9, 0xcf800000, v9, |v6|
	v_ashrrev_i32_e32 v6, 31, v6
	v_cvt_u32_f32_e32 v9, v9
	s_delay_alu instid0(VALU_DEP_1) | instskip(NEXT) | instid1(VALU_DEP_1)
	v_xor_b32_e32 v9, v9, v6
	v_sub_nc_u32_e32 v9, v9, v6
.LBB167_2330:
	s_mov_b32 s3, 0
	s_mov_b32 s11, -1
.LBB167_2331:
	s_and_not1_b32 vcc_lo, exec_lo, s3
	s_mov_b32 s3, 0
	s_cbranch_vccnz .LBB167_2342
; %bb.2332:
	v_cmp_lt_i16_e32 vcc_lo, 14, v15
	s_cbranch_vccz .LBB167_2335
; %bb.2333:
	v_cmp_eq_u16_e32 vcc_lo, 15, v15
	s_cbranch_vccz .LBB167_2338
; %bb.2334:
	global_load_u16 v6, v[11:12], off
	s_mov_b32 s2, 0
	s_mov_b32 s11, -1
	s_waitcnt vmcnt(0)
	v_lshlrev_b32_e32 v6, 16, v6
	s_delay_alu instid0(VALU_DEP_1) | instskip(NEXT) | instid1(VALU_DEP_1)
	v_trunc_f32_e32 v6, v6
	v_mul_f32_e64 v9, 0x2f800000, |v6|
	s_delay_alu instid0(VALU_DEP_1) | instskip(NEXT) | instid1(VALU_DEP_1)
	v_floor_f32_e32 v9, v9
	v_fma_f32 v9, 0xcf800000, v9, |v6|
	v_ashrrev_i32_e32 v6, 31, v6
	s_delay_alu instid0(VALU_DEP_2) | instskip(NEXT) | instid1(VALU_DEP_1)
	v_cvt_u32_f32_e32 v9, v9
	v_xor_b32_e32 v9, v9, v6
	s_delay_alu instid0(VALU_DEP_1)
	v_sub_nc_u32_e32 v9, v9, v6
	s_branch .LBB167_2340
.LBB167_2335:
	s_mov_b32 s3, -1
	s_branch .LBB167_2339
.LBB167_2336:
	s_or_saveexec_b32 s3, s3
	v_mov_b32_e32 v9, s12
	s_xor_b32 exec_lo, exec_lo, s3
	s_cbranch_execz .LBB167_2317
.LBB167_2337:
	v_cmp_ne_u16_e32 vcc_lo, 0, v6
	v_mov_b32_e32 v9, 0
	s_and_not1_b32 s11, s11, exec_lo
	s_and_b32 s12, vcc_lo, exec_lo
	s_delay_alu instid0(SALU_CYCLE_1)
	s_or_b32 s11, s11, s12
	s_or_b32 exec_lo, exec_lo, s3
	s_and_saveexec_b32 s3, s11
	s_cbranch_execnz .LBB167_2318
	s_branch .LBB167_2319
.LBB167_2338:
	s_mov_b32 s2, -1
.LBB167_2339:
                                        ; implicit-def: $vgpr9
.LBB167_2340:
	s_and_b32 vcc_lo, exec_lo, s3
	s_mov_b32 s3, 0
	s_cbranch_vccz .LBB167_2342
; %bb.2341:
	v_cmp_ne_u16_e64 s2, 11, v15
	s_mov_b32 s3, -1
                                        ; implicit-def: $vgpr9
.LBB167_2342:
	s_delay_alu instid0(VALU_DEP_1)
	s_and_b32 vcc_lo, exec_lo, s2
	s_cbranch_vccnz .LBB167_2407
; %bb.2343:
	s_and_not1_b32 vcc_lo, exec_lo, s3
	s_cbranch_vccnz .LBB167_2345
.LBB167_2344:
	global_load_u8 v6, v[11:12], off
	s_mov_b32 s11, -1
	s_waitcnt vmcnt(0)
	v_cmp_ne_u16_e32 vcc_lo, 0, v6
	v_cndmask_b32_e64 v9, 0, 1, vcc_lo
.LBB167_2345:
	s_mov_b32 s2, 0
.LBB167_2346:
	s_delay_alu instid0(SALU_CYCLE_1)
	s_and_b32 vcc_lo, exec_lo, s2
	s_cbranch_vccz .LBB167_2395
; %bb.2347:
	v_cmp_gt_i16_e32 vcc_lo, 5, v15
	s_cbranch_vccnz .LBB167_2352
; %bb.2348:
	v_cmp_gt_i16_e32 vcc_lo, 8, v15
	s_cbranch_vccnz .LBB167_2353
; %bb.2349:
	v_cmp_gt_i16_e32 vcc_lo, 9, v15
	s_cbranch_vccnz .LBB167_2354
; %bb.2350:
	v_cmp_lt_i16_e32 vcc_lo, 9, v15
	s_cbranch_vccz .LBB167_2355
; %bb.2351:
	global_load_b64 v[9:10], v[11:12], off
	s_mov_b32 s2, 0
	s_waitcnt vmcnt(0)
	v_trunc_f64_e32 v[9:10], v[9:10]
	s_delay_alu instid0(VALU_DEP_1) | instskip(NEXT) | instid1(VALU_DEP_1)
	v_ldexp_f64 v[18:19], v[9:10], 0xffffffe0
	v_floor_f64_e32 v[18:19], v[18:19]
	s_delay_alu instid0(VALU_DEP_1) | instskip(NEXT) | instid1(VALU_DEP_1)
	v_fma_f64 v[9:10], 0xc1f00000, v[18:19], v[9:10]
	v_cvt_u32_f64_e32 v9, v[9:10]
	s_branch .LBB167_2356
.LBB167_2352:
	s_mov_b32 s2, -1
                                        ; implicit-def: $vgpr9
	s_branch .LBB167_2374
.LBB167_2353:
	s_mov_b32 s2, -1
                                        ; implicit-def: $vgpr9
	s_branch .LBB167_2362
.LBB167_2354:
	s_mov_b32 s2, -1
                                        ; implicit-def: $vgpr9
	s_branch .LBB167_2359
.LBB167_2355:
	s_mov_b32 s2, -1
                                        ; implicit-def: $vgpr9
.LBB167_2356:
	s_delay_alu instid0(SALU_CYCLE_1)
	s_and_not1_b32 vcc_lo, exec_lo, s2
	s_cbranch_vccnz .LBB167_2358
; %bb.2357:
	global_load_b32 v6, v[11:12], off
	s_waitcnt vmcnt(0)
	v_trunc_f32_e32 v6, v6
	s_delay_alu instid0(VALU_DEP_1) | instskip(NEXT) | instid1(VALU_DEP_1)
	v_mul_f32_e64 v9, 0x2f800000, |v6|
	v_floor_f32_e32 v9, v9
	s_delay_alu instid0(VALU_DEP_1) | instskip(SKIP_1) | instid1(VALU_DEP_2)
	v_fma_f32 v9, 0xcf800000, v9, |v6|
	v_ashrrev_i32_e32 v6, 31, v6
	v_cvt_u32_f32_e32 v9, v9
	s_delay_alu instid0(VALU_DEP_1) | instskip(NEXT) | instid1(VALU_DEP_1)
	v_xor_b32_e32 v9, v9, v6
	v_sub_nc_u32_e32 v9, v9, v6
.LBB167_2358:
	s_mov_b32 s2, 0
.LBB167_2359:
	s_delay_alu instid0(SALU_CYCLE_1)
	s_and_not1_b32 vcc_lo, exec_lo, s2
	s_cbranch_vccnz .LBB167_2361
; %bb.2360:
	global_load_b32 v6, v[11:12], off
	s_waitcnt vmcnt(0)
	v_cvt_f32_f16_e32 v6, v6
	s_delay_alu instid0(VALU_DEP_1)
	v_cvt_i32_f32_e32 v9, v6
.LBB167_2361:
	s_mov_b32 s2, 0
.LBB167_2362:
	s_delay_alu instid0(SALU_CYCLE_1)
	s_and_not1_b32 vcc_lo, exec_lo, s2
	s_cbranch_vccnz .LBB167_2373
; %bb.2363:
	v_cmp_gt_i16_e32 vcc_lo, 6, v15
	s_cbranch_vccnz .LBB167_2366
; %bb.2364:
	v_cmp_lt_i16_e32 vcc_lo, 6, v15
	s_cbranch_vccz .LBB167_2367
; %bb.2365:
	global_load_b64 v[9:10], v[11:12], off
	s_mov_b32 s2, 0
	s_waitcnt vmcnt(0)
	v_trunc_f64_e32 v[9:10], v[9:10]
	s_delay_alu instid0(VALU_DEP_1) | instskip(NEXT) | instid1(VALU_DEP_1)
	v_ldexp_f64 v[18:19], v[9:10], 0xffffffe0
	v_floor_f64_e32 v[18:19], v[18:19]
	s_delay_alu instid0(VALU_DEP_1) | instskip(NEXT) | instid1(VALU_DEP_1)
	v_fma_f64 v[9:10], 0xc1f00000, v[18:19], v[9:10]
	v_cvt_u32_f64_e32 v9, v[9:10]
	s_branch .LBB167_2368
.LBB167_2366:
	s_mov_b32 s2, -1
                                        ; implicit-def: $vgpr9
	s_branch .LBB167_2371
.LBB167_2367:
	s_mov_b32 s2, -1
                                        ; implicit-def: $vgpr9
.LBB167_2368:
	s_delay_alu instid0(SALU_CYCLE_1)
	s_and_not1_b32 vcc_lo, exec_lo, s2
	s_cbranch_vccnz .LBB167_2370
; %bb.2369:
	global_load_b32 v6, v[11:12], off
	s_waitcnt vmcnt(0)
	v_trunc_f32_e32 v6, v6
	s_delay_alu instid0(VALU_DEP_1) | instskip(NEXT) | instid1(VALU_DEP_1)
	v_mul_f32_e64 v9, 0x2f800000, |v6|
	v_floor_f32_e32 v9, v9
	s_delay_alu instid0(VALU_DEP_1) | instskip(SKIP_1) | instid1(VALU_DEP_2)
	v_fma_f32 v9, 0xcf800000, v9, |v6|
	v_ashrrev_i32_e32 v6, 31, v6
	v_cvt_u32_f32_e32 v9, v9
	s_delay_alu instid0(VALU_DEP_1) | instskip(NEXT) | instid1(VALU_DEP_1)
	v_xor_b32_e32 v9, v9, v6
	v_sub_nc_u32_e32 v9, v9, v6
.LBB167_2370:
	s_mov_b32 s2, 0
.LBB167_2371:
	s_delay_alu instid0(SALU_CYCLE_1)
	s_and_not1_b32 vcc_lo, exec_lo, s2
	s_cbranch_vccnz .LBB167_2373
; %bb.2372:
	global_load_u16 v6, v[11:12], off
	s_waitcnt vmcnt(0)
	v_cvt_f32_f16_e32 v6, v6
	s_delay_alu instid0(VALU_DEP_1)
	v_cvt_i32_f32_e32 v9, v6
.LBB167_2373:
	s_mov_b32 s2, 0
.LBB167_2374:
	s_delay_alu instid0(SALU_CYCLE_1)
	s_and_not1_b32 vcc_lo, exec_lo, s2
	s_cbranch_vccnz .LBB167_2394
; %bb.2375:
	v_cmp_gt_i16_e32 vcc_lo, 2, v15
	s_cbranch_vccnz .LBB167_2379
; %bb.2376:
	v_cmp_gt_i16_e32 vcc_lo, 3, v15
	s_cbranch_vccnz .LBB167_2380
; %bb.2377:
	v_cmp_lt_i16_e32 vcc_lo, 3, v15
	s_cbranch_vccz .LBB167_2381
; %bb.2378:
	global_load_b64 v[9:10], v[11:12], off
	s_mov_b32 s2, 0
	s_branch .LBB167_2382
.LBB167_2379:
	s_mov_b32 s2, -1
                                        ; implicit-def: $vgpr9
	s_branch .LBB167_2388
.LBB167_2380:
	s_mov_b32 s2, -1
                                        ; implicit-def: $vgpr9
	s_branch .LBB167_2385
.LBB167_2381:
	s_mov_b32 s2, -1
                                        ; implicit-def: $vgpr9
.LBB167_2382:
	s_delay_alu instid0(SALU_CYCLE_1)
	s_and_not1_b32 vcc_lo, exec_lo, s2
	s_cbranch_vccnz .LBB167_2384
; %bb.2383:
	global_load_b32 v9, v[11:12], off
.LBB167_2384:
	s_mov_b32 s2, 0
.LBB167_2385:
	s_delay_alu instid0(SALU_CYCLE_1)
	s_and_not1_b32 vcc_lo, exec_lo, s2
	s_cbranch_vccnz .LBB167_2387
; %bb.2386:
	global_load_u16 v9, v[11:12], off
.LBB167_2387:
	s_mov_b32 s2, 0
.LBB167_2388:
	s_delay_alu instid0(SALU_CYCLE_1)
	s_and_not1_b32 vcc_lo, exec_lo, s2
	s_cbranch_vccnz .LBB167_2394
; %bb.2389:
	v_cmp_lt_i16_e32 vcc_lo, 0, v15
	s_mov_b32 s2, 0
	s_cbranch_vccz .LBB167_2391
; %bb.2390:
	global_load_u8 v9, v[11:12], off
	s_branch .LBB167_2392
.LBB167_2391:
	s_mov_b32 s2, -1
                                        ; implicit-def: $vgpr9
.LBB167_2392:
	s_delay_alu instid0(SALU_CYCLE_1)
	s_and_not1_b32 vcc_lo, exec_lo, s2
	s_cbranch_vccnz .LBB167_2394
; %bb.2393:
	global_load_u8 v9, v[11:12], off
.LBB167_2394:
	s_mov_b32 s11, -1
.LBB167_2395:
	s_delay_alu instid0(SALU_CYCLE_1)
	s_and_not1_b32 vcc_lo, exec_lo, s11
	s_cbranch_vccnz .LBB167_3049
; %bb.2396:
	v_cmp_gt_i16_e32 vcc_lo, 11, v16
	s_waitcnt vmcnt(0)
	v_add_co_u32 v6, s2, s6, v7
	s_delay_alu instid0(VALU_DEP_1)
	v_add_co_ci_u32_e64 v7, null, s7, 0, s2
	s_mov_b32 s6, 0
	s_cbranch_vccnz .LBB167_2403
; %bb.2397:
	v_cmp_lt_i16_e32 vcc_lo, 25, v16
	s_mov_b32 s3, 0
	s_cbranch_vccz .LBB167_2404
; %bb.2398:
	v_cmp_lt_i16_e32 vcc_lo, 28, v16
	s_cbranch_vccz .LBB167_2405
; %bb.2399:
	v_cmp_lt_i16_e32 vcc_lo, 43, v16
	;; [unrolled: 3-line block ×3, first 2 shown]
	s_cbranch_vccz .LBB167_2409
; %bb.2401:
	v_cmp_eq_u16_e32 vcc_lo, 46, v16
	s_mov_b32 s7, 0
	s_cbranch_vccz .LBB167_2412
; %bb.2402:
	global_load_b32 v10, v[6:7], off
	s_mov_b32 s2, 0
	s_mov_b32 s6, -1
	s_waitcnt vmcnt(0)
	v_lshlrev_b32_e32 v10, 16, v10
	s_delay_alu instid0(VALU_DEP_1)
	v_cvt_f16_f32_e32 v12, v10
	s_branch .LBB167_2414
.LBB167_2403:
	s_mov_b32 s2, -1
                                        ; implicit-def: $vgpr12
	s_branch .LBB167_2480
.LBB167_2404:
	s_mov_b32 s7, -1
	s_mov_b32 s2, 0
                                        ; implicit-def: $vgpr12
	s_branch .LBB167_2443
.LBB167_2405:
	s_mov_b32 s7, -1
	s_mov_b32 s2, 0
                                        ; implicit-def: $vgpr12
	s_branch .LBB167_2424
.LBB167_2406:
	s_mov_b32 s7, -1
	s_mov_b32 s2, 0
                                        ; implicit-def: $vgpr12
	s_branch .LBB167_2419
.LBB167_2407:
	s_cbranch_execnz .LBB167_2410
; %bb.2408:
	s_or_b32 s10, s10, exec_lo
                                        ; implicit-def: $vgpr9
	s_cbranch_execz .LBB167_2344
	s_branch .LBB167_2345
.LBB167_2409:
	s_mov_b32 s7, -1
	s_mov_b32 s2, 0
	s_branch .LBB167_2413
.LBB167_2410:
	s_trap 2
	s_sendmsg_rtn_b32 s0, sendmsg(MSG_RTN_GET_DOORBELL)
	s_mov_b32 ttmp2, m0
	s_waitcnt lgkmcnt(0)
	s_and_b32 s0, s0, 0x3ff
	s_delay_alu instid0(SALU_CYCLE_1) | instskip(NEXT) | instid1(SALU_CYCLE_1)
	s_bitset1_b32 s0, 10
	s_mov_b32 m0, s0
	s_sendmsg sendmsg(MSG_INTERRUPT)
	s_mov_b32 m0, ttmp2
.LBB167_2411:                           ; =>This Inner Loop Header: Depth=1
	s_sethalt 5
	s_branch .LBB167_2411
.LBB167_2412:
	s_mov_b32 s2, -1
.LBB167_2413:
                                        ; implicit-def: $vgpr12
.LBB167_2414:
	s_and_b32 vcc_lo, exec_lo, s7
	s_cbranch_vccz .LBB167_2418
; %bb.2415:
	v_cmp_eq_u16_e32 vcc_lo, 44, v16
	s_cbranch_vccz .LBB167_2417
; %bb.2416:
	global_load_u8 v10, v[6:7], off
	s_mov_b32 s2, 0
	s_mov_b32 s6, -1
	s_waitcnt vmcnt(0)
	v_lshlrev_b32_e32 v11, 23, v10
	v_cmp_ne_u32_e32 vcc_lo, 0xff, v10
	s_delay_alu instid0(VALU_DEP_2) | instskip(NEXT) | instid1(VALU_DEP_1)
	v_cvt_f16_f32_e32 v11, v11
	v_cndmask_b32_e32 v11, 0x7e00, v11, vcc_lo
	v_cmp_ne_u32_e32 vcc_lo, 0, v10
	s_delay_alu instid0(VALU_DEP_2)
	v_cndmask_b32_e32 v12, 0, v11, vcc_lo
	s_branch .LBB167_2418
.LBB167_2417:
	s_mov_b32 s2, -1
                                        ; implicit-def: $vgpr12
.LBB167_2418:
	s_mov_b32 s7, 0
.LBB167_2419:
	s_delay_alu instid0(SALU_CYCLE_1)
	s_and_b32 vcc_lo, exec_lo, s7
	s_cbranch_vccz .LBB167_2423
; %bb.2420:
	v_cmp_eq_u16_e32 vcc_lo, 29, v16
	s_cbranch_vccz .LBB167_2422
; %bb.2421:
	global_load_b64 v[10:11], v[6:7], off
	s_mov_b32 s2, 0
	s_mov_b32 s6, -1
	s_mov_b32 s7, 0
	s_waitcnt vmcnt(0)
	v_clz_i32_u32_e32 v12, v11
	s_delay_alu instid0(VALU_DEP_1) | instskip(NEXT) | instid1(VALU_DEP_1)
	v_min_u32_e32 v12, 32, v12
	v_lshlrev_b64 v[10:11], v12, v[10:11]
	s_delay_alu instid0(VALU_DEP_1) | instskip(NEXT) | instid1(VALU_DEP_1)
	v_min_u32_e32 v10, 1, v10
	v_or_b32_e32 v10, v11, v10
	v_sub_nc_u32_e32 v11, 32, v12
	s_delay_alu instid0(VALU_DEP_2) | instskip(NEXT) | instid1(VALU_DEP_1)
	v_cvt_f32_u32_e32 v10, v10
	v_ldexp_f32 v10, v10, v11
	s_delay_alu instid0(VALU_DEP_1)
	v_cvt_f16_f32_e32 v12, v10
	s_branch .LBB167_2424
.LBB167_2422:
	s_mov_b32 s2, -1
                                        ; implicit-def: $vgpr12
.LBB167_2423:
	s_mov_b32 s7, 0
.LBB167_2424:
	s_delay_alu instid0(SALU_CYCLE_1)
	s_and_b32 vcc_lo, exec_lo, s7
	s_cbranch_vccz .LBB167_2442
; %bb.2425:
	v_cmp_gt_i16_e32 vcc_lo, 27, v16
	s_cbranch_vccnz .LBB167_2428
; %bb.2426:
	v_cmp_lt_i16_e32 vcc_lo, 27, v16
	s_cbranch_vccz .LBB167_2429
; %bb.2427:
	global_load_b32 v10, v[6:7], off
	s_mov_b32 s6, 0
	s_waitcnt vmcnt(0)
	v_cvt_f32_u32_e32 v10, v10
	s_delay_alu instid0(VALU_DEP_1)
	v_cvt_f16_f32_e32 v12, v10
	s_branch .LBB167_2430
.LBB167_2428:
	s_mov_b32 s6, -1
                                        ; implicit-def: $vgpr12
	s_branch .LBB167_2433
.LBB167_2429:
	s_mov_b32 s6, -1
                                        ; implicit-def: $vgpr12
.LBB167_2430:
	s_delay_alu instid0(SALU_CYCLE_1)
	s_and_not1_b32 vcc_lo, exec_lo, s6
	s_cbranch_vccnz .LBB167_2432
; %bb.2431:
	global_load_u16 v10, v[6:7], off
	s_waitcnt vmcnt(0)
	v_cvt_f16_u16_e32 v12, v10
.LBB167_2432:
	s_mov_b32 s6, 0
.LBB167_2433:
	s_delay_alu instid0(SALU_CYCLE_1)
	s_and_not1_b32 vcc_lo, exec_lo, s6
	s_cbranch_vccnz .LBB167_2441
; %bb.2434:
	global_load_u8 v10, v[6:7], off
	s_mov_b32 s6, 0
	s_mov_b32 s11, exec_lo
                                        ; implicit-def: $sgpr7
	s_waitcnt vmcnt(0)
	v_cmpx_lt_i16_e32 0x7f, v10
	s_xor_b32 s11, exec_lo, s11
	s_cbranch_execz .LBB167_2455
; %bb.2435:
	s_mov_b32 s6, -1
	s_mov_b32 s12, exec_lo
                                        ; implicit-def: $sgpr7
	v_cmpx_eq_u16_e32 0x80, v10
; %bb.2436:
	s_movk_i32 s7, 0x7e00
	s_xor_b32 s6, exec_lo, -1
; %bb.2437:
	s_or_b32 exec_lo, exec_lo, s12
	s_delay_alu instid0(SALU_CYCLE_1)
	s_and_b32 s6, s6, exec_lo
	s_or_saveexec_b32 s11, s11
	v_mov_b32_e32 v12, s7
	s_xor_b32 exec_lo, exec_lo, s11
	s_cbranch_execnz .LBB167_2456
.LBB167_2438:
	s_or_b32 exec_lo, exec_lo, s11
	s_and_saveexec_b32 s7, s6
	s_cbranch_execz .LBB167_2440
.LBB167_2439:
	v_and_b32_e32 v11, 0xffff, v10
	v_lshlrev_b32_e32 v10, 24, v10
	s_delay_alu instid0(VALU_DEP_2) | instskip(NEXT) | instid1(VALU_DEP_2)
	v_and_b32_e32 v12, 7, v11
	v_and_b32_e32 v10, 0x80000000, v10
	s_delay_alu instid0(VALU_DEP_2) | instskip(NEXT) | instid1(VALU_DEP_1)
	v_clz_i32_u32_e32 v18, v12
	v_min_u32_e32 v18, 32, v18
	s_delay_alu instid0(VALU_DEP_1) | instskip(SKIP_1) | instid1(VALU_DEP_2)
	v_subrev_nc_u32_e32 v19, 28, v18
	v_sub_nc_u32_e32 v18, 29, v18
	v_lshlrev_b32_e32 v19, v19, v11
	v_bfe_u32 v11, v11, 3, 4
	s_delay_alu instid0(VALU_DEP_2) | instskip(NEXT) | instid1(VALU_DEP_2)
	v_and_b32_e32 v19, 7, v19
	v_cmp_eq_u32_e32 vcc_lo, 0, v11
	s_delay_alu instid0(VALU_DEP_2) | instskip(NEXT) | instid1(VALU_DEP_1)
	v_dual_cndmask_b32 v11, v11, v18 :: v_dual_cndmask_b32 v12, v12, v19
	v_lshl_add_u32 v11, v11, 23, 0x3b800000
	s_delay_alu instid0(VALU_DEP_2) | instskip(NEXT) | instid1(VALU_DEP_1)
	v_lshlrev_b32_e32 v12, 20, v12
	v_or3_b32 v10, v10, v11, v12
	s_delay_alu instid0(VALU_DEP_1)
	v_cvt_f16_f32_e32 v12, v10
.LBB167_2440:
	s_or_b32 exec_lo, exec_lo, s7
.LBB167_2441:
	s_mov_b32 s6, -1
.LBB167_2442:
	s_mov_b32 s7, 0
.LBB167_2443:
	s_delay_alu instid0(SALU_CYCLE_1)
	s_and_b32 vcc_lo, exec_lo, s7
	s_cbranch_vccz .LBB167_2476
; %bb.2444:
	v_cmp_lt_i16_e32 vcc_lo, 22, v16
	s_cbranch_vccz .LBB167_2454
; %bb.2445:
	v_cmp_gt_i16_e32 vcc_lo, 24, v16
	s_cbranch_vccnz .LBB167_2457
; %bb.2446:
	v_cmp_lt_i16_e32 vcc_lo, 24, v16
	s_cbranch_vccz .LBB167_2458
; %bb.2447:
	global_load_u8 v10, v[6:7], off
	s_mov_b32 s7, exec_lo
                                        ; implicit-def: $sgpr6
	s_waitcnt vmcnt(0)
	v_cmpx_lt_i16_e32 0x7f, v10
	s_xor_b32 s7, exec_lo, s7
	s_cbranch_execz .LBB167_2470
; %bb.2448:
	s_mov_b32 s3, -1
	s_mov_b32 s11, exec_lo
                                        ; implicit-def: $sgpr6
	v_cmpx_eq_u16_e32 0x80, v10
; %bb.2449:
	s_movk_i32 s6, 0x7e00
	s_xor_b32 s3, exec_lo, -1
; %bb.2450:
	s_or_b32 exec_lo, exec_lo, s11
	s_delay_alu instid0(SALU_CYCLE_1)
	s_and_b32 s3, s3, exec_lo
	s_or_saveexec_b32 s7, s7
	v_mov_b32_e32 v12, s6
	s_xor_b32 exec_lo, exec_lo, s7
	s_cbranch_execnz .LBB167_2471
.LBB167_2451:
	s_or_b32 exec_lo, exec_lo, s7
	s_and_saveexec_b32 s6, s3
	s_cbranch_execz .LBB167_2453
.LBB167_2452:
	v_and_b32_e32 v11, 0xffff, v10
	v_lshlrev_b32_e32 v10, 24, v10
	s_delay_alu instid0(VALU_DEP_2) | instskip(NEXT) | instid1(VALU_DEP_2)
	v_and_b32_e32 v12, 3, v11
	v_and_b32_e32 v10, 0x80000000, v10
	s_delay_alu instid0(VALU_DEP_2) | instskip(NEXT) | instid1(VALU_DEP_1)
	v_clz_i32_u32_e32 v18, v12
	v_min_u32_e32 v18, 32, v18
	s_delay_alu instid0(VALU_DEP_1) | instskip(SKIP_1) | instid1(VALU_DEP_2)
	v_subrev_nc_u32_e32 v19, 29, v18
	v_sub_nc_u32_e32 v18, 30, v18
	v_lshlrev_b32_e32 v19, v19, v11
	v_bfe_u32 v11, v11, 2, 5
	s_delay_alu instid0(VALU_DEP_2) | instskip(NEXT) | instid1(VALU_DEP_2)
	v_and_b32_e32 v19, 3, v19
	v_cmp_eq_u32_e32 vcc_lo, 0, v11
	s_delay_alu instid0(VALU_DEP_2) | instskip(NEXT) | instid1(VALU_DEP_1)
	v_dual_cndmask_b32 v11, v11, v18 :: v_dual_cndmask_b32 v12, v12, v19
	v_lshl_add_u32 v11, v11, 23, 0x37800000
	s_delay_alu instid0(VALU_DEP_2) | instskip(NEXT) | instid1(VALU_DEP_1)
	v_lshlrev_b32_e32 v12, 21, v12
	v_or3_b32 v10, v10, v11, v12
	s_delay_alu instid0(VALU_DEP_1)
	v_cvt_f16_f32_e32 v12, v10
.LBB167_2453:
	s_or_b32 exec_lo, exec_lo, s6
	s_mov_b32 s3, 0
	s_branch .LBB167_2459
.LBB167_2454:
	s_mov_b32 s3, -1
                                        ; implicit-def: $vgpr12
	s_branch .LBB167_2465
.LBB167_2455:
	s_or_saveexec_b32 s11, s11
	v_mov_b32_e32 v12, s7
	s_xor_b32 exec_lo, exec_lo, s11
	s_cbranch_execz .LBB167_2438
.LBB167_2456:
	v_cmp_ne_u16_e32 vcc_lo, 0, v10
	v_mov_b32_e32 v12, v10
	s_and_not1_b32 s6, s6, exec_lo
	s_and_b32 s7, vcc_lo, exec_lo
	s_delay_alu instid0(SALU_CYCLE_1)
	s_or_b32 s6, s6, s7
	s_or_b32 exec_lo, exec_lo, s11
	s_and_saveexec_b32 s7, s6
	s_cbranch_execnz .LBB167_2439
	s_branch .LBB167_2440
.LBB167_2457:
	s_mov_b32 s3, -1
                                        ; implicit-def: $vgpr12
	s_branch .LBB167_2462
.LBB167_2458:
	s_mov_b32 s3, -1
                                        ; implicit-def: $vgpr12
.LBB167_2459:
	s_delay_alu instid0(SALU_CYCLE_1)
	s_and_b32 vcc_lo, exec_lo, s3
	s_cbranch_vccz .LBB167_2461
; %bb.2460:
	global_load_u8 v10, v[6:7], off
	s_waitcnt vmcnt(0)
	v_lshlrev_b32_e32 v10, 24, v10
	s_delay_alu instid0(VALU_DEP_1) | instskip(NEXT) | instid1(VALU_DEP_1)
	v_and_b32_e32 v11, 0x7f000000, v10
	v_clz_i32_u32_e32 v12, v11
	v_add_nc_u32_e32 v19, 0x1000000, v11
	v_cmp_ne_u32_e32 vcc_lo, 0, v11
	s_delay_alu instid0(VALU_DEP_3) | instskip(NEXT) | instid1(VALU_DEP_1)
	v_min_u32_e32 v12, 32, v12
	v_sub_nc_u32_e64 v12, v12, 4 clamp
	s_delay_alu instid0(VALU_DEP_1) | instskip(SKIP_1) | instid1(VALU_DEP_2)
	v_lshlrev_b32_e32 v18, v12, v11
	v_lshlrev_b32_e32 v12, 23, v12
	v_lshrrev_b32_e32 v18, 4, v18
	s_delay_alu instid0(VALU_DEP_1) | instskip(SKIP_1) | instid1(VALU_DEP_2)
	v_sub_nc_u32_e32 v12, v18, v12
	v_ashrrev_i32_e32 v18, 8, v19
	v_add_nc_u32_e32 v12, 0x3c000000, v12
	s_delay_alu instid0(VALU_DEP_1) | instskip(NEXT) | instid1(VALU_DEP_1)
	v_and_or_b32 v12, 0x7f800000, v18, v12
	v_cndmask_b32_e32 v11, 0, v12, vcc_lo
	s_delay_alu instid0(VALU_DEP_1) | instskip(NEXT) | instid1(VALU_DEP_1)
	v_and_or_b32 v10, 0x80000000, v10, v11
	v_cvt_f16_f32_e32 v12, v10
.LBB167_2461:
	s_mov_b32 s3, 0
.LBB167_2462:
	s_delay_alu instid0(SALU_CYCLE_1)
	s_and_not1_b32 vcc_lo, exec_lo, s3
	s_cbranch_vccnz .LBB167_2464
; %bb.2463:
	global_load_u8 v10, v[6:7], off
	s_waitcnt vmcnt(0)
	v_lshlrev_b32_e32 v11, 25, v10
	v_lshlrev_b16 v10, 8, v10
	s_delay_alu instid0(VALU_DEP_2) | instskip(NEXT) | instid1(VALU_DEP_2)
	v_lshrrev_b32_e32 v12, 4, v11
	v_and_or_b32 v18, 0x7f00, v10, 0.5
	v_bfe_i32 v10, v10, 0, 16
	s_delay_alu instid0(VALU_DEP_3) | instskip(NEXT) | instid1(VALU_DEP_3)
	v_or_b32_e32 v12, 0x70000000, v12
	v_add_f32_e32 v18, -0.5, v18
	s_delay_alu instid0(VALU_DEP_2) | instskip(SKIP_1) | instid1(VALU_DEP_2)
	v_mul_f32_e32 v12, 0x7800000, v12
	v_cmp_gt_u32_e32 vcc_lo, 0x8000000, v11
	v_cndmask_b32_e32 v11, v12, v18, vcc_lo
	s_delay_alu instid0(VALU_DEP_1) | instskip(NEXT) | instid1(VALU_DEP_1)
	v_and_or_b32 v10, 0x80000000, v10, v11
	v_cvt_f16_f32_e32 v12, v10
.LBB167_2464:
	s_mov_b32 s3, 0
	s_mov_b32 s6, -1
.LBB167_2465:
	s_and_not1_b32 vcc_lo, exec_lo, s3
	s_mov_b32 s3, 0
	s_cbranch_vccnz .LBB167_2476
; %bb.2466:
	v_cmp_lt_i16_e32 vcc_lo, 14, v16
	s_cbranch_vccz .LBB167_2469
; %bb.2467:
	v_cmp_eq_u16_e32 vcc_lo, 15, v16
	s_cbranch_vccz .LBB167_2472
; %bb.2468:
	global_load_u16 v10, v[6:7], off
	s_mov_b32 s2, 0
	s_mov_b32 s6, -1
	s_waitcnt vmcnt(0)
	v_lshlrev_b32_e32 v10, 16, v10
	s_delay_alu instid0(VALU_DEP_1)
	v_cvt_f16_f32_e32 v12, v10
	s_branch .LBB167_2474
.LBB167_2469:
	s_mov_b32 s3, -1
	s_branch .LBB167_2473
.LBB167_2470:
	s_or_saveexec_b32 s7, s7
	v_mov_b32_e32 v12, s6
	s_xor_b32 exec_lo, exec_lo, s7
	s_cbranch_execz .LBB167_2451
.LBB167_2471:
	v_cmp_ne_u16_e32 vcc_lo, 0, v10
	v_mov_b32_e32 v12, v10
	s_and_not1_b32 s3, s3, exec_lo
	s_and_b32 s6, vcc_lo, exec_lo
	s_delay_alu instid0(SALU_CYCLE_1)
	s_or_b32 s3, s3, s6
	s_or_b32 exec_lo, exec_lo, s7
	s_and_saveexec_b32 s6, s3
	s_cbranch_execnz .LBB167_2452
	s_branch .LBB167_2453
.LBB167_2472:
	s_mov_b32 s2, -1
.LBB167_2473:
                                        ; implicit-def: $vgpr12
.LBB167_2474:
	s_and_b32 vcc_lo, exec_lo, s3
	s_mov_b32 s3, 0
	s_cbranch_vccz .LBB167_2476
; %bb.2475:
	v_cmp_ne_u16_e64 s2, 11, v16
	s_mov_b32 s3, -1
                                        ; implicit-def: $vgpr12
.LBB167_2476:
	s_delay_alu instid0(VALU_DEP_1)
	s_and_b32 vcc_lo, exec_lo, s2
	s_cbranch_vccnz .LBB167_2541
; %bb.2477:
	s_and_not1_b32 vcc_lo, exec_lo, s3
	s_cbranch_vccnz .LBB167_2479
.LBB167_2478:
	global_load_u8 v10, v[6:7], off
	s_mov_b32 s6, -1
	s_waitcnt vmcnt(0)
	v_cmp_ne_u16_e32 vcc_lo, 0, v10
	v_cndmask_b32_e64 v12, 0, 0x3c00, vcc_lo
.LBB167_2479:
	s_mov_b32 s2, 0
.LBB167_2480:
	s_delay_alu instid0(SALU_CYCLE_1)
	s_and_b32 vcc_lo, exec_lo, s2
	s_cbranch_vccz .LBB167_2529
; %bb.2481:
	v_cmp_gt_i16_e32 vcc_lo, 5, v16
	s_cbranch_vccnz .LBB167_2486
; %bb.2482:
	v_cmp_gt_i16_e32 vcc_lo, 8, v16
	s_cbranch_vccnz .LBB167_2487
	;; [unrolled: 3-line block ×3, first 2 shown]
; %bb.2484:
	v_cmp_lt_i16_e32 vcc_lo, 9, v16
	s_cbranch_vccz .LBB167_2489
; %bb.2485:
	global_load_b64 v[10:11], v[6:7], off
	s_mov_b32 s2, 0
	s_waitcnt vmcnt(0)
	v_cvt_f32_f64_e32 v10, v[10:11]
	s_delay_alu instid0(VALU_DEP_1)
	v_cvt_f16_f32_e32 v12, v10
	s_branch .LBB167_2490
.LBB167_2486:
	s_mov_b32 s2, -1
                                        ; implicit-def: $vgpr12
	s_branch .LBB167_2508
.LBB167_2487:
	s_mov_b32 s2, -1
                                        ; implicit-def: $vgpr12
	s_branch .LBB167_2496
.LBB167_2488:
	s_mov_b32 s2, -1
                                        ; implicit-def: $vgpr12
	s_branch .LBB167_2493
.LBB167_2489:
	s_mov_b32 s2, -1
                                        ; implicit-def: $vgpr12
.LBB167_2490:
	s_delay_alu instid0(SALU_CYCLE_1)
	s_and_not1_b32 vcc_lo, exec_lo, s2
	s_cbranch_vccnz .LBB167_2492
; %bb.2491:
	global_load_b32 v10, v[6:7], off
	s_waitcnt vmcnt(0)
	v_cvt_f16_f32_e32 v12, v10
.LBB167_2492:
	s_mov_b32 s2, 0
.LBB167_2493:
	s_delay_alu instid0(SALU_CYCLE_1)
	s_and_not1_b32 vcc_lo, exec_lo, s2
	s_cbranch_vccnz .LBB167_2495
; %bb.2494:
	global_load_b32 v12, v[6:7], off
.LBB167_2495:
	s_mov_b32 s2, 0
.LBB167_2496:
	s_delay_alu instid0(SALU_CYCLE_1)
	s_and_not1_b32 vcc_lo, exec_lo, s2
	s_cbranch_vccnz .LBB167_2507
; %bb.2497:
	v_cmp_gt_i16_e32 vcc_lo, 6, v16
	s_cbranch_vccnz .LBB167_2500
; %bb.2498:
	v_cmp_lt_i16_e32 vcc_lo, 6, v16
	s_cbranch_vccz .LBB167_2501
; %bb.2499:
	global_load_b64 v[10:11], v[6:7], off
	s_mov_b32 s2, 0
	s_waitcnt vmcnt(0)
	v_cvt_f32_f64_e32 v10, v[10:11]
	s_delay_alu instid0(VALU_DEP_1)
	v_cvt_f16_f32_e32 v12, v10
	s_branch .LBB167_2502
.LBB167_2500:
	s_mov_b32 s2, -1
                                        ; implicit-def: $vgpr12
	s_branch .LBB167_2505
.LBB167_2501:
	s_mov_b32 s2, -1
                                        ; implicit-def: $vgpr12
.LBB167_2502:
	s_delay_alu instid0(SALU_CYCLE_1)
	s_and_not1_b32 vcc_lo, exec_lo, s2
	s_cbranch_vccnz .LBB167_2504
; %bb.2503:
	global_load_b32 v10, v[6:7], off
	s_waitcnt vmcnt(0)
	v_cvt_f16_f32_e32 v12, v10
.LBB167_2504:
	s_mov_b32 s2, 0
.LBB167_2505:
	s_delay_alu instid0(SALU_CYCLE_1)
	s_and_not1_b32 vcc_lo, exec_lo, s2
	s_cbranch_vccnz .LBB167_2507
; %bb.2506:
	global_load_u16 v12, v[6:7], off
.LBB167_2507:
	s_mov_b32 s2, 0
.LBB167_2508:
	s_delay_alu instid0(SALU_CYCLE_1)
	s_and_not1_b32 vcc_lo, exec_lo, s2
	s_cbranch_vccnz .LBB167_2528
; %bb.2509:
	v_cmp_gt_i16_e32 vcc_lo, 2, v16
	s_cbranch_vccnz .LBB167_2513
; %bb.2510:
	v_cmp_gt_i16_e32 vcc_lo, 3, v16
	s_cbranch_vccnz .LBB167_2514
; %bb.2511:
	v_cmp_lt_i16_e32 vcc_lo, 3, v16
	s_cbranch_vccz .LBB167_2515
; %bb.2512:
	global_load_b64 v[10:11], v[6:7], off
	s_mov_b32 s2, 0
	s_waitcnt vmcnt(0)
	v_xor_b32_e32 v12, v10, v11
	v_cls_i32_e32 v18, v11
	s_delay_alu instid0(VALU_DEP_2) | instskip(NEXT) | instid1(VALU_DEP_2)
	v_ashrrev_i32_e32 v12, 31, v12
	v_add_nc_u32_e32 v18, -1, v18
	s_delay_alu instid0(VALU_DEP_2) | instskip(NEXT) | instid1(VALU_DEP_1)
	v_add_nc_u32_e32 v12, 32, v12
	v_min_u32_e32 v12, v18, v12
	s_delay_alu instid0(VALU_DEP_1) | instskip(NEXT) | instid1(VALU_DEP_1)
	v_lshlrev_b64 v[10:11], v12, v[10:11]
	v_min_u32_e32 v10, 1, v10
	s_delay_alu instid0(VALU_DEP_1) | instskip(SKIP_1) | instid1(VALU_DEP_2)
	v_or_b32_e32 v10, v11, v10
	v_sub_nc_u32_e32 v11, 32, v12
	v_cvt_f32_i32_e32 v10, v10
	s_delay_alu instid0(VALU_DEP_1) | instskip(NEXT) | instid1(VALU_DEP_1)
	v_ldexp_f32 v10, v10, v11
	v_cvt_f16_f32_e32 v12, v10
	s_branch .LBB167_2516
.LBB167_2513:
	s_mov_b32 s2, -1
                                        ; implicit-def: $vgpr12
	s_branch .LBB167_2522
.LBB167_2514:
	s_mov_b32 s2, -1
                                        ; implicit-def: $vgpr12
	s_branch .LBB167_2519
.LBB167_2515:
	s_mov_b32 s2, -1
                                        ; implicit-def: $vgpr12
.LBB167_2516:
	s_delay_alu instid0(SALU_CYCLE_1)
	s_and_not1_b32 vcc_lo, exec_lo, s2
	s_cbranch_vccnz .LBB167_2518
; %bb.2517:
	global_load_b32 v10, v[6:7], off
	s_waitcnt vmcnt(0)
	v_cvt_f32_i32_e32 v10, v10
	s_delay_alu instid0(VALU_DEP_1)
	v_cvt_f16_f32_e32 v12, v10
.LBB167_2518:
	s_mov_b32 s2, 0
.LBB167_2519:
	s_delay_alu instid0(SALU_CYCLE_1)
	s_and_not1_b32 vcc_lo, exec_lo, s2
	s_cbranch_vccnz .LBB167_2521
; %bb.2520:
	global_load_u16 v10, v[6:7], off
	s_waitcnt vmcnt(0)
	v_cvt_f16_i16_e32 v12, v10
.LBB167_2521:
	s_mov_b32 s2, 0
.LBB167_2522:
	s_delay_alu instid0(SALU_CYCLE_1)
	s_and_not1_b32 vcc_lo, exec_lo, s2
	s_cbranch_vccnz .LBB167_2528
; %bb.2523:
	v_cmp_lt_i16_e32 vcc_lo, 0, v16
	s_mov_b32 s2, 0
	s_cbranch_vccz .LBB167_2525
; %bb.2524:
	global_load_i8 v10, v[6:7], off
	s_waitcnt vmcnt(0)
	v_cvt_f16_i16_e32 v12, v10
	s_branch .LBB167_2526
.LBB167_2525:
	s_mov_b32 s2, -1
                                        ; implicit-def: $vgpr12
.LBB167_2526:
	s_delay_alu instid0(SALU_CYCLE_1)
	s_and_not1_b32 vcc_lo, exec_lo, s2
	s_cbranch_vccnz .LBB167_2528
; %bb.2527:
	global_load_u8 v6, v[6:7], off
	s_waitcnt vmcnt(0)
	v_cvt_f16_u16_e32 v12, v6
.LBB167_2528:
	s_mov_b32 s6, -1
.LBB167_2529:
	s_delay_alu instid0(SALU_CYCLE_1)
	s_and_not1_b32 vcc_lo, exec_lo, s6
	s_cbranch_vccnz .LBB167_3049
; %bb.2530:
	v_cmp_gt_i16_e32 vcc_lo, 11, v15
	v_add_co_u32 v10, s0, s0, v4
	s_delay_alu instid0(VALU_DEP_1)
	v_add_co_ci_u32_e64 v11, null, s1, 0, s0
	s_mov_b32 s2, 0
	s_cbranch_vccnz .LBB167_2537
; %bb.2531:
	v_cmp_lt_i16_e32 vcc_lo, 25, v15
	s_mov_b32 s1, 0
	s_cbranch_vccz .LBB167_2538
; %bb.2532:
	v_cmp_lt_i16_e32 vcc_lo, 28, v15
	s_cbranch_vccz .LBB167_2539
; %bb.2533:
	v_cmp_lt_i16_e32 vcc_lo, 43, v15
	;; [unrolled: 3-line block ×3, first 2 shown]
	s_cbranch_vccz .LBB167_2543
; %bb.2535:
	v_cmp_eq_u16_e32 vcc_lo, 46, v15
	s_mov_b32 s3, 0
	s_cbranch_vccz .LBB167_2546
; %bb.2536:
	global_load_b32 v4, v[10:11], off
	s_mov_b32 s0, 0
	s_mov_b32 s2, -1
	s_waitcnt vmcnt(0)
	v_lshlrev_b32_e32 v4, 16, v4
	s_delay_alu instid0(VALU_DEP_1) | instskip(NEXT) | instid1(VALU_DEP_1)
	v_trunc_f32_e32 v4, v4
	v_mul_f32_e64 v6, 0x2f800000, |v4|
	s_delay_alu instid0(VALU_DEP_1) | instskip(NEXT) | instid1(VALU_DEP_1)
	v_floor_f32_e32 v6, v6
	v_fma_f32 v6, 0xcf800000, v6, |v4|
	v_ashrrev_i32_e32 v4, 31, v4
	s_delay_alu instid0(VALU_DEP_2) | instskip(NEXT) | instid1(VALU_DEP_1)
	v_cvt_u32_f32_e32 v6, v6
	v_xor_b32_e32 v6, v6, v4
	s_delay_alu instid0(VALU_DEP_1)
	v_sub_nc_u32_e32 v6, v6, v4
	s_branch .LBB167_2548
.LBB167_2537:
	s_mov_b32 s0, -1
                                        ; implicit-def: $vgpr6
	s_branch .LBB167_2610
.LBB167_2538:
	s_mov_b32 s3, -1
	s_mov_b32 s0, 0
                                        ; implicit-def: $vgpr6
	s_branch .LBB167_2575
.LBB167_2539:
	s_mov_b32 s3, -1
	s_mov_b32 s0, 0
                                        ; implicit-def: $vgpr6
	s_branch .LBB167_2558
.LBB167_2540:
	s_mov_b32 s3, -1
	s_mov_b32 s0, 0
                                        ; implicit-def: $vgpr6
	s_branch .LBB167_2553
.LBB167_2541:
	s_cbranch_execnz .LBB167_2544
; %bb.2542:
	s_or_b32 s10, s10, exec_lo
                                        ; implicit-def: $vgpr12
	s_cbranch_execz .LBB167_2478
	s_branch .LBB167_2479
.LBB167_2543:
	s_mov_b32 s3, -1
	s_mov_b32 s0, 0
	s_branch .LBB167_2547
.LBB167_2544:
	s_trap 2
	s_sendmsg_rtn_b32 s0, sendmsg(MSG_RTN_GET_DOORBELL)
	s_mov_b32 ttmp2, m0
	s_waitcnt lgkmcnt(0)
	s_and_b32 s0, s0, 0x3ff
	s_delay_alu instid0(SALU_CYCLE_1) | instskip(NEXT) | instid1(SALU_CYCLE_1)
	s_bitset1_b32 s0, 10
	s_mov_b32 m0, s0
	s_sendmsg sendmsg(MSG_INTERRUPT)
	s_mov_b32 m0, ttmp2
.LBB167_2545:                           ; =>This Inner Loop Header: Depth=1
	s_sethalt 5
	s_branch .LBB167_2545
.LBB167_2546:
	s_mov_b32 s0, -1
.LBB167_2547:
                                        ; implicit-def: $vgpr6
.LBB167_2548:
	s_and_b32 vcc_lo, exec_lo, s3
	s_cbranch_vccz .LBB167_2552
; %bb.2549:
	v_cmp_eq_u16_e32 vcc_lo, 44, v15
	s_cbranch_vccz .LBB167_2551
; %bb.2550:
	global_load_u8 v4, v[10:11], off
	s_mov_b32 s0, 0
	s_mov_b32 s2, -1
	s_waitcnt vmcnt(0)
	v_lshlrev_b32_e32 v6, 23, v4
	v_cmp_ne_u32_e32 vcc_lo, 0, v4
	s_delay_alu instid0(VALU_DEP_2) | instskip(NEXT) | instid1(VALU_DEP_1)
	v_trunc_f32_e32 v6, v6
	v_mul_f32_e64 v7, 0x2f800000, |v6|
	s_delay_alu instid0(VALU_DEP_1) | instskip(NEXT) | instid1(VALU_DEP_1)
	v_floor_f32_e32 v7, v7
	v_fma_f32 v7, 0xcf800000, v7, |v6|
	v_ashrrev_i32_e32 v6, 31, v6
	s_delay_alu instid0(VALU_DEP_2) | instskip(NEXT) | instid1(VALU_DEP_1)
	v_cvt_u32_f32_e32 v7, v7
	v_xor_b32_e32 v7, v7, v6
	s_delay_alu instid0(VALU_DEP_1) | instskip(NEXT) | instid1(VALU_DEP_1)
	v_sub_nc_u32_e32 v6, v7, v6
	v_cndmask_b32_e32 v6, 0, v6, vcc_lo
	s_branch .LBB167_2552
.LBB167_2551:
	s_mov_b32 s0, -1
                                        ; implicit-def: $vgpr6
.LBB167_2552:
	s_mov_b32 s3, 0
.LBB167_2553:
	s_delay_alu instid0(SALU_CYCLE_1)
	s_and_b32 vcc_lo, exec_lo, s3
	s_cbranch_vccz .LBB167_2557
; %bb.2554:
	v_cmp_eq_u16_e32 vcc_lo, 29, v15
	s_cbranch_vccz .LBB167_2556
; %bb.2555:
	global_load_b64 v[6:7], v[10:11], off
	s_mov_b32 s0, 0
	s_mov_b32 s2, -1
	s_branch .LBB167_2557
.LBB167_2556:
	s_mov_b32 s0, -1
                                        ; implicit-def: $vgpr6
.LBB167_2557:
	s_mov_b32 s3, 0
.LBB167_2558:
	s_delay_alu instid0(SALU_CYCLE_1)
	s_and_b32 vcc_lo, exec_lo, s3
	s_cbranch_vccz .LBB167_2574
; %bb.2559:
	v_cmp_gt_i16_e32 vcc_lo, 27, v15
	s_cbranch_vccnz .LBB167_2562
; %bb.2560:
	v_cmp_lt_i16_e32 vcc_lo, 27, v15
	s_cbranch_vccz .LBB167_2563
; %bb.2561:
	global_load_b32 v6, v[10:11], off
	s_mov_b32 s2, 0
	s_branch .LBB167_2564
.LBB167_2562:
	s_mov_b32 s2, -1
                                        ; implicit-def: $vgpr6
	s_branch .LBB167_2567
.LBB167_2563:
	s_mov_b32 s2, -1
                                        ; implicit-def: $vgpr6
.LBB167_2564:
	s_delay_alu instid0(SALU_CYCLE_1)
	s_and_not1_b32 vcc_lo, exec_lo, s2
	s_cbranch_vccnz .LBB167_2566
; %bb.2565:
	global_load_u16 v6, v[10:11], off
.LBB167_2566:
	s_mov_b32 s2, 0
.LBB167_2567:
	s_delay_alu instid0(SALU_CYCLE_1)
	s_and_not1_b32 vcc_lo, exec_lo, s2
	s_cbranch_vccnz .LBB167_2573
; %bb.2568:
	global_load_u8 v4, v[10:11], off
	s_mov_b32 s3, 0
	s_mov_b32 s2, exec_lo
                                        ; implicit-def: $sgpr6
	s_waitcnt vmcnt(0)
	v_cmpx_lt_i16_e32 0x7f, v4
	s_xor_b32 s2, exec_lo, s2
	s_cbranch_execz .LBB167_2585
; %bb.2569:
	v_cmp_ne_u16_e32 vcc_lo, 0x80, v4
	s_mov_b32 s6, 0
	s_and_b32 s3, vcc_lo, exec_lo
	s_or_saveexec_b32 s2, s2
	v_mov_b32_e32 v6, s6
	s_xor_b32 exec_lo, exec_lo, s2
	s_cbranch_execnz .LBB167_2586
.LBB167_2570:
	s_or_b32 exec_lo, exec_lo, s2
	s_and_saveexec_b32 s2, s3
	s_cbranch_execz .LBB167_2572
.LBB167_2571:
	v_and_b32_e32 v6, 0xffff, v4
	v_lshlrev_b32_e32 v4, 24, v4
	s_delay_alu instid0(VALU_DEP_2) | instskip(NEXT) | instid1(VALU_DEP_2)
	v_and_b32_e32 v7, 7, v6
	v_and_b32_e32 v4, 0x80000000, v4
	s_delay_alu instid0(VALU_DEP_2) | instskip(NEXT) | instid1(VALU_DEP_1)
	v_clz_i32_u32_e32 v16, v7
	v_min_u32_e32 v16, 32, v16
	s_delay_alu instid0(VALU_DEP_1) | instskip(SKIP_1) | instid1(VALU_DEP_2)
	v_subrev_nc_u32_e32 v18, 28, v16
	v_sub_nc_u32_e32 v16, 29, v16
	v_lshlrev_b32_e32 v18, v18, v6
	v_bfe_u32 v6, v6, 3, 4
	s_delay_alu instid0(VALU_DEP_2) | instskip(NEXT) | instid1(VALU_DEP_2)
	v_and_b32_e32 v18, 7, v18
	v_cmp_eq_u32_e32 vcc_lo, 0, v6
	s_delay_alu instid0(VALU_DEP_2) | instskip(NEXT) | instid1(VALU_DEP_1)
	v_dual_cndmask_b32 v6, v6, v16 :: v_dual_cndmask_b32 v7, v7, v18
	v_lshl_add_u32 v6, v6, 23, 0x3b800000
	s_delay_alu instid0(VALU_DEP_2) | instskip(NEXT) | instid1(VALU_DEP_1)
	v_lshlrev_b32_e32 v7, 20, v7
	v_or3_b32 v4, v4, v6, v7
	s_delay_alu instid0(VALU_DEP_1) | instskip(NEXT) | instid1(VALU_DEP_1)
	v_trunc_f32_e32 v4, v4
	v_mul_f32_e64 v6, 0x2f800000, |v4|
	s_delay_alu instid0(VALU_DEP_1) | instskip(NEXT) | instid1(VALU_DEP_1)
	v_floor_f32_e32 v6, v6
	v_fma_f32 v6, 0xcf800000, v6, |v4|
	v_ashrrev_i32_e32 v4, 31, v4
	s_delay_alu instid0(VALU_DEP_2) | instskip(NEXT) | instid1(VALU_DEP_1)
	v_cvt_u32_f32_e32 v6, v6
	v_xor_b32_e32 v6, v6, v4
	s_delay_alu instid0(VALU_DEP_1)
	v_sub_nc_u32_e32 v6, v6, v4
.LBB167_2572:
	s_or_b32 exec_lo, exec_lo, s2
.LBB167_2573:
	s_mov_b32 s2, -1
.LBB167_2574:
	s_mov_b32 s3, 0
.LBB167_2575:
	s_delay_alu instid0(SALU_CYCLE_1)
	s_and_b32 vcc_lo, exec_lo, s3
	s_cbranch_vccz .LBB167_2606
; %bb.2576:
	v_cmp_lt_i16_e32 vcc_lo, 22, v15
	s_cbranch_vccz .LBB167_2584
; %bb.2577:
	v_cmp_gt_i16_e32 vcc_lo, 24, v15
	s_cbranch_vccnz .LBB167_2587
; %bb.2578:
	v_cmp_lt_i16_e32 vcc_lo, 24, v15
	s_cbranch_vccz .LBB167_2588
; %bb.2579:
	global_load_u8 v4, v[10:11], off
	s_mov_b32 s2, 0
	s_mov_b32 s1, exec_lo
                                        ; implicit-def: $sgpr3
	s_waitcnt vmcnt(0)
	v_cmpx_lt_i16_e32 0x7f, v4
	s_xor_b32 s1, exec_lo, s1
	s_cbranch_execz .LBB167_2600
; %bb.2580:
	v_cmp_ne_u16_e32 vcc_lo, 0x80, v4
	s_mov_b32 s3, 0
	s_and_b32 s2, vcc_lo, exec_lo
	s_or_saveexec_b32 s1, s1
	v_mov_b32_e32 v6, s3
	s_xor_b32 exec_lo, exec_lo, s1
	s_cbranch_execnz .LBB167_2601
.LBB167_2581:
	s_or_b32 exec_lo, exec_lo, s1
	s_and_saveexec_b32 s1, s2
	s_cbranch_execz .LBB167_2583
.LBB167_2582:
	v_and_b32_e32 v6, 0xffff, v4
	v_lshlrev_b32_e32 v4, 24, v4
	s_delay_alu instid0(VALU_DEP_2) | instskip(NEXT) | instid1(VALU_DEP_2)
	v_and_b32_e32 v7, 3, v6
	v_and_b32_e32 v4, 0x80000000, v4
	s_delay_alu instid0(VALU_DEP_2) | instskip(NEXT) | instid1(VALU_DEP_1)
	v_clz_i32_u32_e32 v16, v7
	v_min_u32_e32 v16, 32, v16
	s_delay_alu instid0(VALU_DEP_1) | instskip(SKIP_1) | instid1(VALU_DEP_2)
	v_subrev_nc_u32_e32 v18, 29, v16
	v_sub_nc_u32_e32 v16, 30, v16
	v_lshlrev_b32_e32 v18, v18, v6
	v_bfe_u32 v6, v6, 2, 5
	s_delay_alu instid0(VALU_DEP_2) | instskip(NEXT) | instid1(VALU_DEP_2)
	v_and_b32_e32 v18, 3, v18
	v_cmp_eq_u32_e32 vcc_lo, 0, v6
	s_delay_alu instid0(VALU_DEP_2) | instskip(NEXT) | instid1(VALU_DEP_1)
	v_dual_cndmask_b32 v6, v6, v16 :: v_dual_cndmask_b32 v7, v7, v18
	v_lshl_add_u32 v6, v6, 23, 0x37800000
	s_delay_alu instid0(VALU_DEP_2) | instskip(NEXT) | instid1(VALU_DEP_1)
	v_lshlrev_b32_e32 v7, 21, v7
	v_or3_b32 v4, v4, v6, v7
	s_delay_alu instid0(VALU_DEP_1) | instskip(NEXT) | instid1(VALU_DEP_1)
	v_trunc_f32_e32 v4, v4
	v_mul_f32_e64 v6, 0x2f800000, |v4|
	s_delay_alu instid0(VALU_DEP_1) | instskip(NEXT) | instid1(VALU_DEP_1)
	v_floor_f32_e32 v6, v6
	v_fma_f32 v6, 0xcf800000, v6, |v4|
	v_ashrrev_i32_e32 v4, 31, v4
	s_delay_alu instid0(VALU_DEP_2) | instskip(NEXT) | instid1(VALU_DEP_1)
	v_cvt_u32_f32_e32 v6, v6
	v_xor_b32_e32 v6, v6, v4
	s_delay_alu instid0(VALU_DEP_1)
	v_sub_nc_u32_e32 v6, v6, v4
.LBB167_2583:
	s_or_b32 exec_lo, exec_lo, s1
	s_mov_b32 s1, 0
	s_branch .LBB167_2589
.LBB167_2584:
	s_mov_b32 s1, -1
                                        ; implicit-def: $vgpr6
	s_branch .LBB167_2595
.LBB167_2585:
	s_or_saveexec_b32 s2, s2
	v_mov_b32_e32 v6, s6
	s_xor_b32 exec_lo, exec_lo, s2
	s_cbranch_execz .LBB167_2570
.LBB167_2586:
	v_cmp_ne_u16_e32 vcc_lo, 0, v4
	v_mov_b32_e32 v6, 0
	s_and_not1_b32 s3, s3, exec_lo
	s_and_b32 s6, vcc_lo, exec_lo
	s_delay_alu instid0(SALU_CYCLE_1)
	s_or_b32 s3, s3, s6
	s_or_b32 exec_lo, exec_lo, s2
	s_and_saveexec_b32 s2, s3
	s_cbranch_execnz .LBB167_2571
	s_branch .LBB167_2572
.LBB167_2587:
	s_mov_b32 s1, -1
                                        ; implicit-def: $vgpr6
	s_branch .LBB167_2592
.LBB167_2588:
	s_mov_b32 s1, -1
                                        ; implicit-def: $vgpr6
.LBB167_2589:
	s_delay_alu instid0(SALU_CYCLE_1)
	s_and_b32 vcc_lo, exec_lo, s1
	s_cbranch_vccz .LBB167_2591
; %bb.2590:
	global_load_u8 v4, v[10:11], off
	s_waitcnt vmcnt(0)
	v_lshlrev_b32_e32 v4, 24, v4
	s_delay_alu instid0(VALU_DEP_1) | instskip(NEXT) | instid1(VALU_DEP_1)
	v_and_b32_e32 v6, 0x7f000000, v4
	v_clz_i32_u32_e32 v7, v6
	v_add_nc_u32_e32 v18, 0x1000000, v6
	v_cmp_ne_u32_e32 vcc_lo, 0, v6
	s_delay_alu instid0(VALU_DEP_3) | instskip(NEXT) | instid1(VALU_DEP_1)
	v_min_u32_e32 v7, 32, v7
	v_sub_nc_u32_e64 v7, v7, 4 clamp
	s_delay_alu instid0(VALU_DEP_1) | instskip(SKIP_1) | instid1(VALU_DEP_2)
	v_lshlrev_b32_e32 v16, v7, v6
	v_lshlrev_b32_e32 v7, 23, v7
	v_lshrrev_b32_e32 v16, 4, v16
	s_delay_alu instid0(VALU_DEP_1) | instskip(SKIP_1) | instid1(VALU_DEP_2)
	v_sub_nc_u32_e32 v7, v16, v7
	v_ashrrev_i32_e32 v16, 8, v18
	v_add_nc_u32_e32 v7, 0x3c000000, v7
	s_delay_alu instid0(VALU_DEP_1) | instskip(NEXT) | instid1(VALU_DEP_1)
	v_and_or_b32 v7, 0x7f800000, v16, v7
	v_cndmask_b32_e32 v6, 0, v7, vcc_lo
	s_delay_alu instid0(VALU_DEP_1) | instskip(NEXT) | instid1(VALU_DEP_1)
	v_and_or_b32 v4, 0x80000000, v4, v6
	v_trunc_f32_e32 v4, v4
	s_delay_alu instid0(VALU_DEP_1) | instskip(NEXT) | instid1(VALU_DEP_1)
	v_mul_f32_e64 v6, 0x2f800000, |v4|
	v_floor_f32_e32 v6, v6
	s_delay_alu instid0(VALU_DEP_1) | instskip(SKIP_1) | instid1(VALU_DEP_2)
	v_fma_f32 v6, 0xcf800000, v6, |v4|
	v_ashrrev_i32_e32 v4, 31, v4
	v_cvt_u32_f32_e32 v6, v6
	s_delay_alu instid0(VALU_DEP_1) | instskip(NEXT) | instid1(VALU_DEP_1)
	v_xor_b32_e32 v6, v6, v4
	v_sub_nc_u32_e32 v6, v6, v4
.LBB167_2591:
	s_mov_b32 s1, 0
.LBB167_2592:
	s_delay_alu instid0(SALU_CYCLE_1)
	s_and_not1_b32 vcc_lo, exec_lo, s1
	s_cbranch_vccnz .LBB167_2594
; %bb.2593:
	global_load_u8 v4, v[10:11], off
	s_waitcnt vmcnt(0)
	v_lshlrev_b32_e32 v6, 25, v4
	v_lshlrev_b16 v4, 8, v4
	s_delay_alu instid0(VALU_DEP_2) | instskip(NEXT) | instid1(VALU_DEP_2)
	v_lshrrev_b32_e32 v7, 4, v6
	v_and_or_b32 v16, 0x7f00, v4, 0.5
	v_bfe_i32 v4, v4, 0, 16
	s_delay_alu instid0(VALU_DEP_3) | instskip(NEXT) | instid1(VALU_DEP_1)
	v_or_b32_e32 v7, 0x70000000, v7
	v_dual_add_f32 v16, -0.5, v16 :: v_dual_mul_f32 v7, 0x7800000, v7
	v_cmp_gt_u32_e32 vcc_lo, 0x8000000, v6
	s_delay_alu instid0(VALU_DEP_2) | instskip(NEXT) | instid1(VALU_DEP_1)
	v_cndmask_b32_e32 v6, v7, v16, vcc_lo
	v_and_or_b32 v4, 0x80000000, v4, v6
	s_delay_alu instid0(VALU_DEP_1) | instskip(NEXT) | instid1(VALU_DEP_1)
	v_trunc_f32_e32 v4, v4
	v_mul_f32_e64 v6, 0x2f800000, |v4|
	s_delay_alu instid0(VALU_DEP_1) | instskip(NEXT) | instid1(VALU_DEP_1)
	v_floor_f32_e32 v6, v6
	v_fma_f32 v6, 0xcf800000, v6, |v4|
	v_ashrrev_i32_e32 v4, 31, v4
	s_delay_alu instid0(VALU_DEP_2) | instskip(NEXT) | instid1(VALU_DEP_1)
	v_cvt_u32_f32_e32 v6, v6
	v_xor_b32_e32 v6, v6, v4
	s_delay_alu instid0(VALU_DEP_1)
	v_sub_nc_u32_e32 v6, v6, v4
.LBB167_2594:
	s_mov_b32 s1, 0
	s_mov_b32 s2, -1
.LBB167_2595:
	s_and_not1_b32 vcc_lo, exec_lo, s1
	s_mov_b32 s1, 0
	s_cbranch_vccnz .LBB167_2606
; %bb.2596:
	v_cmp_lt_i16_e32 vcc_lo, 14, v15
	s_cbranch_vccz .LBB167_2599
; %bb.2597:
	v_cmp_eq_u16_e32 vcc_lo, 15, v15
	s_cbranch_vccz .LBB167_2602
; %bb.2598:
	global_load_u16 v4, v[10:11], off
	s_mov_b32 s0, 0
	s_mov_b32 s2, -1
	s_waitcnt vmcnt(0)
	v_lshlrev_b32_e32 v4, 16, v4
	s_delay_alu instid0(VALU_DEP_1) | instskip(NEXT) | instid1(VALU_DEP_1)
	v_trunc_f32_e32 v4, v4
	v_mul_f32_e64 v6, 0x2f800000, |v4|
	s_delay_alu instid0(VALU_DEP_1) | instskip(NEXT) | instid1(VALU_DEP_1)
	v_floor_f32_e32 v6, v6
	v_fma_f32 v6, 0xcf800000, v6, |v4|
	v_ashrrev_i32_e32 v4, 31, v4
	s_delay_alu instid0(VALU_DEP_2) | instskip(NEXT) | instid1(VALU_DEP_1)
	v_cvt_u32_f32_e32 v6, v6
	v_xor_b32_e32 v6, v6, v4
	s_delay_alu instid0(VALU_DEP_1)
	v_sub_nc_u32_e32 v6, v6, v4
	s_branch .LBB167_2604
.LBB167_2599:
	s_mov_b32 s1, -1
	s_branch .LBB167_2603
.LBB167_2600:
	s_or_saveexec_b32 s1, s1
	v_mov_b32_e32 v6, s3
	s_xor_b32 exec_lo, exec_lo, s1
	s_cbranch_execz .LBB167_2581
.LBB167_2601:
	v_cmp_ne_u16_e32 vcc_lo, 0, v4
	v_mov_b32_e32 v6, 0
	s_and_not1_b32 s2, s2, exec_lo
	s_and_b32 s3, vcc_lo, exec_lo
	s_delay_alu instid0(SALU_CYCLE_1)
	s_or_b32 s2, s2, s3
	s_or_b32 exec_lo, exec_lo, s1
	s_and_saveexec_b32 s1, s2
	s_cbranch_execnz .LBB167_2582
	s_branch .LBB167_2583
.LBB167_2602:
	s_mov_b32 s0, -1
.LBB167_2603:
                                        ; implicit-def: $vgpr6
.LBB167_2604:
	s_and_b32 vcc_lo, exec_lo, s1
	s_mov_b32 s1, 0
	s_cbranch_vccz .LBB167_2606
; %bb.2605:
	v_cmp_ne_u16_e64 s0, 11, v15
	s_mov_b32 s1, -1
                                        ; implicit-def: $vgpr6
.LBB167_2606:
	s_delay_alu instid0(VALU_DEP_1)
	s_and_b32 vcc_lo, exec_lo, s0
	s_cbranch_vccnz .LBB167_2669
; %bb.2607:
	s_and_not1_b32 vcc_lo, exec_lo, s1
	s_cbranch_vccnz .LBB167_2609
.LBB167_2608:
	global_load_u8 v4, v[10:11], off
	s_mov_b32 s2, -1
	s_waitcnt vmcnt(0)
	v_cmp_ne_u16_e32 vcc_lo, 0, v4
	v_cndmask_b32_e64 v6, 0, 1, vcc_lo
.LBB167_2609:
	s_mov_b32 s0, 0
.LBB167_2610:
	s_delay_alu instid0(SALU_CYCLE_1)
	s_and_b32 vcc_lo, exec_lo, s0
	s_cbranch_vccz .LBB167_2659
; %bb.2611:
	v_cmp_gt_i16_e32 vcc_lo, 5, v15
	s_cbranch_vccnz .LBB167_2616
; %bb.2612:
	v_cmp_gt_i16_e32 vcc_lo, 8, v15
	s_cbranch_vccnz .LBB167_2617
	;; [unrolled: 3-line block ×3, first 2 shown]
; %bb.2614:
	v_cmp_lt_i16_e32 vcc_lo, 9, v15
	s_cbranch_vccz .LBB167_2619
; %bb.2615:
	global_load_b64 v[6:7], v[10:11], off
	s_mov_b32 s0, 0
	s_waitcnt vmcnt(0)
	v_trunc_f64_e32 v[6:7], v[6:7]
	s_delay_alu instid0(VALU_DEP_1) | instskip(NEXT) | instid1(VALU_DEP_1)
	v_ldexp_f64 v[18:19], v[6:7], 0xffffffe0
	v_floor_f64_e32 v[18:19], v[18:19]
	s_delay_alu instid0(VALU_DEP_1) | instskip(NEXT) | instid1(VALU_DEP_1)
	v_fma_f64 v[6:7], 0xc1f00000, v[18:19], v[6:7]
	v_cvt_u32_f64_e32 v6, v[6:7]
	s_branch .LBB167_2620
.LBB167_2616:
	s_mov_b32 s0, -1
                                        ; implicit-def: $vgpr6
	s_branch .LBB167_2638
.LBB167_2617:
	s_mov_b32 s0, -1
                                        ; implicit-def: $vgpr6
	s_branch .LBB167_2626
.LBB167_2618:
	s_mov_b32 s0, -1
                                        ; implicit-def: $vgpr6
	s_branch .LBB167_2623
.LBB167_2619:
	s_mov_b32 s0, -1
                                        ; implicit-def: $vgpr6
.LBB167_2620:
	s_delay_alu instid0(SALU_CYCLE_1)
	s_and_not1_b32 vcc_lo, exec_lo, s0
	s_cbranch_vccnz .LBB167_2622
; %bb.2621:
	global_load_b32 v4, v[10:11], off
	s_waitcnt vmcnt(0)
	v_trunc_f32_e32 v4, v4
	s_delay_alu instid0(VALU_DEP_1) | instskip(NEXT) | instid1(VALU_DEP_1)
	v_mul_f32_e64 v6, 0x2f800000, |v4|
	v_floor_f32_e32 v6, v6
	s_delay_alu instid0(VALU_DEP_1) | instskip(SKIP_1) | instid1(VALU_DEP_2)
	v_fma_f32 v6, 0xcf800000, v6, |v4|
	v_ashrrev_i32_e32 v4, 31, v4
	v_cvt_u32_f32_e32 v6, v6
	s_delay_alu instid0(VALU_DEP_1) | instskip(NEXT) | instid1(VALU_DEP_1)
	v_xor_b32_e32 v6, v6, v4
	v_sub_nc_u32_e32 v6, v6, v4
.LBB167_2622:
	s_mov_b32 s0, 0
.LBB167_2623:
	s_delay_alu instid0(SALU_CYCLE_1)
	s_and_not1_b32 vcc_lo, exec_lo, s0
	s_cbranch_vccnz .LBB167_2625
; %bb.2624:
	global_load_b32 v4, v[10:11], off
	s_waitcnt vmcnt(0)
	v_cvt_f32_f16_e32 v4, v4
	s_delay_alu instid0(VALU_DEP_1)
	v_cvt_i32_f32_e32 v6, v4
.LBB167_2625:
	s_mov_b32 s0, 0
.LBB167_2626:
	s_delay_alu instid0(SALU_CYCLE_1)
	s_and_not1_b32 vcc_lo, exec_lo, s0
	s_cbranch_vccnz .LBB167_2637
; %bb.2627:
	v_cmp_gt_i16_e32 vcc_lo, 6, v15
	s_cbranch_vccnz .LBB167_2630
; %bb.2628:
	v_cmp_lt_i16_e32 vcc_lo, 6, v15
	s_cbranch_vccz .LBB167_2631
; %bb.2629:
	global_load_b64 v[6:7], v[10:11], off
	s_mov_b32 s0, 0
	s_waitcnt vmcnt(0)
	v_trunc_f64_e32 v[6:7], v[6:7]
	s_delay_alu instid0(VALU_DEP_1) | instskip(NEXT) | instid1(VALU_DEP_1)
	v_ldexp_f64 v[18:19], v[6:7], 0xffffffe0
	v_floor_f64_e32 v[18:19], v[18:19]
	s_delay_alu instid0(VALU_DEP_1) | instskip(NEXT) | instid1(VALU_DEP_1)
	v_fma_f64 v[6:7], 0xc1f00000, v[18:19], v[6:7]
	v_cvt_u32_f64_e32 v6, v[6:7]
	s_branch .LBB167_2632
.LBB167_2630:
	s_mov_b32 s0, -1
                                        ; implicit-def: $vgpr6
	s_branch .LBB167_2635
.LBB167_2631:
	s_mov_b32 s0, -1
                                        ; implicit-def: $vgpr6
.LBB167_2632:
	s_delay_alu instid0(SALU_CYCLE_1)
	s_and_not1_b32 vcc_lo, exec_lo, s0
	s_cbranch_vccnz .LBB167_2634
; %bb.2633:
	global_load_b32 v4, v[10:11], off
	s_waitcnt vmcnt(0)
	v_trunc_f32_e32 v4, v4
	s_delay_alu instid0(VALU_DEP_1) | instskip(NEXT) | instid1(VALU_DEP_1)
	v_mul_f32_e64 v6, 0x2f800000, |v4|
	v_floor_f32_e32 v6, v6
	s_delay_alu instid0(VALU_DEP_1) | instskip(SKIP_1) | instid1(VALU_DEP_2)
	v_fma_f32 v6, 0xcf800000, v6, |v4|
	v_ashrrev_i32_e32 v4, 31, v4
	v_cvt_u32_f32_e32 v6, v6
	s_delay_alu instid0(VALU_DEP_1) | instskip(NEXT) | instid1(VALU_DEP_1)
	v_xor_b32_e32 v6, v6, v4
	v_sub_nc_u32_e32 v6, v6, v4
.LBB167_2634:
	s_mov_b32 s0, 0
.LBB167_2635:
	s_delay_alu instid0(SALU_CYCLE_1)
	s_and_not1_b32 vcc_lo, exec_lo, s0
	s_cbranch_vccnz .LBB167_2637
; %bb.2636:
	global_load_u16 v4, v[10:11], off
	s_waitcnt vmcnt(0)
	v_cvt_f32_f16_e32 v4, v4
	s_delay_alu instid0(VALU_DEP_1)
	v_cvt_i32_f32_e32 v6, v4
.LBB167_2637:
	s_mov_b32 s0, 0
.LBB167_2638:
	s_delay_alu instid0(SALU_CYCLE_1)
	s_and_not1_b32 vcc_lo, exec_lo, s0
	s_cbranch_vccnz .LBB167_2658
; %bb.2639:
	v_cmp_gt_i16_e32 vcc_lo, 2, v15
	s_cbranch_vccnz .LBB167_2643
; %bb.2640:
	v_cmp_gt_i16_e32 vcc_lo, 3, v15
	s_cbranch_vccnz .LBB167_2644
; %bb.2641:
	v_cmp_lt_i16_e32 vcc_lo, 3, v15
	s_cbranch_vccz .LBB167_2645
; %bb.2642:
	global_load_b64 v[6:7], v[10:11], off
	s_mov_b32 s0, 0
	s_branch .LBB167_2646
.LBB167_2643:
	s_mov_b32 s0, -1
                                        ; implicit-def: $vgpr6
	s_branch .LBB167_2652
.LBB167_2644:
	s_mov_b32 s0, -1
                                        ; implicit-def: $vgpr6
	s_branch .LBB167_2649
.LBB167_2645:
	s_mov_b32 s0, -1
                                        ; implicit-def: $vgpr6
.LBB167_2646:
	s_delay_alu instid0(SALU_CYCLE_1)
	s_and_not1_b32 vcc_lo, exec_lo, s0
	s_cbranch_vccnz .LBB167_2648
; %bb.2647:
	global_load_b32 v6, v[10:11], off
.LBB167_2648:
	s_mov_b32 s0, 0
.LBB167_2649:
	s_delay_alu instid0(SALU_CYCLE_1)
	s_and_not1_b32 vcc_lo, exec_lo, s0
	s_cbranch_vccnz .LBB167_2651
; %bb.2650:
	global_load_u16 v6, v[10:11], off
.LBB167_2651:
	s_mov_b32 s0, 0
.LBB167_2652:
	s_delay_alu instid0(SALU_CYCLE_1)
	s_and_not1_b32 vcc_lo, exec_lo, s0
	s_cbranch_vccnz .LBB167_2658
; %bb.2653:
	v_cmp_lt_i16_e32 vcc_lo, 0, v15
	s_mov_b32 s0, 0
	s_cbranch_vccz .LBB167_2655
; %bb.2654:
	global_load_u8 v6, v[10:11], off
	s_branch .LBB167_2656
.LBB167_2655:
	s_mov_b32 s0, -1
                                        ; implicit-def: $vgpr6
.LBB167_2656:
	s_delay_alu instid0(SALU_CYCLE_1)
	s_and_not1_b32 vcc_lo, exec_lo, s0
	s_cbranch_vccnz .LBB167_2658
; %bb.2657:
	global_load_u8 v6, v[10:11], off
.LBB167_2658:
	s_mov_b32 s2, -1
.LBB167_2659:
	s_delay_alu instid0(SALU_CYCLE_1)
	s_and_not1_b32 vcc_lo, exec_lo, s2
	s_cbranch_vccnz .LBB167_3049
; %bb.2660:
	s_load_b64 s[2:3], s[20:21], 0x1a0
	v_cvt_f32_ubyte0_e32 v4, v5
	v_cvt_f32_f16_e32 v5, v14
	v_add_co_u32 v3, s1, s4, v3
	s_mov_b32 s6, 0
	s_delay_alu instid0(VALU_DEP_2) | instskip(SKIP_2) | instid1(VALU_DEP_1)
	v_mul_f32_e32 v4, v5, v4
	s_waitcnt lgkmcnt(0)
	s_and_b32 s3, s3, 0xff
	v_fma_mixlo_f16 v5, s2, v4, 0
	v_cmp_lt_i16_e64 s0, s3, 11
	v_add_co_ci_u32_e64 v4, null, s5, 0, s1
	s_delay_alu instid0(VALU_DEP_2)
	s_and_b32 vcc_lo, exec_lo, s0
	s_mov_b32 s0, -1
	s_cbranch_vccnz .LBB167_2743
; %bb.2661:
	v_cmp_gt_i16_e64 s0, s3, 25
	s_mov_b32 s7, -1
	s_mov_b32 s1, 0
	s_delay_alu instid0(VALU_DEP_1)
	s_and_b32 vcc_lo, exec_lo, s0
	s_mov_b32 s0, 0
	s_cbranch_vccz .LBB167_2699
; %bb.2662:
	v_cmp_gt_i16_e64 s0, s3, 28
	s_delay_alu instid0(VALU_DEP_1)
	s_and_b32 vcc_lo, exec_lo, s0
	s_cbranch_vccz .LBB167_2667
; %bb.2663:
	v_cmp_gt_i16_e64 s0, s3, 43
	s_delay_alu instid0(VALU_DEP_1)
	s_and_b32 vcc_lo, exec_lo, s0
	;; [unrolled: 5-line block ×3, first 2 shown]
	s_cbranch_vccz .LBB167_2671
; %bb.2665:
	v_cmp_eq_u16_e64 s6, s3, 46
	s_mov_b32 s0, -1
	s_mov_b32 s7, 0
	s_delay_alu instid0(VALU_DEP_1)
	s_and_b32 vcc_lo, exec_lo, s6
	s_mov_b32 s6, 0
	s_cbranch_vccz .LBB167_2672
; %bb.2666:
	s_waitcnt vmcnt(0)
	v_cvt_f32_f16_e32 v7, v5
	v_cmp_o_f16_e32 vcc_lo, v5, v5
	s_mov_b32 s0, 0
	s_mov_b32 s6, -1
	s_delay_alu instid0(VALU_DEP_2) | instskip(NEXT) | instid1(VALU_DEP_1)
	v_bfe_u32 v10, v7, 16, 1
	v_add3_u32 v7, v7, v10, 0x7fff
	s_delay_alu instid0(VALU_DEP_1) | instskip(NEXT) | instid1(VALU_DEP_1)
	v_lshrrev_b32_e32 v7, 16, v7
	v_cndmask_b32_e32 v7, 0x7fc0, v7, vcc_lo
	global_store_b32 v[3:4], v7, off
	s_branch .LBB167_2672
.LBB167_2667:
	s_mov_b32 s0, 0
	s_branch .LBB167_2682
.LBB167_2668:
	s_mov_b32 s0, 0
	s_branch .LBB167_2678
.LBB167_2669:
	s_cbranch_execnz .LBB167_2794
; %bb.2670:
	s_or_b32 s10, s10, exec_lo
                                        ; implicit-def: $vgpr6
	s_cbranch_execz .LBB167_2608
	s_branch .LBB167_2609
.LBB167_2671:
	s_mov_b32 s0, 0
.LBB167_2672:
	s_and_b32 vcc_lo, exec_lo, s7
	s_cbranch_vccz .LBB167_2677
; %bb.2673:
	v_cmp_eq_u16_e64 s0, s3, 44
	s_delay_alu instid0(VALU_DEP_1)
	s_and_b32 vcc_lo, exec_lo, s0
	s_mov_b32 s0, -1
	s_cbranch_vccz .LBB167_2677
; %bb.2674:
	s_waitcnt vmcnt(0)
	v_cvt_f32_f16_e32 v7, v5
	v_mov_b32_e32 v10, 0xff
	s_mov_b32 s6, exec_lo
	s_delay_alu instid0(VALU_DEP_2) | instskip(NEXT) | instid1(VALU_DEP_1)
	v_bfe_u32 v11, v7, 23, 8
	v_cmpx_ne_u32_e32 0xff, v11
; %bb.2675:
	v_and_b32_e32 v10, 0x400000, v7
	v_and_or_b32 v11, 0x3fffff, v7, v11
	v_lshrrev_b32_e32 v7, 23, v7
	s_delay_alu instid0(VALU_DEP_3) | instskip(NEXT) | instid1(VALU_DEP_3)
	v_cmp_ne_u32_e32 vcc_lo, 0, v10
	v_cmp_ne_u32_e64 s0, 0, v11
	s_delay_alu instid0(VALU_DEP_1) | instskip(NEXT) | instid1(SALU_CYCLE_1)
	s_and_b32 s0, vcc_lo, s0
	v_cndmask_b32_e64 v10, 0, 1, s0
	s_delay_alu instid0(VALU_DEP_1)
	v_add_nc_u32_e32 v10, v7, v10
; %bb.2676:
	s_or_b32 exec_lo, exec_lo, s6
	s_mov_b32 s0, 0
	s_mov_b32 s6, -1
	global_store_b8 v[3:4], v10, off
.LBB167_2677:
	s_mov_b32 s7, 0
.LBB167_2678:
	s_delay_alu instid0(SALU_CYCLE_1)
	s_and_b32 vcc_lo, exec_lo, s7
	s_cbranch_vccz .LBB167_2681
; %bb.2679:
	v_cmp_eq_u16_e64 s0, s3, 29
	s_delay_alu instid0(VALU_DEP_1)
	s_and_b32 vcc_lo, exec_lo, s0
	s_mov_b32 s0, -1
	s_cbranch_vccz .LBB167_2681
; %bb.2680:
	s_waitcnt vmcnt(0)
	v_cvt_f32_f16_e32 v7, v5
	v_mov_b32_e32 v11, 0
	s_mov_b32 s0, 0
	s_mov_b32 s6, -1
	s_mov_b32 s7, 0
	v_cvt_u32_f32_e32 v10, v7
	global_store_b64 v[3:4], v[10:11], off
	s_branch .LBB167_2682
.LBB167_2681:
	s_mov_b32 s7, 0
.LBB167_2682:
	s_delay_alu instid0(SALU_CYCLE_1)
	s_and_b32 vcc_lo, exec_lo, s7
	s_cbranch_vccz .LBB167_2698
; %bb.2683:
	v_cmp_lt_i16_e64 s6, s3, 27
	s_delay_alu instid0(VALU_DEP_1)
	s_and_b32 vcc_lo, exec_lo, s6
	s_mov_b32 s6, -1
	s_cbranch_vccnz .LBB167_2689
; %bb.2684:
	v_cmp_gt_i16_e64 s6, s3, 27
	s_delay_alu instid0(VALU_DEP_1)
	s_and_b32 vcc_lo, exec_lo, s6
	s_mov_b32 s6, -1
	s_cbranch_vccz .LBB167_2686
; %bb.2685:
	s_waitcnt vmcnt(0)
	v_cvt_f32_f16_e32 v7, v5
	s_mov_b32 s6, 0
	s_delay_alu instid0(VALU_DEP_1)
	v_cvt_u32_f32_e32 v7, v7
	global_store_b32 v[3:4], v7, off
.LBB167_2686:
	s_and_not1_b32 vcc_lo, exec_lo, s6
	s_cbranch_vccnz .LBB167_2688
; %bb.2687:
	s_waitcnt vmcnt(0)
	v_cvt_u16_f16_e32 v7, v5
	global_store_b16 v[3:4], v7, off
.LBB167_2688:
	s_mov_b32 s6, 0
.LBB167_2689:
	s_delay_alu instid0(SALU_CYCLE_1)
	s_and_not1_b32 vcc_lo, exec_lo, s6
	s_cbranch_vccnz .LBB167_2697
; %bb.2690:
	s_waitcnt vmcnt(0)
	v_cvt_f32_f16_e32 v7, v5
	v_mov_b32_e32 v11, 0x80
	s_mov_b32 s6, exec_lo
	s_delay_alu instid0(VALU_DEP_2) | instskip(NEXT) | instid1(VALU_DEP_1)
	v_and_b32_e32 v10, 0x7fffffff, v7
	v_cmpx_gt_u32_e32 0x43800000, v10
	s_cbranch_execz .LBB167_2696
; %bb.2691:
	v_cmp_lt_u32_e32 vcc_lo, 0x3bffffff, v10
	s_mov_b32 s7, 0
                                        ; implicit-def: $vgpr10
	s_and_saveexec_b32 s11, vcc_lo
	s_delay_alu instid0(SALU_CYCLE_1)
	s_xor_b32 s11, exec_lo, s11
	s_cbranch_execz .LBB167_2791
; %bb.2692:
	v_bfe_u32 v10, v7, 20, 1
	s_mov_b32 s7, exec_lo
	s_delay_alu instid0(VALU_DEP_1) | instskip(NEXT) | instid1(VALU_DEP_1)
	v_add3_u32 v10, v7, v10, 0x487ffff
	v_lshrrev_b32_e32 v10, 20, v10
	s_or_saveexec_b32 s11, s11
                                        ; implicit-def: $sgpr12
	s_delay_alu instid0(SALU_CYCLE_1)
	s_xor_b32 exec_lo, exec_lo, s11
	s_cbranch_execnz .LBB167_2792
.LBB167_2693:
	s_or_b32 exec_lo, exec_lo, s11
	v_mov_b32_e32 v11, s12
	s_and_saveexec_b32 s11, s7
.LBB167_2694:
	v_lshrrev_b32_e32 v7, 24, v7
	s_delay_alu instid0(VALU_DEP_1)
	v_and_or_b32 v11, 0x80, v7, v10
.LBB167_2695:
	s_or_b32 exec_lo, exec_lo, s11
.LBB167_2696:
	s_delay_alu instid0(SALU_CYCLE_1)
	s_or_b32 exec_lo, exec_lo, s6
	global_store_b8 v[3:4], v11, off
.LBB167_2697:
	s_mov_b32 s6, -1
.LBB167_2698:
	s_mov_b32 s7, 0
.LBB167_2699:
	s_delay_alu instid0(SALU_CYCLE_1)
	s_and_b32 vcc_lo, exec_lo, s7
	s_cbranch_vccz .LBB167_2739
; %bb.2700:
	v_cmp_gt_i16_e64 s1, s3, 22
	s_delay_alu instid0(VALU_DEP_1)
	s_and_b32 vcc_lo, exec_lo, s1
	s_mov_b32 s1, -1
	s_cbranch_vccz .LBB167_2732
; %bb.2701:
	v_cmp_lt_i16_e64 s1, s3, 24
	s_delay_alu instid0(VALU_DEP_1)
	s_and_b32 vcc_lo, exec_lo, s1
	s_mov_b32 s1, -1
	s_cbranch_vccnz .LBB167_2721
; %bb.2702:
	v_cmp_gt_i16_e64 s1, s3, 24
	s_delay_alu instid0(VALU_DEP_1)
	s_and_b32 vcc_lo, exec_lo, s1
	s_mov_b32 s1, -1
	s_cbranch_vccz .LBB167_2710
; %bb.2703:
	s_waitcnt vmcnt(0)
	v_cvt_f32_f16_e32 v7, v5
	v_mov_b32_e32 v11, 0x80
	s_mov_b32 s1, exec_lo
	s_delay_alu instid0(VALU_DEP_2) | instskip(NEXT) | instid1(VALU_DEP_1)
	v_and_b32_e32 v10, 0x7fffffff, v7
	v_cmpx_gt_u32_e32 0x47800000, v10
	s_cbranch_execz .LBB167_2709
; %bb.2704:
	v_cmp_lt_u32_e32 vcc_lo, 0x37ffffff, v10
	s_mov_b32 s6, 0
                                        ; implicit-def: $vgpr10
	s_and_saveexec_b32 s7, vcc_lo
	s_delay_alu instid0(SALU_CYCLE_1)
	s_xor_b32 s7, exec_lo, s7
	s_cbranch_execz .LBB167_2798
; %bb.2705:
	v_bfe_u32 v10, v7, 21, 1
	s_mov_b32 s6, exec_lo
	s_delay_alu instid0(VALU_DEP_1) | instskip(NEXT) | instid1(VALU_DEP_1)
	v_add3_u32 v10, v7, v10, 0x88fffff
	v_lshrrev_b32_e32 v10, 21, v10
	s_or_saveexec_b32 s7, s7
                                        ; implicit-def: $sgpr11
	s_delay_alu instid0(SALU_CYCLE_1)
	s_xor_b32 exec_lo, exec_lo, s7
	s_cbranch_execnz .LBB167_2799
.LBB167_2706:
	s_or_b32 exec_lo, exec_lo, s7
	v_mov_b32_e32 v11, s11
	s_and_saveexec_b32 s7, s6
.LBB167_2707:
	v_lshrrev_b32_e32 v7, 24, v7
	s_delay_alu instid0(VALU_DEP_1)
	v_and_or_b32 v11, 0x80, v7, v10
.LBB167_2708:
	s_or_b32 exec_lo, exec_lo, s7
.LBB167_2709:
	s_delay_alu instid0(SALU_CYCLE_1)
	s_or_b32 exec_lo, exec_lo, s1
	s_mov_b32 s1, 0
	global_store_b8 v[3:4], v11, off
.LBB167_2710:
	s_and_b32 vcc_lo, exec_lo, s1
	s_cbranch_vccz .LBB167_2720
; %bb.2711:
	s_waitcnt vmcnt(0)
	v_cvt_f32_f16_e32 v7, v5
	s_mov_b32 s1, exec_lo
                                        ; implicit-def: $vgpr10
	s_delay_alu instid0(VALU_DEP_1) | instskip(NEXT) | instid1(VALU_DEP_1)
	v_and_b32_e32 v11, 0x7fffffff, v7
	v_cmpx_gt_u32_e32 0x43f00000, v11
	s_xor_b32 s1, exec_lo, s1
	s_cbranch_execz .LBB167_2717
; %bb.2712:
	s_mov_b32 s6, exec_lo
                                        ; implicit-def: $vgpr10
	v_cmpx_lt_u32_e32 0x3c7fffff, v11
	s_xor_b32 s6, exec_lo, s6
; %bb.2713:
	v_bfe_u32 v10, v7, 20, 1
	s_delay_alu instid0(VALU_DEP_1) | instskip(NEXT) | instid1(VALU_DEP_1)
	v_add3_u32 v10, v7, v10, 0x407ffff
	v_and_b32_e32 v11, 0xff00000, v10
	v_lshrrev_b32_e32 v10, 20, v10
	s_delay_alu instid0(VALU_DEP_2) | instskip(NEXT) | instid1(VALU_DEP_2)
	v_cmp_ne_u32_e32 vcc_lo, 0x7f00000, v11
	v_cndmask_b32_e32 v10, 0x7e, v10, vcc_lo
; %bb.2714:
	s_and_not1_saveexec_b32 s6, s6
; %bb.2715:
	v_add_f32_e64 v10, 0x46800000, |v7|
; %bb.2716:
	s_or_b32 exec_lo, exec_lo, s6
                                        ; implicit-def: $vgpr11
.LBB167_2717:
	s_and_not1_saveexec_b32 s1, s1
; %bb.2718:
	v_mov_b32_e32 v10, 0x7f
	v_cmp_lt_u32_e32 vcc_lo, 0x7f800000, v11
	s_delay_alu instid0(VALU_DEP_2)
	v_cndmask_b32_e32 v10, 0x7e, v10, vcc_lo
; %bb.2719:
	s_or_b32 exec_lo, exec_lo, s1
	v_lshrrev_b32_e32 v7, 24, v7
	s_delay_alu instid0(VALU_DEP_1)
	v_and_or_b32 v7, 0x80, v7, v10
	global_store_b8 v[3:4], v7, off
.LBB167_2720:
	s_mov_b32 s1, 0
.LBB167_2721:
	s_delay_alu instid0(SALU_CYCLE_1)
	s_and_not1_b32 vcc_lo, exec_lo, s1
	s_cbranch_vccnz .LBB167_2731
; %bb.2722:
	s_waitcnt vmcnt(0)
	v_cvt_f32_f16_e32 v7, v5
	s_mov_b32 s1, exec_lo
                                        ; implicit-def: $vgpr10
	s_delay_alu instid0(VALU_DEP_1) | instskip(NEXT) | instid1(VALU_DEP_1)
	v_and_b32_e32 v11, 0x7fffffff, v7
	v_cmpx_gt_u32_e32 0x47800000, v11
	s_xor_b32 s1, exec_lo, s1
	s_cbranch_execz .LBB167_2728
; %bb.2723:
	s_mov_b32 s6, exec_lo
                                        ; implicit-def: $vgpr10
	v_cmpx_lt_u32_e32 0x387fffff, v11
	s_xor_b32 s6, exec_lo, s6
; %bb.2724:
	v_bfe_u32 v10, v7, 21, 1
	s_delay_alu instid0(VALU_DEP_1) | instskip(NEXT) | instid1(VALU_DEP_1)
	v_add3_u32 v10, v7, v10, 0x80fffff
	v_lshrrev_b32_e32 v10, 21, v10
; %bb.2725:
	s_and_not1_saveexec_b32 s6, s6
; %bb.2726:
	v_add_f32_e64 v10, 0x43000000, |v7|
; %bb.2727:
	s_or_b32 exec_lo, exec_lo, s6
                                        ; implicit-def: $vgpr11
.LBB167_2728:
	s_and_not1_saveexec_b32 s1, s1
; %bb.2729:
	v_mov_b32_e32 v10, 0x7f
	v_cmp_lt_u32_e32 vcc_lo, 0x7f800000, v11
	s_delay_alu instid0(VALU_DEP_2)
	v_cndmask_b32_e32 v10, 0x7c, v10, vcc_lo
; %bb.2730:
	s_or_b32 exec_lo, exec_lo, s1
	v_lshrrev_b32_e32 v7, 24, v7
	s_delay_alu instid0(VALU_DEP_1)
	v_and_or_b32 v7, 0x80, v7, v10
	global_store_b8 v[3:4], v7, off
.LBB167_2731:
	s_mov_b32 s1, 0
	s_mov_b32 s6, -1
.LBB167_2732:
	s_and_not1_b32 vcc_lo, exec_lo, s1
	s_mov_b32 s1, 0
	s_cbranch_vccnz .LBB167_2739
; %bb.2733:
	v_cmp_gt_i16_e64 s1, s3, 14
	s_delay_alu instid0(VALU_DEP_1)
	s_and_b32 vcc_lo, exec_lo, s1
	s_mov_b32 s1, -1
	s_cbranch_vccz .LBB167_2737
; %bb.2734:
	v_cmp_eq_u16_e64 s0, s3, 15
	s_delay_alu instid0(VALU_DEP_1)
	s_and_b32 vcc_lo, exec_lo, s0
	s_mov_b32 s0, -1
	s_cbranch_vccz .LBB167_2736
; %bb.2735:
	s_waitcnt vmcnt(0)
	v_cvt_f32_f16_e32 v7, v5
	v_cmp_o_f16_e32 vcc_lo, v5, v5
	s_mov_b32 s0, 0
	s_mov_b32 s6, -1
	s_delay_alu instid0(VALU_DEP_2) | instskip(NEXT) | instid1(VALU_DEP_1)
	v_bfe_u32 v10, v7, 16, 1
	v_add3_u32 v7, v7, v10, 0x7fff
	s_delay_alu instid0(VALU_DEP_1) | instskip(NEXT) | instid1(VALU_DEP_1)
	v_lshrrev_b32_e32 v7, 16, v7
	v_cndmask_b32_e32 v7, 0x7fc0, v7, vcc_lo
	global_store_b16 v[3:4], v7, off
.LBB167_2736:
	s_mov_b32 s1, 0
.LBB167_2737:
	s_delay_alu instid0(SALU_CYCLE_1)
	s_and_b32 vcc_lo, exec_lo, s1
	s_mov_b32 s1, 0
	s_cbranch_vccz .LBB167_2739
; %bb.2738:
	v_cmp_ne_u16_e64 s0, s3, 11
	s_mov_b32 s1, -1
.LBB167_2739:
	s_delay_alu instid0(VALU_DEP_1)
	s_and_b32 vcc_lo, exec_lo, s0
	s_cbranch_vccnz .LBB167_2796
; %bb.2740:
	s_and_not1_b32 vcc_lo, exec_lo, s1
	s_cbranch_vccnz .LBB167_2742
.LBB167_2741:
	v_cmp_neq_f16_e32 vcc_lo, 0, v5
	s_mov_b32 s6, -1
	s_waitcnt vmcnt(0)
	v_cndmask_b32_e64 v7, 0, 1, vcc_lo
	global_store_b8 v[3:4], v7, off
.LBB167_2742:
	s_mov_b32 s0, 0
.LBB167_2743:
	s_delay_alu instid0(SALU_CYCLE_1)
	s_and_b32 vcc_lo, exec_lo, s0
	s_cbranch_vccz .LBB167_2782
; %bb.2744:
	v_cmp_lt_i16_e64 s0, s3, 5
	s_delay_alu instid0(VALU_DEP_1)
	s_and_b32 vcc_lo, exec_lo, s0
	s_mov_b32 s0, -1
	s_cbranch_vccnz .LBB167_2765
; %bb.2745:
	v_cmp_lt_i16_e64 s0, s3, 8
	s_delay_alu instid0(VALU_DEP_1)
	s_and_b32 vcc_lo, exec_lo, s0
	s_mov_b32 s0, -1
	s_cbranch_vccnz .LBB167_2755
	;; [unrolled: 6-line block ×3, first 2 shown]
; %bb.2747:
	v_cmp_gt_i16_e64 s0, s3, 9
	s_delay_alu instid0(VALU_DEP_1)
	s_and_b32 vcc_lo, exec_lo, s0
	s_mov_b32 s0, -1
	s_cbranch_vccz .LBB167_2749
; %bb.2748:
	s_waitcnt vmcnt(0)
	v_cvt_f32_f16_e32 v7, v5
	v_mov_b32_e32 v20, 0
	s_mov_b32 s0, 0
	s_delay_alu instid0(VALU_DEP_2) | instskip(NEXT) | instid1(VALU_DEP_2)
	v_cvt_f64_f32_e32 v[18:19], v7
	v_mov_b32_e32 v21, v20
	global_store_b128 v[3:4], v[18:21], off
.LBB167_2749:
	s_and_not1_b32 vcc_lo, exec_lo, s0
	s_cbranch_vccnz .LBB167_2751
; %bb.2750:
	v_cvt_f32_f16_e32 v10, v5
	v_mov_b32_e32 v11, 0
	global_store_b64 v[3:4], v[10:11], off
.LBB167_2751:
	s_mov_b32 s0, 0
.LBB167_2752:
	s_delay_alu instid0(SALU_CYCLE_1)
	s_and_not1_b32 vcc_lo, exec_lo, s0
	s_cbranch_vccnz .LBB167_2754
; %bb.2753:
	s_waitcnt vmcnt(0)
	v_and_b32_e32 v7, 0xffff, v5
	global_store_b32 v[3:4], v7, off
.LBB167_2754:
	s_mov_b32 s0, 0
.LBB167_2755:
	s_delay_alu instid0(SALU_CYCLE_1)
	s_and_not1_b32 vcc_lo, exec_lo, s0
	s_cbranch_vccnz .LBB167_2764
; %bb.2756:
	v_cmp_lt_i16_e64 s0, s3, 6
	s_delay_alu instid0(VALU_DEP_1)
	s_and_b32 vcc_lo, exec_lo, s0
	s_mov_b32 s0, -1
	s_cbranch_vccnz .LBB167_2762
; %bb.2757:
	v_cmp_gt_i16_e64 s0, s3, 6
	s_delay_alu instid0(VALU_DEP_1)
	s_and_b32 vcc_lo, exec_lo, s0
	s_mov_b32 s0, -1
	s_cbranch_vccz .LBB167_2759
; %bb.2758:
	s_waitcnt vmcnt(0)
	v_cvt_f32_f16_e32 v7, v5
	s_mov_b32 s0, 0
	s_delay_alu instid0(VALU_DEP_1)
	v_cvt_f64_f32_e32 v[10:11], v7
	global_store_b64 v[3:4], v[10:11], off
.LBB167_2759:
	s_and_not1_b32 vcc_lo, exec_lo, s0
	s_cbranch_vccnz .LBB167_2761
; %bb.2760:
	s_waitcnt vmcnt(0)
	v_cvt_f32_f16_e32 v7, v5
	global_store_b32 v[3:4], v7, off
.LBB167_2761:
	s_mov_b32 s0, 0
.LBB167_2762:
	s_delay_alu instid0(SALU_CYCLE_1)
	s_and_not1_b32 vcc_lo, exec_lo, s0
	s_cbranch_vccnz .LBB167_2764
; %bb.2763:
	global_store_b16 v[3:4], v5, off
.LBB167_2764:
	s_mov_b32 s0, 0
.LBB167_2765:
	s_delay_alu instid0(SALU_CYCLE_1)
	s_and_not1_b32 vcc_lo, exec_lo, s0
	s_cbranch_vccnz .LBB167_2781
; %bb.2766:
	v_cmp_lt_i16_e64 s0, s3, 2
	s_delay_alu instid0(VALU_DEP_1)
	s_and_b32 vcc_lo, exec_lo, s0
	s_mov_b32 s0, -1
	s_cbranch_vccnz .LBB167_2776
; %bb.2767:
	v_cmp_lt_i16_e64 s0, s3, 3
	s_delay_alu instid0(VALU_DEP_1)
	s_and_b32 vcc_lo, exec_lo, s0
	s_mov_b32 s0, -1
	s_cbranch_vccnz .LBB167_2773
; %bb.2768:
	v_cmp_gt_i16_e64 s0, s3, 3
	s_delay_alu instid0(VALU_DEP_1)
	s_and_b32 vcc_lo, exec_lo, s0
	s_mov_b32 s0, -1
	s_cbranch_vccz .LBB167_2770
; %bb.2769:
	s_waitcnt vmcnt(0)
	v_cvt_f32_f16_e32 v7, v5
	s_mov_b32 s0, 0
	s_delay_alu instid0(VALU_DEP_1) | instskip(NEXT) | instid1(VALU_DEP_1)
	v_cvt_i32_f32_e32 v10, v7
	v_ashrrev_i32_e32 v11, 31, v10
	global_store_b64 v[3:4], v[10:11], off
.LBB167_2770:
	s_and_not1_b32 vcc_lo, exec_lo, s0
	s_cbranch_vccnz .LBB167_2772
; %bb.2771:
	s_waitcnt vmcnt(0)
	v_cvt_f32_f16_e32 v7, v5
	s_delay_alu instid0(VALU_DEP_1)
	v_cvt_i32_f32_e32 v7, v7
	global_store_b32 v[3:4], v7, off
.LBB167_2772:
	s_mov_b32 s0, 0
.LBB167_2773:
	s_delay_alu instid0(SALU_CYCLE_1)
	s_and_not1_b32 vcc_lo, exec_lo, s0
	s_cbranch_vccnz .LBB167_2775
; %bb.2774:
	s_waitcnt vmcnt(0)
	v_cvt_i16_f16_e32 v7, v5
	global_store_b16 v[3:4], v7, off
.LBB167_2775:
	s_mov_b32 s0, 0
.LBB167_2776:
	s_delay_alu instid0(SALU_CYCLE_1)
	s_and_not1_b32 vcc_lo, exec_lo, s0
	s_cbranch_vccnz .LBB167_2781
; %bb.2777:
	v_cmp_gt_i16_e64 s0, s3, 0
	s_delay_alu instid0(VALU_DEP_1)
	s_and_b32 vcc_lo, exec_lo, s0
	s_mov_b32 s0, -1
	s_cbranch_vccz .LBB167_2779
; %bb.2778:
	s_waitcnt vmcnt(0)
	v_cvt_i16_f16_e32 v7, v5
	s_mov_b32 s0, 0
	global_store_b8 v[3:4], v7, off
.LBB167_2779:
	s_and_not1_b32 vcc_lo, exec_lo, s0
	s_cbranch_vccnz .LBB167_2781
; %bb.2780:
	v_cvt_f32_f16_e32 v5, v5
	s_delay_alu instid0(VALU_DEP_1)
	v_cvt_i32_f32_e32 v5, v5
	global_store_b8 v[3:4], v5, off
.LBB167_2781:
	s_mov_b32 s6, -1
.LBB167_2782:
	s_delay_alu instid0(SALU_CYCLE_1)
	s_and_not1_b32 vcc_lo, exec_lo, s6
	s_cbranch_vccnz .LBB167_3049
; %bb.2783:
	v_cvt_f32_ubyte0_e32 v3, v8
	v_cvt_f32_f16_e32 v4, v17
	v_cmp_lt_i16_e64 s0, s3, 11
	v_add_co_u32 v2, s1, s4, v2
	s_mov_b32 s6, 0
	s_delay_alu instid0(VALU_DEP_3) | instskip(SKIP_3) | instid1(VALU_DEP_2)
	v_mul_f32_e32 v4, v4, v3
	v_add_co_ci_u32_e64 v3, null, s5, 0, s1
	s_and_b32 vcc_lo, exec_lo, s0
	s_mov_b32 s0, -1
	v_fma_mixlo_f16 v4, s2, v4, 0
	s_cbranch_vccnz .LBB167_2872
; %bb.2784:
	v_cmp_gt_i16_e64 s0, s3, 25
	s_mov_b32 s7, -1
	s_mov_b32 s1, 0
	s_delay_alu instid0(VALU_DEP_1)
	s_and_b32 vcc_lo, exec_lo, s0
	s_mov_b32 s0, 0
	s_cbranch_vccz .LBB167_2828
; %bb.2785:
	v_cmp_gt_i16_e64 s0, s3, 28
	s_delay_alu instid0(VALU_DEP_1)
	s_and_b32 vcc_lo, exec_lo, s0
	s_cbranch_vccz .LBB167_2790
; %bb.2786:
	v_cmp_gt_i16_e64 s0, s3, 43
	s_delay_alu instid0(VALU_DEP_1)
	s_and_b32 vcc_lo, exec_lo, s0
	;; [unrolled: 5-line block ×3, first 2 shown]
	s_cbranch_vccz .LBB167_2800
; %bb.2788:
	v_cmp_eq_u16_e64 s6, s3, 46
	s_mov_b32 s0, -1
	s_mov_b32 s7, 0
	s_delay_alu instid0(VALU_DEP_1)
	s_and_b32 vcc_lo, exec_lo, s6
	s_mov_b32 s6, 0
	s_cbranch_vccz .LBB167_2801
; %bb.2789:
	v_cvt_f32_f16_e32 v5, v4
	v_cmp_o_f16_e32 vcc_lo, v4, v4
	s_mov_b32 s0, 0
	s_mov_b32 s6, -1
	s_waitcnt vmcnt(0)
	v_bfe_u32 v7, v5, 16, 1
	s_delay_alu instid0(VALU_DEP_1) | instskip(NEXT) | instid1(VALU_DEP_1)
	v_add3_u32 v5, v5, v7, 0x7fff
	v_lshrrev_b32_e32 v5, 16, v5
	s_delay_alu instid0(VALU_DEP_1)
	v_cndmask_b32_e32 v5, 0x7fc0, v5, vcc_lo
	global_store_b32 v[2:3], v5, off
	s_branch .LBB167_2801
.LBB167_2790:
	s_mov_b32 s0, 0
	s_branch .LBB167_2811
.LBB167_2791:
	s_or_saveexec_b32 s11, s11
                                        ; implicit-def: $sgpr12
	s_delay_alu instid0(SALU_CYCLE_1)
	s_xor_b32 exec_lo, exec_lo, s11
	s_cbranch_execz .LBB167_2693
.LBB167_2792:
	v_add_f32_e64 v10, 0x46000000, |v7|
	s_and_not1_b32 s7, s7, exec_lo
	s_mov_b32 s12, 0
	s_delay_alu instid0(VALU_DEP_1) | instskip(NEXT) | instid1(VALU_DEP_1)
	v_and_b32_e32 v10, 0xff, v10
	v_cmp_ne_u32_e32 vcc_lo, 0, v10
	s_and_b32 s13, vcc_lo, exec_lo
	s_delay_alu instid0(SALU_CYCLE_1)
	s_or_b32 s7, s7, s13
	s_or_b32 exec_lo, exec_lo, s11
	v_mov_b32_e32 v11, s12
	s_and_saveexec_b32 s11, s7
	s_cbranch_execnz .LBB167_2694
	s_branch .LBB167_2695
.LBB167_2793:
	s_mov_b32 s0, 0
	s_branch .LBB167_2807
.LBB167_2794:
	s_trap 2
	s_sendmsg_rtn_b32 s0, sendmsg(MSG_RTN_GET_DOORBELL)
	s_mov_b32 ttmp2, m0
	s_waitcnt lgkmcnt(0)
	s_and_b32 s0, s0, 0x3ff
	s_delay_alu instid0(SALU_CYCLE_1) | instskip(NEXT) | instid1(SALU_CYCLE_1)
	s_bitset1_b32 s0, 10
	s_mov_b32 m0, s0
	s_sendmsg sendmsg(MSG_INTERRUPT)
	s_mov_b32 m0, ttmp2
.LBB167_2795:                           ; =>This Inner Loop Header: Depth=1
	s_sethalt 5
	s_branch .LBB167_2795
.LBB167_2796:
	s_cbranch_execnz .LBB167_2923
; %bb.2797:
	s_or_b32 s10, s10, exec_lo
	s_cbranch_execz .LBB167_2741
	s_branch .LBB167_2742
.LBB167_2798:
	s_or_saveexec_b32 s7, s7
                                        ; implicit-def: $sgpr11
	s_delay_alu instid0(SALU_CYCLE_1)
	s_xor_b32 exec_lo, exec_lo, s7
	s_cbranch_execz .LBB167_2706
.LBB167_2799:
	v_add_f32_e64 v10, 0x42800000, |v7|
	s_and_not1_b32 s6, s6, exec_lo
	s_mov_b32 s11, 0
	s_delay_alu instid0(VALU_DEP_1) | instskip(NEXT) | instid1(VALU_DEP_1)
	v_and_b32_e32 v10, 0xff, v10
	v_cmp_ne_u32_e32 vcc_lo, 0, v10
	s_and_b32 s12, vcc_lo, exec_lo
	s_delay_alu instid0(SALU_CYCLE_1)
	s_or_b32 s6, s6, s12
	s_or_b32 exec_lo, exec_lo, s7
	v_mov_b32_e32 v11, s11
	s_and_saveexec_b32 s7, s6
	s_cbranch_execnz .LBB167_2707
	s_branch .LBB167_2708
.LBB167_2800:
	s_mov_b32 s0, 0
.LBB167_2801:
	s_and_b32 vcc_lo, exec_lo, s7
	s_cbranch_vccz .LBB167_2806
; %bb.2802:
	v_cmp_eq_u16_e64 s0, s3, 44
	s_delay_alu instid0(VALU_DEP_1)
	s_and_b32 vcc_lo, exec_lo, s0
	s_mov_b32 s0, -1
	s_cbranch_vccz .LBB167_2806
; %bb.2803:
	v_cvt_f32_f16_e32 v5, v4
	s_waitcnt vmcnt(0)
	v_mov_b32_e32 v7, 0xff
	s_mov_b32 s6, exec_lo
	s_delay_alu instid0(VALU_DEP_2) | instskip(NEXT) | instid1(VALU_DEP_1)
	v_bfe_u32 v8, v5, 23, 8
	v_cmpx_ne_u32_e32 0xff, v8
; %bb.2804:
	v_and_b32_e32 v7, 0x400000, v5
	v_and_or_b32 v8, 0x3fffff, v5, v8
	v_lshrrev_b32_e32 v5, 23, v5
	s_delay_alu instid0(VALU_DEP_3) | instskip(NEXT) | instid1(VALU_DEP_3)
	v_cmp_ne_u32_e32 vcc_lo, 0, v7
	v_cmp_ne_u32_e64 s0, 0, v8
	s_delay_alu instid0(VALU_DEP_1) | instskip(NEXT) | instid1(SALU_CYCLE_1)
	s_and_b32 s0, vcc_lo, s0
	v_cndmask_b32_e64 v7, 0, 1, s0
	s_delay_alu instid0(VALU_DEP_1)
	v_add_nc_u32_e32 v7, v5, v7
; %bb.2805:
	s_or_b32 exec_lo, exec_lo, s6
	s_mov_b32 s0, 0
	s_mov_b32 s6, -1
	global_store_b8 v[2:3], v7, off
.LBB167_2806:
	s_mov_b32 s7, 0
.LBB167_2807:
	s_delay_alu instid0(SALU_CYCLE_1)
	s_and_b32 vcc_lo, exec_lo, s7
	s_cbranch_vccz .LBB167_2810
; %bb.2808:
	v_cmp_eq_u16_e64 s0, s3, 29
	s_delay_alu instid0(VALU_DEP_1)
	s_and_b32 vcc_lo, exec_lo, s0
	s_mov_b32 s0, -1
	s_cbranch_vccz .LBB167_2810
; %bb.2809:
	v_cvt_f32_f16_e32 v5, v4
	v_mov_b32_e32 v8, 0
	s_mov_b32 s0, 0
	s_mov_b32 s6, -1
	s_mov_b32 s7, 0
	s_waitcnt vmcnt(0)
	v_cvt_u32_f32_e32 v7, v5
	global_store_b64 v[2:3], v[7:8], off
	s_branch .LBB167_2811
.LBB167_2810:
	s_mov_b32 s7, 0
.LBB167_2811:
	s_delay_alu instid0(SALU_CYCLE_1)
	s_and_b32 vcc_lo, exec_lo, s7
	s_cbranch_vccz .LBB167_2827
; %bb.2812:
	v_cmp_lt_i16_e64 s6, s3, 27
	s_delay_alu instid0(VALU_DEP_1)
	s_and_b32 vcc_lo, exec_lo, s6
	s_mov_b32 s6, -1
	s_cbranch_vccnz .LBB167_2818
; %bb.2813:
	v_cmp_gt_i16_e64 s6, s3, 27
	s_delay_alu instid0(VALU_DEP_1)
	s_and_b32 vcc_lo, exec_lo, s6
	s_mov_b32 s6, -1
	s_cbranch_vccz .LBB167_2815
; %bb.2814:
	v_cvt_f32_f16_e32 v5, v4
	s_mov_b32 s6, 0
	s_delay_alu instid0(VALU_DEP_1)
	v_cvt_u32_f32_e32 v5, v5
	global_store_b32 v[2:3], v5, off
.LBB167_2815:
	s_and_not1_b32 vcc_lo, exec_lo, s6
	s_cbranch_vccnz .LBB167_2817
; %bb.2816:
	v_cvt_u16_f16_e32 v5, v4
	global_store_b16 v[2:3], v5, off
.LBB167_2817:
	s_mov_b32 s6, 0
.LBB167_2818:
	s_delay_alu instid0(SALU_CYCLE_1)
	s_and_not1_b32 vcc_lo, exec_lo, s6
	s_cbranch_vccnz .LBB167_2826
; %bb.2819:
	v_cvt_f32_f16_e32 v5, v4
	v_mov_b32_e32 v8, 0x80
	s_mov_b32 s6, exec_lo
	s_waitcnt vmcnt(0)
	s_delay_alu instid0(VALU_DEP_2) | instskip(NEXT) | instid1(VALU_DEP_1)
	v_and_b32_e32 v7, 0x7fffffff, v5
	v_cmpx_gt_u32_e32 0x43800000, v7
	s_cbranch_execz .LBB167_2825
; %bb.2820:
	v_cmp_lt_u32_e32 vcc_lo, 0x3bffffff, v7
	s_mov_b32 s7, 0
                                        ; implicit-def: $vgpr7
	s_and_saveexec_b32 s11, vcc_lo
	s_delay_alu instid0(SALU_CYCLE_1)
	s_xor_b32 s11, exec_lo, s11
	s_cbranch_execz .LBB167_2920
; %bb.2821:
	v_bfe_u32 v7, v5, 20, 1
	s_mov_b32 s7, exec_lo
	s_delay_alu instid0(VALU_DEP_1) | instskip(NEXT) | instid1(VALU_DEP_1)
	v_add3_u32 v7, v5, v7, 0x487ffff
	v_lshrrev_b32_e32 v7, 20, v7
	s_or_saveexec_b32 s11, s11
                                        ; implicit-def: $sgpr12
	s_delay_alu instid0(SALU_CYCLE_1)
	s_xor_b32 exec_lo, exec_lo, s11
	s_cbranch_execnz .LBB167_2921
.LBB167_2822:
	s_or_b32 exec_lo, exec_lo, s11
	v_mov_b32_e32 v8, s12
	s_and_saveexec_b32 s11, s7
.LBB167_2823:
	v_lshrrev_b32_e32 v5, 24, v5
	s_delay_alu instid0(VALU_DEP_1)
	v_and_or_b32 v8, 0x80, v5, v7
.LBB167_2824:
	s_or_b32 exec_lo, exec_lo, s11
.LBB167_2825:
	s_delay_alu instid0(SALU_CYCLE_1)
	s_or_b32 exec_lo, exec_lo, s6
	global_store_b8 v[2:3], v8, off
.LBB167_2826:
	s_mov_b32 s6, -1
.LBB167_2827:
	s_mov_b32 s7, 0
.LBB167_2828:
	s_delay_alu instid0(SALU_CYCLE_1)
	s_and_b32 vcc_lo, exec_lo, s7
	s_cbranch_vccz .LBB167_2868
; %bb.2829:
	v_cmp_gt_i16_e64 s1, s3, 22
	s_delay_alu instid0(VALU_DEP_1)
	s_and_b32 vcc_lo, exec_lo, s1
	s_mov_b32 s1, -1
	s_cbranch_vccz .LBB167_2861
; %bb.2830:
	v_cmp_lt_i16_e64 s1, s3, 24
	s_delay_alu instid0(VALU_DEP_1)
	s_and_b32 vcc_lo, exec_lo, s1
	s_mov_b32 s1, -1
	s_cbranch_vccnz .LBB167_2850
; %bb.2831:
	v_cmp_gt_i16_e64 s1, s3, 24
	s_delay_alu instid0(VALU_DEP_1)
	s_and_b32 vcc_lo, exec_lo, s1
	s_mov_b32 s1, -1
	s_cbranch_vccz .LBB167_2839
; %bb.2832:
	v_cvt_f32_f16_e32 v5, v4
	v_mov_b32_e32 v8, 0x80
	s_mov_b32 s1, exec_lo
	s_waitcnt vmcnt(0)
	s_delay_alu instid0(VALU_DEP_2) | instskip(NEXT) | instid1(VALU_DEP_1)
	v_and_b32_e32 v7, 0x7fffffff, v5
	v_cmpx_gt_u32_e32 0x47800000, v7
	s_cbranch_execz .LBB167_2838
; %bb.2833:
	v_cmp_lt_u32_e32 vcc_lo, 0x37ffffff, v7
	s_mov_b32 s6, 0
                                        ; implicit-def: $vgpr7
	s_and_saveexec_b32 s7, vcc_lo
	s_delay_alu instid0(SALU_CYCLE_1)
	s_xor_b32 s7, exec_lo, s7
	s_cbranch_execz .LBB167_2927
; %bb.2834:
	v_bfe_u32 v7, v5, 21, 1
	s_mov_b32 s6, exec_lo
	s_delay_alu instid0(VALU_DEP_1) | instskip(NEXT) | instid1(VALU_DEP_1)
	v_add3_u32 v7, v5, v7, 0x88fffff
	v_lshrrev_b32_e32 v7, 21, v7
	s_or_saveexec_b32 s7, s7
                                        ; implicit-def: $sgpr11
	s_delay_alu instid0(SALU_CYCLE_1)
	s_xor_b32 exec_lo, exec_lo, s7
	s_cbranch_execnz .LBB167_2928
.LBB167_2835:
	s_or_b32 exec_lo, exec_lo, s7
	v_mov_b32_e32 v8, s11
	s_and_saveexec_b32 s7, s6
.LBB167_2836:
	v_lshrrev_b32_e32 v5, 24, v5
	s_delay_alu instid0(VALU_DEP_1)
	v_and_or_b32 v8, 0x80, v5, v7
.LBB167_2837:
	s_or_b32 exec_lo, exec_lo, s7
.LBB167_2838:
	s_delay_alu instid0(SALU_CYCLE_1)
	s_or_b32 exec_lo, exec_lo, s1
	s_mov_b32 s1, 0
	global_store_b8 v[2:3], v8, off
.LBB167_2839:
	s_and_b32 vcc_lo, exec_lo, s1
	s_cbranch_vccz .LBB167_2849
; %bb.2840:
	v_cvt_f32_f16_e32 v5, v4
	s_mov_b32 s1, exec_lo
                                        ; implicit-def: $vgpr7
	s_delay_alu instid0(VALU_DEP_1) | instskip(NEXT) | instid1(VALU_DEP_1)
	v_and_b32_e32 v8, 0x7fffffff, v5
	v_cmpx_gt_u32_e32 0x43f00000, v8
	s_xor_b32 s1, exec_lo, s1
	s_cbranch_execz .LBB167_2846
; %bb.2841:
	s_mov_b32 s6, exec_lo
                                        ; implicit-def: $vgpr7
	v_cmpx_lt_u32_e32 0x3c7fffff, v8
	s_xor_b32 s6, exec_lo, s6
	s_cbranch_execz .LBB167_2843
; %bb.2842:
	s_waitcnt vmcnt(0)
	v_bfe_u32 v7, v5, 20, 1
	s_delay_alu instid0(VALU_DEP_1) | instskip(NEXT) | instid1(VALU_DEP_1)
	v_add3_u32 v7, v5, v7, 0x407ffff
	v_and_b32_e32 v8, 0xff00000, v7
	v_lshrrev_b32_e32 v7, 20, v7
	s_delay_alu instid0(VALU_DEP_2) | instskip(NEXT) | instid1(VALU_DEP_2)
	v_cmp_ne_u32_e32 vcc_lo, 0x7f00000, v8
	v_cndmask_b32_e32 v7, 0x7e, v7, vcc_lo
.LBB167_2843:
	s_and_not1_saveexec_b32 s6, s6
	s_cbranch_execz .LBB167_2845
; %bb.2844:
	s_waitcnt vmcnt(0)
	v_add_f32_e64 v7, 0x46800000, |v5|
.LBB167_2845:
	s_or_b32 exec_lo, exec_lo, s6
                                        ; implicit-def: $vgpr8
.LBB167_2846:
	s_and_not1_saveexec_b32 s1, s1
	s_cbranch_execz .LBB167_2848
; %bb.2847:
	s_waitcnt vmcnt(0)
	v_mov_b32_e32 v7, 0x7f
	v_cmp_lt_u32_e32 vcc_lo, 0x7f800000, v8
	s_delay_alu instid0(VALU_DEP_2)
	v_cndmask_b32_e32 v7, 0x7e, v7, vcc_lo
.LBB167_2848:
	s_or_b32 exec_lo, exec_lo, s1
	v_lshrrev_b32_e32 v5, 24, v5
	s_waitcnt vmcnt(0)
	s_delay_alu instid0(VALU_DEP_1)
	v_and_or_b32 v5, 0x80, v5, v7
	global_store_b8 v[2:3], v5, off
.LBB167_2849:
	s_mov_b32 s1, 0
.LBB167_2850:
	s_delay_alu instid0(SALU_CYCLE_1)
	s_and_not1_b32 vcc_lo, exec_lo, s1
	s_cbranch_vccnz .LBB167_2860
; %bb.2851:
	v_cvt_f32_f16_e32 v5, v4
	s_mov_b32 s1, exec_lo
                                        ; implicit-def: $vgpr7
	s_delay_alu instid0(VALU_DEP_1) | instskip(NEXT) | instid1(VALU_DEP_1)
	v_and_b32_e32 v8, 0x7fffffff, v5
	v_cmpx_gt_u32_e32 0x47800000, v8
	s_xor_b32 s1, exec_lo, s1
	s_cbranch_execz .LBB167_2857
; %bb.2852:
	s_mov_b32 s6, exec_lo
                                        ; implicit-def: $vgpr7
	v_cmpx_lt_u32_e32 0x387fffff, v8
	s_xor_b32 s6, exec_lo, s6
	s_cbranch_execz .LBB167_2854
; %bb.2853:
	s_waitcnt vmcnt(0)
	v_bfe_u32 v7, v5, 21, 1
	s_delay_alu instid0(VALU_DEP_1) | instskip(NEXT) | instid1(VALU_DEP_1)
	v_add3_u32 v7, v5, v7, 0x80fffff
	v_lshrrev_b32_e32 v7, 21, v7
.LBB167_2854:
	s_and_not1_saveexec_b32 s6, s6
	s_cbranch_execz .LBB167_2856
; %bb.2855:
	s_waitcnt vmcnt(0)
	v_add_f32_e64 v7, 0x43000000, |v5|
.LBB167_2856:
	s_or_b32 exec_lo, exec_lo, s6
                                        ; implicit-def: $vgpr8
.LBB167_2857:
	s_and_not1_saveexec_b32 s1, s1
	s_cbranch_execz .LBB167_2859
; %bb.2858:
	s_waitcnt vmcnt(0)
	v_mov_b32_e32 v7, 0x7f
	v_cmp_lt_u32_e32 vcc_lo, 0x7f800000, v8
	s_delay_alu instid0(VALU_DEP_2)
	v_cndmask_b32_e32 v7, 0x7c, v7, vcc_lo
.LBB167_2859:
	s_or_b32 exec_lo, exec_lo, s1
	v_lshrrev_b32_e32 v5, 24, v5
	s_waitcnt vmcnt(0)
	s_delay_alu instid0(VALU_DEP_1)
	v_and_or_b32 v5, 0x80, v5, v7
	global_store_b8 v[2:3], v5, off
.LBB167_2860:
	s_mov_b32 s1, 0
	s_mov_b32 s6, -1
.LBB167_2861:
	s_and_not1_b32 vcc_lo, exec_lo, s1
	s_mov_b32 s1, 0
	s_cbranch_vccnz .LBB167_2868
; %bb.2862:
	v_cmp_gt_i16_e64 s1, s3, 14
	s_delay_alu instid0(VALU_DEP_1)
	s_and_b32 vcc_lo, exec_lo, s1
	s_mov_b32 s1, -1
	s_cbranch_vccz .LBB167_2866
; %bb.2863:
	v_cmp_eq_u16_e64 s0, s3, 15
	s_delay_alu instid0(VALU_DEP_1)
	s_and_b32 vcc_lo, exec_lo, s0
	s_mov_b32 s0, -1
	s_cbranch_vccz .LBB167_2865
; %bb.2864:
	v_cvt_f32_f16_e32 v5, v4
	v_cmp_o_f16_e32 vcc_lo, v4, v4
	s_mov_b32 s0, 0
	s_mov_b32 s6, -1
	s_waitcnt vmcnt(0)
	v_bfe_u32 v7, v5, 16, 1
	s_delay_alu instid0(VALU_DEP_1) | instskip(NEXT) | instid1(VALU_DEP_1)
	v_add3_u32 v5, v5, v7, 0x7fff
	v_lshrrev_b32_e32 v5, 16, v5
	s_delay_alu instid0(VALU_DEP_1)
	v_cndmask_b32_e32 v5, 0x7fc0, v5, vcc_lo
	global_store_b16 v[2:3], v5, off
.LBB167_2865:
	s_mov_b32 s1, 0
.LBB167_2866:
	s_delay_alu instid0(SALU_CYCLE_1)
	s_and_b32 vcc_lo, exec_lo, s1
	s_mov_b32 s1, 0
	s_cbranch_vccz .LBB167_2868
; %bb.2867:
	v_cmp_ne_u16_e64 s0, s3, 11
	s_mov_b32 s1, -1
.LBB167_2868:
	s_delay_alu instid0(VALU_DEP_1)
	s_and_b32 vcc_lo, exec_lo, s0
	s_cbranch_vccnz .LBB167_2925
; %bb.2869:
	s_and_not1_b32 vcc_lo, exec_lo, s1
	s_cbranch_vccnz .LBB167_2871
.LBB167_2870:
	v_cmp_neq_f16_e32 vcc_lo, 0, v4
	s_mov_b32 s6, -1
	v_cndmask_b32_e64 v5, 0, 1, vcc_lo
	global_store_b8 v[2:3], v5, off
.LBB167_2871:
	s_mov_b32 s0, 0
.LBB167_2872:
	s_delay_alu instid0(SALU_CYCLE_1)
	s_and_b32 vcc_lo, exec_lo, s0
	s_cbranch_vccz .LBB167_2911
; %bb.2873:
	v_cmp_lt_i16_e64 s0, s3, 5
	s_delay_alu instid0(VALU_DEP_1)
	s_and_b32 vcc_lo, exec_lo, s0
	s_mov_b32 s0, -1
	s_cbranch_vccnz .LBB167_2894
; %bb.2874:
	v_cmp_lt_i16_e64 s0, s3, 8
	s_delay_alu instid0(VALU_DEP_1)
	s_and_b32 vcc_lo, exec_lo, s0
	s_mov_b32 s0, -1
	s_cbranch_vccnz .LBB167_2884
	;; [unrolled: 6-line block ×3, first 2 shown]
; %bb.2876:
	v_cmp_gt_i16_e64 s0, s3, 9
	s_delay_alu instid0(VALU_DEP_1)
	s_and_b32 vcc_lo, exec_lo, s0
	s_mov_b32 s0, -1
	s_cbranch_vccz .LBB167_2878
; %bb.2877:
	v_cvt_f32_f16_e32 v5, v4
	v_mov_b32_e32 v16, 0
	s_mov_b32 s0, 0
	s_delay_alu instid0(VALU_DEP_2) | instskip(NEXT) | instid1(VALU_DEP_2)
	v_cvt_f64_f32_e32 v[14:15], v5
	v_mov_b32_e32 v17, v16
	global_store_b128 v[2:3], v[14:17], off
.LBB167_2878:
	s_and_not1_b32 vcc_lo, exec_lo, s0
	s_cbranch_vccnz .LBB167_2880
; %bb.2879:
	s_waitcnt vmcnt(0)
	v_cvt_f32_f16_e32 v7, v4
	v_mov_b32_e32 v8, 0
	global_store_b64 v[2:3], v[7:8], off
.LBB167_2880:
	s_mov_b32 s0, 0
.LBB167_2881:
	s_delay_alu instid0(SALU_CYCLE_1)
	s_and_not1_b32 vcc_lo, exec_lo, s0
	s_cbranch_vccnz .LBB167_2883
; %bb.2882:
	v_and_b32_e32 v5, 0xffff, v4
	global_store_b32 v[2:3], v5, off
.LBB167_2883:
	s_mov_b32 s0, 0
.LBB167_2884:
	s_delay_alu instid0(SALU_CYCLE_1)
	s_and_not1_b32 vcc_lo, exec_lo, s0
	s_cbranch_vccnz .LBB167_2893
; %bb.2885:
	v_cmp_lt_i16_e64 s0, s3, 6
	s_delay_alu instid0(VALU_DEP_1)
	s_and_b32 vcc_lo, exec_lo, s0
	s_mov_b32 s0, -1
	s_cbranch_vccnz .LBB167_2891
; %bb.2886:
	v_cmp_gt_i16_e64 s0, s3, 6
	s_delay_alu instid0(VALU_DEP_1)
	s_and_b32 vcc_lo, exec_lo, s0
	s_mov_b32 s0, -1
	s_cbranch_vccz .LBB167_2888
; %bb.2887:
	v_cvt_f32_f16_e32 v5, v4
	s_mov_b32 s0, 0
	s_waitcnt vmcnt(0)
	s_delay_alu instid0(VALU_DEP_1)
	v_cvt_f64_f32_e32 v[7:8], v5
	global_store_b64 v[2:3], v[7:8], off
.LBB167_2888:
	s_and_not1_b32 vcc_lo, exec_lo, s0
	s_cbranch_vccnz .LBB167_2890
; %bb.2889:
	v_cvt_f32_f16_e32 v5, v4
	global_store_b32 v[2:3], v5, off
.LBB167_2890:
	s_mov_b32 s0, 0
.LBB167_2891:
	s_delay_alu instid0(SALU_CYCLE_1)
	s_and_not1_b32 vcc_lo, exec_lo, s0
	s_cbranch_vccnz .LBB167_2893
; %bb.2892:
	global_store_b16 v[2:3], v4, off
.LBB167_2893:
	s_mov_b32 s0, 0
.LBB167_2894:
	s_delay_alu instid0(SALU_CYCLE_1)
	s_and_not1_b32 vcc_lo, exec_lo, s0
	s_cbranch_vccnz .LBB167_2910
; %bb.2895:
	v_cmp_lt_i16_e64 s0, s3, 2
	s_delay_alu instid0(VALU_DEP_1)
	s_and_b32 vcc_lo, exec_lo, s0
	s_mov_b32 s0, -1
	s_cbranch_vccnz .LBB167_2905
; %bb.2896:
	v_cmp_lt_i16_e64 s0, s3, 3
	s_delay_alu instid0(VALU_DEP_1)
	s_and_b32 vcc_lo, exec_lo, s0
	s_mov_b32 s0, -1
	s_cbranch_vccnz .LBB167_2902
; %bb.2897:
	v_cmp_gt_i16_e64 s0, s3, 3
	s_delay_alu instid0(VALU_DEP_1)
	s_and_b32 vcc_lo, exec_lo, s0
	s_mov_b32 s0, -1
	s_cbranch_vccz .LBB167_2899
; %bb.2898:
	v_cvt_f32_f16_e32 v5, v4
	s_mov_b32 s0, 0
	s_waitcnt vmcnt(0)
	s_delay_alu instid0(VALU_DEP_1) | instskip(NEXT) | instid1(VALU_DEP_1)
	v_cvt_i32_f32_e32 v7, v5
	v_ashrrev_i32_e32 v8, 31, v7
	global_store_b64 v[2:3], v[7:8], off
.LBB167_2899:
	s_and_not1_b32 vcc_lo, exec_lo, s0
	s_cbranch_vccnz .LBB167_2901
; %bb.2900:
	v_cvt_f32_f16_e32 v5, v4
	s_delay_alu instid0(VALU_DEP_1)
	v_cvt_i32_f32_e32 v5, v5
	global_store_b32 v[2:3], v5, off
.LBB167_2901:
	s_mov_b32 s0, 0
.LBB167_2902:
	s_delay_alu instid0(SALU_CYCLE_1)
	s_and_not1_b32 vcc_lo, exec_lo, s0
	s_cbranch_vccnz .LBB167_2904
; %bb.2903:
	v_cvt_i16_f16_e32 v5, v4
	global_store_b16 v[2:3], v5, off
.LBB167_2904:
	s_mov_b32 s0, 0
.LBB167_2905:
	s_delay_alu instid0(SALU_CYCLE_1)
	s_and_not1_b32 vcc_lo, exec_lo, s0
	s_cbranch_vccnz .LBB167_2910
; %bb.2906:
	v_cmp_gt_i16_e64 s0, s3, 0
	s_delay_alu instid0(VALU_DEP_1)
	s_and_b32 vcc_lo, exec_lo, s0
	s_mov_b32 s0, -1
	s_cbranch_vccz .LBB167_2908
; %bb.2907:
	v_cvt_i16_f16_e32 v5, v4
	s_mov_b32 s0, 0
	global_store_b8 v[2:3], v5, off
.LBB167_2908:
	s_and_not1_b32 vcc_lo, exec_lo, s0
	s_cbranch_vccnz .LBB167_2910
; %bb.2909:
	v_cvt_f32_f16_e32 v4, v4
	s_delay_alu instid0(VALU_DEP_1)
	v_cvt_i32_f32_e32 v4, v4
	global_store_b8 v[2:3], v4, off
.LBB167_2910:
	s_mov_b32 s6, -1
.LBB167_2911:
	s_delay_alu instid0(SALU_CYCLE_1)
	s_and_not1_b32 vcc_lo, exec_lo, s6
	s_cbranch_vccnz .LBB167_3049
; %bb.2912:
	v_cvt_f32_ubyte0_e32 v2, v9
	v_cvt_f32_f16_e32 v3, v13
	v_cmp_lt_i16_e64 s0, s3, 11
	v_add_co_u32 v1, s1, s4, v1
	s_mov_b32 s6, 0
	s_delay_alu instid0(VALU_DEP_3) | instskip(SKIP_3) | instid1(VALU_DEP_2)
	v_mul_f32_e32 v3, v3, v2
	v_add_co_ci_u32_e64 v2, null, s5, 0, s1
	s_and_b32 vcc_lo, exec_lo, s0
	s_mov_b32 s0, -1
	v_fma_mixlo_f16 v3, s2, v3, 0
	s_cbranch_vccnz .LBB167_3001
; %bb.2913:
	v_cmp_gt_i16_e64 s0, s3, 25
	s_mov_b32 s7, -1
	s_mov_b32 s1, 0
	s_delay_alu instid0(VALU_DEP_1)
	s_and_b32 vcc_lo, exec_lo, s0
	s_mov_b32 s0, 0
	s_cbranch_vccz .LBB167_2957
; %bb.2914:
	v_cmp_gt_i16_e64 s0, s3, 28
	s_delay_alu instid0(VALU_DEP_1)
	s_and_b32 vcc_lo, exec_lo, s0
	s_cbranch_vccz .LBB167_2919
; %bb.2915:
	v_cmp_gt_i16_e64 s0, s3, 43
	s_delay_alu instid0(VALU_DEP_1)
	s_and_b32 vcc_lo, exec_lo, s0
	;; [unrolled: 5-line block ×3, first 2 shown]
	s_cbranch_vccz .LBB167_2929
; %bb.2917:
	v_cmp_eq_u16_e64 s6, s3, 46
	s_mov_b32 s0, -1
	s_mov_b32 s7, 0
	s_delay_alu instid0(VALU_DEP_1)
	s_and_b32 vcc_lo, exec_lo, s6
	s_mov_b32 s6, 0
	s_cbranch_vccz .LBB167_2930
; %bb.2918:
	v_cvt_f32_f16_e32 v4, v3
	v_cmp_o_f16_e32 vcc_lo, v3, v3
	s_mov_b32 s0, 0
	s_mov_b32 s6, -1
	s_delay_alu instid0(VALU_DEP_2) | instskip(NEXT) | instid1(VALU_DEP_1)
	v_bfe_u32 v5, v4, 16, 1
	v_add3_u32 v4, v4, v5, 0x7fff
	s_delay_alu instid0(VALU_DEP_1) | instskip(NEXT) | instid1(VALU_DEP_1)
	v_lshrrev_b32_e32 v4, 16, v4
	v_cndmask_b32_e32 v4, 0x7fc0, v4, vcc_lo
	global_store_b32 v[1:2], v4, off
	s_branch .LBB167_2930
.LBB167_2919:
	s_mov_b32 s0, 0
	s_branch .LBB167_2940
.LBB167_2920:
	s_or_saveexec_b32 s11, s11
                                        ; implicit-def: $sgpr12
	s_delay_alu instid0(SALU_CYCLE_1)
	s_xor_b32 exec_lo, exec_lo, s11
	s_cbranch_execz .LBB167_2822
.LBB167_2921:
	v_add_f32_e64 v7, 0x46000000, |v5|
	s_and_not1_b32 s7, s7, exec_lo
	s_mov_b32 s12, 0
	s_delay_alu instid0(VALU_DEP_1) | instskip(NEXT) | instid1(VALU_DEP_1)
	v_and_b32_e32 v7, 0xff, v7
	v_cmp_ne_u32_e32 vcc_lo, 0, v7
	s_and_b32 s13, vcc_lo, exec_lo
	s_delay_alu instid0(SALU_CYCLE_1)
	s_or_b32 s7, s7, s13
	s_or_b32 exec_lo, exec_lo, s11
	v_mov_b32_e32 v8, s12
	s_and_saveexec_b32 s11, s7
	s_cbranch_execnz .LBB167_2823
	s_branch .LBB167_2824
.LBB167_2922:
	s_mov_b32 s0, 0
	s_branch .LBB167_2936
.LBB167_2923:
	s_trap 2
	s_sendmsg_rtn_b32 s0, sendmsg(MSG_RTN_GET_DOORBELL)
	s_mov_b32 ttmp2, m0
	s_waitcnt lgkmcnt(0)
	s_and_b32 s0, s0, 0x3ff
	s_delay_alu instid0(SALU_CYCLE_1) | instskip(NEXT) | instid1(SALU_CYCLE_1)
	s_bitset1_b32 s0, 10
	s_mov_b32 m0, s0
	s_sendmsg sendmsg(MSG_INTERRUPT)
	s_mov_b32 m0, ttmp2
.LBB167_2924:                           ; =>This Inner Loop Header: Depth=1
	s_sethalt 5
	s_branch .LBB167_2924
.LBB167_2925:
	s_cbranch_execnz .LBB167_3098
; %bb.2926:
	s_or_b32 s10, s10, exec_lo
	s_cbranch_execz .LBB167_2870
	s_branch .LBB167_2871
.LBB167_2927:
	s_or_saveexec_b32 s7, s7
                                        ; implicit-def: $sgpr11
	s_delay_alu instid0(SALU_CYCLE_1)
	s_xor_b32 exec_lo, exec_lo, s7
	s_cbranch_execz .LBB167_2835
.LBB167_2928:
	v_add_f32_e64 v7, 0x42800000, |v5|
	s_and_not1_b32 s6, s6, exec_lo
	s_mov_b32 s11, 0
	s_delay_alu instid0(VALU_DEP_1) | instskip(NEXT) | instid1(VALU_DEP_1)
	v_and_b32_e32 v7, 0xff, v7
	v_cmp_ne_u32_e32 vcc_lo, 0, v7
	s_and_b32 s12, vcc_lo, exec_lo
	s_delay_alu instid0(SALU_CYCLE_1)
	s_or_b32 s6, s6, s12
	s_or_b32 exec_lo, exec_lo, s7
	v_mov_b32_e32 v8, s11
	s_and_saveexec_b32 s7, s6
	s_cbranch_execnz .LBB167_2836
	s_branch .LBB167_2837
.LBB167_2929:
	s_mov_b32 s0, 0
.LBB167_2930:
	s_and_b32 vcc_lo, exec_lo, s7
	s_cbranch_vccz .LBB167_2935
; %bb.2931:
	v_cmp_eq_u16_e64 s0, s3, 44
	s_delay_alu instid0(VALU_DEP_1)
	s_and_b32 vcc_lo, exec_lo, s0
	s_mov_b32 s0, -1
	s_cbranch_vccz .LBB167_2935
; %bb.2932:
	v_cvt_f32_f16_e32 v4, v3
	v_mov_b32_e32 v5, 0xff
	s_mov_b32 s6, exec_lo
	s_waitcnt vmcnt(0)
	s_delay_alu instid0(VALU_DEP_2) | instskip(NEXT) | instid1(VALU_DEP_1)
	v_bfe_u32 v7, v4, 23, 8
	v_cmpx_ne_u32_e32 0xff, v7
; %bb.2933:
	v_and_b32_e32 v5, 0x400000, v4
	v_and_or_b32 v7, 0x3fffff, v4, v7
	v_lshrrev_b32_e32 v4, 23, v4
	s_delay_alu instid0(VALU_DEP_3) | instskip(NEXT) | instid1(VALU_DEP_3)
	v_cmp_ne_u32_e32 vcc_lo, 0, v5
	v_cmp_ne_u32_e64 s0, 0, v7
	s_delay_alu instid0(VALU_DEP_1) | instskip(NEXT) | instid1(SALU_CYCLE_1)
	s_and_b32 s0, vcc_lo, s0
	v_cndmask_b32_e64 v5, 0, 1, s0
	s_delay_alu instid0(VALU_DEP_1)
	v_add_nc_u32_e32 v5, v4, v5
; %bb.2934:
	s_or_b32 exec_lo, exec_lo, s6
	s_mov_b32 s0, 0
	s_mov_b32 s6, -1
	global_store_b8 v[1:2], v5, off
.LBB167_2935:
	s_mov_b32 s7, 0
.LBB167_2936:
	s_delay_alu instid0(SALU_CYCLE_1)
	s_and_b32 vcc_lo, exec_lo, s7
	s_cbranch_vccz .LBB167_2939
; %bb.2937:
	v_cmp_eq_u16_e64 s0, s3, 29
	s_delay_alu instid0(VALU_DEP_1)
	s_and_b32 vcc_lo, exec_lo, s0
	s_mov_b32 s0, -1
	s_cbranch_vccz .LBB167_2939
; %bb.2938:
	v_cvt_f32_f16_e32 v4, v3
	v_mov_b32_e32 v5, 0
	s_mov_b32 s0, 0
	s_mov_b32 s6, -1
	s_mov_b32 s7, 0
	v_cvt_u32_f32_e32 v4, v4
	global_store_b64 v[1:2], v[4:5], off
	s_branch .LBB167_2940
.LBB167_2939:
	s_mov_b32 s7, 0
.LBB167_2940:
	s_delay_alu instid0(SALU_CYCLE_1)
	s_and_b32 vcc_lo, exec_lo, s7
	s_cbranch_vccz .LBB167_2956
; %bb.2941:
	v_cmp_lt_i16_e64 s6, s3, 27
	s_delay_alu instid0(VALU_DEP_1)
	s_and_b32 vcc_lo, exec_lo, s6
	s_mov_b32 s6, -1
	s_cbranch_vccnz .LBB167_2947
; %bb.2942:
	v_cmp_gt_i16_e64 s6, s3, 27
	s_delay_alu instid0(VALU_DEP_1)
	s_and_b32 vcc_lo, exec_lo, s6
	s_mov_b32 s6, -1
	s_cbranch_vccz .LBB167_2944
; %bb.2943:
	v_cvt_f32_f16_e32 v4, v3
	s_mov_b32 s6, 0
	s_delay_alu instid0(VALU_DEP_1)
	v_cvt_u32_f32_e32 v4, v4
	global_store_b32 v[1:2], v4, off
.LBB167_2944:
	s_and_not1_b32 vcc_lo, exec_lo, s6
	s_cbranch_vccnz .LBB167_2946
; %bb.2945:
	v_cvt_u16_f16_e32 v4, v3
	global_store_b16 v[1:2], v4, off
.LBB167_2946:
	s_mov_b32 s6, 0
.LBB167_2947:
	s_delay_alu instid0(SALU_CYCLE_1)
	s_and_not1_b32 vcc_lo, exec_lo, s6
	s_cbranch_vccnz .LBB167_2955
; %bb.2948:
	v_cvt_f32_f16_e32 v4, v3
	s_waitcnt vmcnt(0)
	v_mov_b32_e32 v7, 0x80
	s_mov_b32 s6, exec_lo
	s_delay_alu instid0(VALU_DEP_2) | instskip(NEXT) | instid1(VALU_DEP_1)
	v_and_b32_e32 v5, 0x7fffffff, v4
	v_cmpx_gt_u32_e32 0x43800000, v5
	s_cbranch_execz .LBB167_2954
; %bb.2949:
	v_cmp_lt_u32_e32 vcc_lo, 0x3bffffff, v5
	s_mov_b32 s7, 0
                                        ; implicit-def: $vgpr5
	s_and_saveexec_b32 s11, vcc_lo
	s_delay_alu instid0(SALU_CYCLE_1)
	s_xor_b32 s11, exec_lo, s11
	s_cbranch_execz .LBB167_3095
; %bb.2950:
	v_bfe_u32 v5, v4, 20, 1
	s_mov_b32 s7, exec_lo
	s_delay_alu instid0(VALU_DEP_1) | instskip(NEXT) | instid1(VALU_DEP_1)
	v_add3_u32 v5, v4, v5, 0x487ffff
	v_lshrrev_b32_e32 v5, 20, v5
	s_or_saveexec_b32 s11, s11
                                        ; implicit-def: $sgpr12
	s_delay_alu instid0(SALU_CYCLE_1)
	s_xor_b32 exec_lo, exec_lo, s11
	s_cbranch_execnz .LBB167_3096
.LBB167_2951:
	s_or_b32 exec_lo, exec_lo, s11
	v_mov_b32_e32 v7, s12
	s_and_saveexec_b32 s11, s7
.LBB167_2952:
	v_lshrrev_b32_e32 v4, 24, v4
	s_delay_alu instid0(VALU_DEP_1)
	v_and_or_b32 v7, 0x80, v4, v5
.LBB167_2953:
	s_or_b32 exec_lo, exec_lo, s11
.LBB167_2954:
	s_delay_alu instid0(SALU_CYCLE_1)
	s_or_b32 exec_lo, exec_lo, s6
	global_store_b8 v[1:2], v7, off
.LBB167_2955:
	s_mov_b32 s6, -1
.LBB167_2956:
	s_mov_b32 s7, 0
.LBB167_2957:
	s_delay_alu instid0(SALU_CYCLE_1)
	s_and_b32 vcc_lo, exec_lo, s7
	s_cbranch_vccz .LBB167_2997
; %bb.2958:
	v_cmp_gt_i16_e64 s1, s3, 22
	s_delay_alu instid0(VALU_DEP_1)
	s_and_b32 vcc_lo, exec_lo, s1
	s_mov_b32 s1, -1
	s_cbranch_vccz .LBB167_2990
; %bb.2959:
	v_cmp_lt_i16_e64 s1, s3, 24
	s_delay_alu instid0(VALU_DEP_1)
	s_and_b32 vcc_lo, exec_lo, s1
	s_mov_b32 s1, -1
	s_cbranch_vccnz .LBB167_2979
; %bb.2960:
	v_cmp_gt_i16_e64 s1, s3, 24
	s_delay_alu instid0(VALU_DEP_1)
	s_and_b32 vcc_lo, exec_lo, s1
	s_mov_b32 s1, -1
	s_cbranch_vccz .LBB167_2968
; %bb.2961:
	v_cvt_f32_f16_e32 v4, v3
	s_waitcnt vmcnt(0)
	v_mov_b32_e32 v7, 0x80
	s_mov_b32 s1, exec_lo
	s_delay_alu instid0(VALU_DEP_2) | instskip(NEXT) | instid1(VALU_DEP_1)
	v_and_b32_e32 v5, 0x7fffffff, v4
	v_cmpx_gt_u32_e32 0x47800000, v5
	s_cbranch_execz .LBB167_2967
; %bb.2962:
	v_cmp_lt_u32_e32 vcc_lo, 0x37ffffff, v5
	s_mov_b32 s6, 0
                                        ; implicit-def: $vgpr5
	s_and_saveexec_b32 s7, vcc_lo
	s_delay_alu instid0(SALU_CYCLE_1)
	s_xor_b32 s7, exec_lo, s7
	s_cbranch_execz .LBB167_3102
; %bb.2963:
	v_bfe_u32 v5, v4, 21, 1
	s_mov_b32 s6, exec_lo
	s_delay_alu instid0(VALU_DEP_1) | instskip(NEXT) | instid1(VALU_DEP_1)
	v_add3_u32 v5, v4, v5, 0x88fffff
	v_lshrrev_b32_e32 v5, 21, v5
	s_or_saveexec_b32 s7, s7
                                        ; implicit-def: $sgpr11
	s_delay_alu instid0(SALU_CYCLE_1)
	s_xor_b32 exec_lo, exec_lo, s7
	s_cbranch_execnz .LBB167_3103
.LBB167_2964:
	s_or_b32 exec_lo, exec_lo, s7
	v_mov_b32_e32 v7, s11
	s_and_saveexec_b32 s7, s6
.LBB167_2965:
	v_lshrrev_b32_e32 v4, 24, v4
	s_delay_alu instid0(VALU_DEP_1)
	v_and_or_b32 v7, 0x80, v4, v5
.LBB167_2966:
	s_or_b32 exec_lo, exec_lo, s7
.LBB167_2967:
	s_delay_alu instid0(SALU_CYCLE_1)
	s_or_b32 exec_lo, exec_lo, s1
	s_mov_b32 s1, 0
	global_store_b8 v[1:2], v7, off
.LBB167_2968:
	s_and_b32 vcc_lo, exec_lo, s1
	s_cbranch_vccz .LBB167_2978
; %bb.2969:
	v_cvt_f32_f16_e32 v4, v3
	s_mov_b32 s1, exec_lo
                                        ; implicit-def: $vgpr5
	s_waitcnt vmcnt(0)
	s_delay_alu instid0(VALU_DEP_1) | instskip(NEXT) | instid1(VALU_DEP_1)
	v_and_b32_e32 v7, 0x7fffffff, v4
	v_cmpx_gt_u32_e32 0x43f00000, v7
	s_xor_b32 s1, exec_lo, s1
	s_cbranch_execz .LBB167_2975
; %bb.2970:
	s_mov_b32 s6, exec_lo
                                        ; implicit-def: $vgpr5
	v_cmpx_lt_u32_e32 0x3c7fffff, v7
	s_xor_b32 s6, exec_lo, s6
; %bb.2971:
	v_bfe_u32 v5, v4, 20, 1
	s_delay_alu instid0(VALU_DEP_1) | instskip(NEXT) | instid1(VALU_DEP_1)
	v_add3_u32 v5, v4, v5, 0x407ffff
	v_and_b32_e32 v7, 0xff00000, v5
	v_lshrrev_b32_e32 v5, 20, v5
	s_delay_alu instid0(VALU_DEP_2) | instskip(NEXT) | instid1(VALU_DEP_2)
	v_cmp_ne_u32_e32 vcc_lo, 0x7f00000, v7
	v_cndmask_b32_e32 v5, 0x7e, v5, vcc_lo
; %bb.2972:
	s_and_not1_saveexec_b32 s6, s6
; %bb.2973:
	v_add_f32_e64 v5, 0x46800000, |v4|
; %bb.2974:
	s_or_b32 exec_lo, exec_lo, s6
                                        ; implicit-def: $vgpr7
.LBB167_2975:
	s_and_not1_saveexec_b32 s1, s1
; %bb.2976:
	v_mov_b32_e32 v5, 0x7f
	v_cmp_lt_u32_e32 vcc_lo, 0x7f800000, v7
	s_delay_alu instid0(VALU_DEP_2)
	v_cndmask_b32_e32 v5, 0x7e, v5, vcc_lo
; %bb.2977:
	s_or_b32 exec_lo, exec_lo, s1
	v_lshrrev_b32_e32 v4, 24, v4
	s_delay_alu instid0(VALU_DEP_1)
	v_and_or_b32 v4, 0x80, v4, v5
	global_store_b8 v[1:2], v4, off
.LBB167_2978:
	s_mov_b32 s1, 0
.LBB167_2979:
	s_delay_alu instid0(SALU_CYCLE_1)
	s_and_not1_b32 vcc_lo, exec_lo, s1
	s_cbranch_vccnz .LBB167_2989
; %bb.2980:
	v_cvt_f32_f16_e32 v4, v3
	s_mov_b32 s1, exec_lo
                                        ; implicit-def: $vgpr5
	s_waitcnt vmcnt(0)
	s_delay_alu instid0(VALU_DEP_1) | instskip(NEXT) | instid1(VALU_DEP_1)
	v_and_b32_e32 v7, 0x7fffffff, v4
	v_cmpx_gt_u32_e32 0x47800000, v7
	s_xor_b32 s1, exec_lo, s1
	s_cbranch_execz .LBB167_2986
; %bb.2981:
	s_mov_b32 s6, exec_lo
                                        ; implicit-def: $vgpr5
	v_cmpx_lt_u32_e32 0x387fffff, v7
	s_xor_b32 s6, exec_lo, s6
; %bb.2982:
	v_bfe_u32 v5, v4, 21, 1
	s_delay_alu instid0(VALU_DEP_1) | instskip(NEXT) | instid1(VALU_DEP_1)
	v_add3_u32 v5, v4, v5, 0x80fffff
	v_lshrrev_b32_e32 v5, 21, v5
; %bb.2983:
	s_and_not1_saveexec_b32 s6, s6
; %bb.2984:
	v_add_f32_e64 v5, 0x43000000, |v4|
; %bb.2985:
	s_or_b32 exec_lo, exec_lo, s6
                                        ; implicit-def: $vgpr7
.LBB167_2986:
	s_and_not1_saveexec_b32 s1, s1
; %bb.2987:
	v_mov_b32_e32 v5, 0x7f
	v_cmp_lt_u32_e32 vcc_lo, 0x7f800000, v7
	s_delay_alu instid0(VALU_DEP_2)
	v_cndmask_b32_e32 v5, 0x7c, v5, vcc_lo
; %bb.2988:
	s_or_b32 exec_lo, exec_lo, s1
	v_lshrrev_b32_e32 v4, 24, v4
	s_delay_alu instid0(VALU_DEP_1)
	v_and_or_b32 v4, 0x80, v4, v5
	global_store_b8 v[1:2], v4, off
.LBB167_2989:
	s_mov_b32 s1, 0
	s_mov_b32 s6, -1
.LBB167_2990:
	s_and_not1_b32 vcc_lo, exec_lo, s1
	s_mov_b32 s1, 0
	s_cbranch_vccnz .LBB167_2997
; %bb.2991:
	v_cmp_gt_i16_e64 s1, s3, 14
	s_delay_alu instid0(VALU_DEP_1)
	s_and_b32 vcc_lo, exec_lo, s1
	s_mov_b32 s1, -1
	s_cbranch_vccz .LBB167_2995
; %bb.2992:
	v_cmp_eq_u16_e64 s0, s3, 15
	s_delay_alu instid0(VALU_DEP_1)
	s_and_b32 vcc_lo, exec_lo, s0
	s_mov_b32 s0, -1
	s_cbranch_vccz .LBB167_2994
; %bb.2993:
	v_cvt_f32_f16_e32 v4, v3
	v_cmp_o_f16_e32 vcc_lo, v3, v3
	s_mov_b32 s0, 0
	s_mov_b32 s6, -1
	s_delay_alu instid0(VALU_DEP_2) | instskip(NEXT) | instid1(VALU_DEP_1)
	v_bfe_u32 v5, v4, 16, 1
	v_add3_u32 v4, v4, v5, 0x7fff
	s_delay_alu instid0(VALU_DEP_1) | instskip(NEXT) | instid1(VALU_DEP_1)
	v_lshrrev_b32_e32 v4, 16, v4
	v_cndmask_b32_e32 v4, 0x7fc0, v4, vcc_lo
	global_store_b16 v[1:2], v4, off
.LBB167_2994:
	s_mov_b32 s1, 0
.LBB167_2995:
	s_delay_alu instid0(SALU_CYCLE_1)
	s_and_b32 vcc_lo, exec_lo, s1
	s_mov_b32 s1, 0
	s_cbranch_vccz .LBB167_2997
; %bb.2996:
	v_cmp_ne_u16_e64 s0, s3, 11
	s_mov_b32 s1, -1
.LBB167_2997:
	s_delay_alu instid0(VALU_DEP_1)
	s_and_b32 vcc_lo, exec_lo, s0
	s_cbranch_vccnz .LBB167_3100
; %bb.2998:
	s_and_not1_b32 vcc_lo, exec_lo, s1
	s_cbranch_vccnz .LBB167_3000
.LBB167_2999:
	v_cmp_neq_f16_e32 vcc_lo, 0, v3
	s_mov_b32 s6, -1
	v_cndmask_b32_e64 v4, 0, 1, vcc_lo
	global_store_b8 v[1:2], v4, off
.LBB167_3000:
	s_mov_b32 s0, 0
.LBB167_3001:
	s_delay_alu instid0(SALU_CYCLE_1)
	s_and_b32 vcc_lo, exec_lo, s0
	s_cbranch_vccz .LBB167_3040
; %bb.3002:
	v_cmp_lt_i16_e64 s0, s3, 5
	s_delay_alu instid0(VALU_DEP_1)
	s_and_b32 vcc_lo, exec_lo, s0
	s_mov_b32 s0, -1
	s_cbranch_vccnz .LBB167_3023
; %bb.3003:
	v_cmp_lt_i16_e64 s0, s3, 8
	s_delay_alu instid0(VALU_DEP_1)
	s_and_b32 vcc_lo, exec_lo, s0
	s_mov_b32 s0, -1
	s_cbranch_vccnz .LBB167_3013
	;; [unrolled: 6-line block ×3, first 2 shown]
; %bb.3005:
	v_cmp_gt_i16_e64 s0, s3, 9
	s_delay_alu instid0(VALU_DEP_1)
	s_and_b32 vcc_lo, exec_lo, s0
	s_mov_b32 s0, -1
	s_cbranch_vccz .LBB167_3007
; %bb.3006:
	v_cvt_f32_f16_e32 v4, v3
	v_mov_b32_e32 v9, 0
	s_mov_b32 s0, 0
	s_waitcnt vmcnt(0)
	s_delay_alu instid0(VALU_DEP_2) | instskip(NEXT) | instid1(VALU_DEP_2)
	v_cvt_f64_f32_e32 v[7:8], v4
	v_mov_b32_e32 v10, v9
	global_store_b128 v[1:2], v[7:10], off
.LBB167_3007:
	s_and_not1_b32 vcc_lo, exec_lo, s0
	s_cbranch_vccnz .LBB167_3009
; %bb.3008:
	v_cvt_f32_f16_e32 v4, v3
	v_mov_b32_e32 v5, 0
	global_store_b64 v[1:2], v[4:5], off
.LBB167_3009:
	s_mov_b32 s0, 0
.LBB167_3010:
	s_delay_alu instid0(SALU_CYCLE_1)
	s_and_not1_b32 vcc_lo, exec_lo, s0
	s_cbranch_vccnz .LBB167_3012
; %bb.3011:
	v_and_b32_e32 v4, 0xffff, v3
	global_store_b32 v[1:2], v4, off
.LBB167_3012:
	s_mov_b32 s0, 0
.LBB167_3013:
	s_delay_alu instid0(SALU_CYCLE_1)
	s_and_not1_b32 vcc_lo, exec_lo, s0
	s_cbranch_vccnz .LBB167_3022
; %bb.3014:
	v_cmp_lt_i16_e64 s0, s3, 6
	s_delay_alu instid0(VALU_DEP_1)
	s_and_b32 vcc_lo, exec_lo, s0
	s_mov_b32 s0, -1
	s_cbranch_vccnz .LBB167_3020
; %bb.3015:
	v_cmp_gt_i16_e64 s0, s3, 6
	s_delay_alu instid0(VALU_DEP_1)
	s_and_b32 vcc_lo, exec_lo, s0
	s_mov_b32 s0, -1
	s_cbranch_vccz .LBB167_3017
; %bb.3016:
	v_cvt_f32_f16_e32 v4, v3
	s_mov_b32 s0, 0
	s_delay_alu instid0(VALU_DEP_1)
	v_cvt_f64_f32_e32 v[4:5], v4
	global_store_b64 v[1:2], v[4:5], off
.LBB167_3017:
	s_and_not1_b32 vcc_lo, exec_lo, s0
	s_cbranch_vccnz .LBB167_3019
; %bb.3018:
	v_cvt_f32_f16_e32 v4, v3
	global_store_b32 v[1:2], v4, off
.LBB167_3019:
	s_mov_b32 s0, 0
.LBB167_3020:
	s_delay_alu instid0(SALU_CYCLE_1)
	s_and_not1_b32 vcc_lo, exec_lo, s0
	s_cbranch_vccnz .LBB167_3022
; %bb.3021:
	global_store_b16 v[1:2], v3, off
.LBB167_3022:
	s_mov_b32 s0, 0
.LBB167_3023:
	s_delay_alu instid0(SALU_CYCLE_1)
	s_and_not1_b32 vcc_lo, exec_lo, s0
	s_cbranch_vccnz .LBB167_3039
; %bb.3024:
	v_cmp_lt_i16_e64 s0, s3, 2
	s_delay_alu instid0(VALU_DEP_1)
	s_and_b32 vcc_lo, exec_lo, s0
	s_mov_b32 s0, -1
	s_cbranch_vccnz .LBB167_3034
; %bb.3025:
	v_cmp_lt_i16_e64 s0, s3, 3
	s_delay_alu instid0(VALU_DEP_1)
	s_and_b32 vcc_lo, exec_lo, s0
	s_mov_b32 s0, -1
	s_cbranch_vccnz .LBB167_3031
; %bb.3026:
	v_cmp_gt_i16_e64 s0, s3, 3
	s_delay_alu instid0(VALU_DEP_1)
	s_and_b32 vcc_lo, exec_lo, s0
	s_mov_b32 s0, -1
	s_cbranch_vccz .LBB167_3028
; %bb.3027:
	v_cvt_f32_f16_e32 v4, v3
	s_mov_b32 s0, 0
	s_delay_alu instid0(VALU_DEP_1) | instskip(NEXT) | instid1(VALU_DEP_1)
	v_cvt_i32_f32_e32 v4, v4
	v_ashrrev_i32_e32 v5, 31, v4
	global_store_b64 v[1:2], v[4:5], off
.LBB167_3028:
	s_and_not1_b32 vcc_lo, exec_lo, s0
	s_cbranch_vccnz .LBB167_3030
; %bb.3029:
	v_cvt_f32_f16_e32 v4, v3
	s_delay_alu instid0(VALU_DEP_1)
	v_cvt_i32_f32_e32 v4, v4
	global_store_b32 v[1:2], v4, off
.LBB167_3030:
	s_mov_b32 s0, 0
.LBB167_3031:
	s_delay_alu instid0(SALU_CYCLE_1)
	s_and_not1_b32 vcc_lo, exec_lo, s0
	s_cbranch_vccnz .LBB167_3033
; %bb.3032:
	v_cvt_i16_f16_e32 v4, v3
	global_store_b16 v[1:2], v4, off
.LBB167_3033:
	s_mov_b32 s0, 0
.LBB167_3034:
	s_delay_alu instid0(SALU_CYCLE_1)
	s_and_not1_b32 vcc_lo, exec_lo, s0
	s_cbranch_vccnz .LBB167_3039
; %bb.3035:
	v_cmp_gt_i16_e64 s0, s3, 0
	s_delay_alu instid0(VALU_DEP_1)
	s_and_b32 vcc_lo, exec_lo, s0
	s_mov_b32 s0, -1
	s_cbranch_vccz .LBB167_3037
; %bb.3036:
	v_cvt_i16_f16_e32 v4, v3
	s_mov_b32 s0, 0
	global_store_b8 v[1:2], v4, off
.LBB167_3037:
	s_and_not1_b32 vcc_lo, exec_lo, s0
	s_cbranch_vccnz .LBB167_3039
; %bb.3038:
	v_cvt_f32_f16_e32 v3, v3
	s_delay_alu instid0(VALU_DEP_1)
	v_cvt_i32_f32_e32 v3, v3
	global_store_b8 v[1:2], v3, off
.LBB167_3039:
	s_mov_b32 s6, -1
.LBB167_3040:
	s_delay_alu instid0(SALU_CYCLE_1)
	s_and_not1_b32 vcc_lo, exec_lo, s6
	s_cbranch_vccnz .LBB167_3049
; %bb.3041:
	s_waitcnt vmcnt(0)
	v_cvt_f32_ubyte0_e32 v1, v6
	v_cvt_f32_f16_e32 v2, v12
	v_cmp_lt_i16_e64 s0, s3, 11
	v_add_co_u32 v0, s4, s4, v0
	s_mov_b32 s1, 0
	s_delay_alu instid0(VALU_DEP_3) | instskip(SKIP_3) | instid1(VALU_DEP_2)
	v_mul_f32_e32 v2, v2, v1
	v_add_co_ci_u32_e64 v1, null, s5, 0, s4
	s_and_b32 vcc_lo, exec_lo, s0
	s_mov_b32 s0, -1
	v_fma_mixlo_f16 v2, s2, v2, 0
	s_cbranch_vccnz .LBB167_3050
; %bb.3042:
	v_cmp_gt_i16_e64 s0, s3, 25
	s_mov_b32 s2, -1
	s_delay_alu instid0(VALU_DEP_1)
	s_and_b32 vcc_lo, exec_lo, s0
	s_mov_b32 s0, 0
	s_cbranch_vccz .LBB167_3131
; %bb.3043:
	v_cmp_gt_i16_e64 s0, s3, 28
	s_delay_alu instid0(VALU_DEP_1)
	s_and_b32 vcc_lo, exec_lo, s0
	s_cbranch_vccz .LBB167_3094
; %bb.3044:
	v_cmp_gt_i16_e64 s0, s3, 43
	s_delay_alu instid0(VALU_DEP_1)
	s_and_b32 vcc_lo, exec_lo, s0
	;; [unrolled: 5-line block ×3, first 2 shown]
	s_cbranch_vccz .LBB167_3104
; %bb.3046:
	v_cmp_eq_u16_e64 s0, s3, 46
	s_delay_alu instid0(VALU_DEP_1)
	s_and_b32 vcc_lo, exec_lo, s0
	s_mov_b32 s0, -1
	s_cbranch_vccz .LBB167_3048
; %bb.3047:
	v_cvt_f32_f16_e32 v3, v2
	v_cmp_o_f16_e32 vcc_lo, v2, v2
	s_mov_b32 s0, 0
	s_delay_alu instid0(VALU_DEP_2) | instskip(NEXT) | instid1(VALU_DEP_1)
	v_bfe_u32 v4, v3, 16, 1
	v_add3_u32 v3, v3, v4, 0x7fff
	s_delay_alu instid0(VALU_DEP_1) | instskip(NEXT) | instid1(VALU_DEP_1)
	v_lshrrev_b32_e32 v3, 16, v3
	v_cndmask_b32_e32 v3, 0x7fc0, v3, vcc_lo
	global_store_b32 v[0:1], v3, off
.LBB167_3048:
	s_mov_b32 s2, 0
	s_branch .LBB167_3105
.LBB167_3049:
	s_mov_b32 s0, 0
	s_mov_b32 s1, 0
                                        ; implicit-def: $vgpr0_vgpr1
                                        ; implicit-def: $sgpr3
                                        ; implicit-def: $vgpr2
.LBB167_3050:
	s_and_b32 s2, s0, exec_lo
	s_and_not1_b32 s0, s8, exec_lo
	s_and_b32 s4, s10, exec_lo
	s_and_b32 s28, s1, exec_lo
	s_or_b32 s8, s0, s4
.LBB167_3051:
	s_or_b32 exec_lo, exec_lo, s9
	s_and_saveexec_b32 s0, s8
	s_cbranch_execz .LBB167_3054
; %bb.3052:
	; divergent unreachable
	s_or_b32 exec_lo, exec_lo, s0
	s_and_saveexec_b32 s0, s28
	s_delay_alu instid0(SALU_CYCLE_1)
	s_xor_b32 s0, exec_lo, s0
	s_cbranch_execnz .LBB167_3055
.LBB167_3053:
	s_or_b32 exec_lo, exec_lo, s0
	s_and_saveexec_b32 s0, s2
	s_cbranch_execnz .LBB167_3056
	s_branch .LBB167_3093
.LBB167_3054:
	s_or_b32 exec_lo, exec_lo, s0
	s_and_saveexec_b32 s0, s28
	s_delay_alu instid0(SALU_CYCLE_1)
	s_xor_b32 s0, exec_lo, s0
	s_cbranch_execz .LBB167_3053
.LBB167_3055:
	v_cmp_neq_f16_e32 vcc_lo, 0, v2
	s_waitcnt vmcnt(0)
	v_cndmask_b32_e64 v3, 0, 1, vcc_lo
	global_store_b8 v[0:1], v3, off
	s_or_b32 exec_lo, exec_lo, s0
	s_and_saveexec_b32 s0, s2
	s_cbranch_execz .LBB167_3093
.LBB167_3056:
	v_cmp_lt_i16_e64 s0, s3, 5
	s_delay_alu instid0(VALU_DEP_1)
	s_and_b32 vcc_lo, exec_lo, s0
	s_mov_b32 s0, -1
	s_cbranch_vccnz .LBB167_3077
; %bb.3057:
	v_cmp_lt_i16_e64 s0, s3, 8
	s_delay_alu instid0(VALU_DEP_1)
	s_and_b32 vcc_lo, exec_lo, s0
	s_mov_b32 s0, -1
	s_cbranch_vccnz .LBB167_3067
; %bb.3058:
	;; [unrolled: 6-line block ×3, first 2 shown]
	v_cmp_gt_i16_e64 s0, s3, 9
	s_delay_alu instid0(VALU_DEP_1)
	s_and_b32 vcc_lo, exec_lo, s0
	s_mov_b32 s0, -1
	s_cbranch_vccz .LBB167_3061
; %bb.3060:
	s_waitcnt vmcnt(0)
	v_cvt_f32_f16_e32 v3, v2
	v_mov_b32_e32 v5, 0
	s_mov_b32 s0, 0
	s_delay_alu instid0(VALU_DEP_2) | instskip(NEXT) | instid1(VALU_DEP_2)
	v_cvt_f64_f32_e32 v[3:4], v3
	v_mov_b32_e32 v6, v5
	global_store_b128 v[0:1], v[3:6], off
.LBB167_3061:
	s_and_not1_b32 vcc_lo, exec_lo, s0
	s_cbranch_vccnz .LBB167_3063
; %bb.3062:
	s_waitcnt vmcnt(0)
	v_cvt_f32_f16_e32 v3, v2
	v_mov_b32_e32 v4, 0
	global_store_b64 v[0:1], v[3:4], off
.LBB167_3063:
	s_mov_b32 s0, 0
.LBB167_3064:
	s_delay_alu instid0(SALU_CYCLE_1)
	s_and_not1_b32 vcc_lo, exec_lo, s0
	s_cbranch_vccnz .LBB167_3066
; %bb.3065:
	s_waitcnt vmcnt(0)
	v_and_b32_e32 v3, 0xffff, v2
	global_store_b32 v[0:1], v3, off
.LBB167_3066:
	s_mov_b32 s0, 0
.LBB167_3067:
	s_delay_alu instid0(SALU_CYCLE_1)
	s_and_not1_b32 vcc_lo, exec_lo, s0
	s_cbranch_vccnz .LBB167_3076
; %bb.3068:
	v_cmp_lt_i16_e64 s0, s3, 6
	s_delay_alu instid0(VALU_DEP_1)
	s_and_b32 vcc_lo, exec_lo, s0
	s_mov_b32 s0, -1
	s_cbranch_vccnz .LBB167_3074
; %bb.3069:
	v_cmp_gt_i16_e64 s0, s3, 6
	s_delay_alu instid0(VALU_DEP_1)
	s_and_b32 vcc_lo, exec_lo, s0
	s_mov_b32 s0, -1
	s_cbranch_vccz .LBB167_3071
; %bb.3070:
	s_waitcnt vmcnt(0)
	v_cvt_f32_f16_e32 v3, v2
	s_mov_b32 s0, 0
	s_delay_alu instid0(VALU_DEP_1)
	v_cvt_f64_f32_e32 v[3:4], v3
	global_store_b64 v[0:1], v[3:4], off
.LBB167_3071:
	s_and_not1_b32 vcc_lo, exec_lo, s0
	s_cbranch_vccnz .LBB167_3073
; %bb.3072:
	s_waitcnt vmcnt(0)
	v_cvt_f32_f16_e32 v3, v2
	global_store_b32 v[0:1], v3, off
.LBB167_3073:
	s_mov_b32 s0, 0
.LBB167_3074:
	s_delay_alu instid0(SALU_CYCLE_1)
	s_and_not1_b32 vcc_lo, exec_lo, s0
	s_cbranch_vccnz .LBB167_3076
; %bb.3075:
	global_store_b16 v[0:1], v2, off
.LBB167_3076:
	s_mov_b32 s0, 0
.LBB167_3077:
	s_delay_alu instid0(SALU_CYCLE_1)
	s_and_not1_b32 vcc_lo, exec_lo, s0
	s_cbranch_vccnz .LBB167_3093
; %bb.3078:
	v_cmp_lt_i16_e64 s0, s3, 2
	s_delay_alu instid0(VALU_DEP_1)
	s_and_b32 vcc_lo, exec_lo, s0
	s_mov_b32 s0, -1
	s_cbranch_vccnz .LBB167_3088
; %bb.3079:
	v_cmp_lt_i16_e64 s0, s3, 3
	s_delay_alu instid0(VALU_DEP_1)
	s_and_b32 vcc_lo, exec_lo, s0
	s_mov_b32 s0, -1
	s_cbranch_vccnz .LBB167_3085
; %bb.3080:
	v_cmp_gt_i16_e64 s0, s3, 3
	s_delay_alu instid0(VALU_DEP_1)
	s_and_b32 vcc_lo, exec_lo, s0
	s_mov_b32 s0, -1
	s_cbranch_vccz .LBB167_3082
; %bb.3081:
	s_waitcnt vmcnt(0)
	v_cvt_f32_f16_e32 v3, v2
	s_mov_b32 s0, 0
	s_delay_alu instid0(VALU_DEP_1) | instskip(NEXT) | instid1(VALU_DEP_1)
	v_cvt_i32_f32_e32 v3, v3
	v_ashrrev_i32_e32 v4, 31, v3
	global_store_b64 v[0:1], v[3:4], off
.LBB167_3082:
	s_and_not1_b32 vcc_lo, exec_lo, s0
	s_cbranch_vccnz .LBB167_3084
; %bb.3083:
	s_waitcnt vmcnt(0)
	v_cvt_f32_f16_e32 v3, v2
	s_delay_alu instid0(VALU_DEP_1)
	v_cvt_i32_f32_e32 v3, v3
	global_store_b32 v[0:1], v3, off
.LBB167_3084:
	s_mov_b32 s0, 0
.LBB167_3085:
	s_delay_alu instid0(SALU_CYCLE_1)
	s_and_not1_b32 vcc_lo, exec_lo, s0
	s_cbranch_vccnz .LBB167_3087
; %bb.3086:
	s_waitcnt vmcnt(0)
	v_cvt_i16_f16_e32 v3, v2
	global_store_b16 v[0:1], v3, off
.LBB167_3087:
	s_mov_b32 s0, 0
.LBB167_3088:
	s_delay_alu instid0(SALU_CYCLE_1)
	s_and_not1_b32 vcc_lo, exec_lo, s0
	s_cbranch_vccnz .LBB167_3093
; %bb.3089:
	v_cmp_gt_i16_e64 s0, s3, 0
	s_delay_alu instid0(VALU_DEP_1)
	s_and_b32 vcc_lo, exec_lo, s0
	s_mov_b32 s0, -1
	s_cbranch_vccz .LBB167_3091
; %bb.3090:
	s_waitcnt vmcnt(0)
	v_cvt_i16_f16_e32 v3, v2
	s_mov_b32 s0, 0
	global_store_b8 v[0:1], v3, off
.LBB167_3091:
	s_and_not1_b32 vcc_lo, exec_lo, s0
	s_cbranch_vccnz .LBB167_3093
; %bb.3092:
	v_cvt_f32_f16_e32 v2, v2
	s_delay_alu instid0(VALU_DEP_1)
	v_cvt_i32_f32_e32 v2, v2
	global_store_b8 v[0:1], v2, off
	s_nop 0
	s_sendmsg sendmsg(MSG_DEALLOC_VGPRS)
	s_endpgm
.LBB167_3093:
	s_nop 0
	s_sendmsg sendmsg(MSG_DEALLOC_VGPRS)
	s_endpgm
.LBB167_3094:
	s_mov_b32 s0, 0
	s_branch .LBB167_3115
.LBB167_3095:
	s_or_saveexec_b32 s11, s11
                                        ; implicit-def: $sgpr12
	s_delay_alu instid0(SALU_CYCLE_1)
	s_xor_b32 exec_lo, exec_lo, s11
	s_cbranch_execz .LBB167_2951
.LBB167_3096:
	v_add_f32_e64 v5, 0x46000000, |v4|
	s_and_not1_b32 s7, s7, exec_lo
	s_mov_b32 s12, 0
	s_delay_alu instid0(VALU_DEP_1) | instskip(NEXT) | instid1(VALU_DEP_1)
	v_and_b32_e32 v5, 0xff, v5
	v_cmp_ne_u32_e32 vcc_lo, 0, v5
	s_and_b32 s13, vcc_lo, exec_lo
	s_delay_alu instid0(SALU_CYCLE_1)
	s_or_b32 s7, s7, s13
	s_or_b32 exec_lo, exec_lo, s11
	v_mov_b32_e32 v7, s12
	s_and_saveexec_b32 s11, s7
	s_cbranch_execnz .LBB167_2952
	s_branch .LBB167_2953
.LBB167_3097:
	s_mov_b32 s0, 0
	s_branch .LBB167_3111
.LBB167_3098:
	s_trap 2
	s_sendmsg_rtn_b32 s0, sendmsg(MSG_RTN_GET_DOORBELL)
	s_mov_b32 ttmp2, m0
	s_waitcnt lgkmcnt(0)
	s_and_b32 s0, s0, 0x3ff
	s_delay_alu instid0(SALU_CYCLE_1) | instskip(NEXT) | instid1(SALU_CYCLE_1)
	s_bitset1_b32 s0, 10
	s_mov_b32 m0, s0
	s_sendmsg sendmsg(MSG_INTERRUPT)
	s_mov_b32 m0, ttmp2
.LBB167_3099:                           ; =>This Inner Loop Header: Depth=1
	s_sethalt 5
	s_branch .LBB167_3099
.LBB167_3100:
	s_cbranch_execnz .LBB167_3175
; %bb.3101:
	s_or_b32 s10, s10, exec_lo
	s_cbranch_execz .LBB167_2999
	s_branch .LBB167_3000
.LBB167_3102:
	s_or_saveexec_b32 s7, s7
                                        ; implicit-def: $sgpr11
	s_delay_alu instid0(SALU_CYCLE_1)
	s_xor_b32 exec_lo, exec_lo, s7
	s_cbranch_execz .LBB167_2964
.LBB167_3103:
	v_add_f32_e64 v5, 0x42800000, |v4|
	s_and_not1_b32 s6, s6, exec_lo
	s_mov_b32 s11, 0
	s_delay_alu instid0(VALU_DEP_1) | instskip(NEXT) | instid1(VALU_DEP_1)
	v_and_b32_e32 v5, 0xff, v5
	v_cmp_ne_u32_e32 vcc_lo, 0, v5
	s_and_b32 s12, vcc_lo, exec_lo
	s_delay_alu instid0(SALU_CYCLE_1)
	s_or_b32 s6, s6, s12
	s_or_b32 exec_lo, exec_lo, s7
	v_mov_b32_e32 v7, s11
	s_and_saveexec_b32 s7, s6
	s_cbranch_execnz .LBB167_2965
	s_branch .LBB167_2966
.LBB167_3104:
	s_mov_b32 s0, 0
.LBB167_3105:
	s_and_b32 vcc_lo, exec_lo, s2
	s_cbranch_vccz .LBB167_3110
; %bb.3106:
	v_cmp_eq_u16_e64 s0, s3, 44
	s_delay_alu instid0(VALU_DEP_1)
	s_and_b32 vcc_lo, exec_lo, s0
	s_mov_b32 s0, -1
	s_cbranch_vccz .LBB167_3110
; %bb.3107:
	v_cvt_f32_f16_e32 v3, v2
	v_mov_b32_e32 v4, 0xff
	s_mov_b32 s2, exec_lo
	s_delay_alu instid0(VALU_DEP_2) | instskip(NEXT) | instid1(VALU_DEP_1)
	v_bfe_u32 v5, v3, 23, 8
	v_cmpx_ne_u32_e32 0xff, v5
; %bb.3108:
	v_and_b32_e32 v4, 0x400000, v3
	v_and_or_b32 v5, 0x3fffff, v3, v5
	v_lshrrev_b32_e32 v3, 23, v3
	s_delay_alu instid0(VALU_DEP_3) | instskip(NEXT) | instid1(VALU_DEP_3)
	v_cmp_ne_u32_e32 vcc_lo, 0, v4
	v_cmp_ne_u32_e64 s0, 0, v5
	s_delay_alu instid0(VALU_DEP_1) | instskip(NEXT) | instid1(SALU_CYCLE_1)
	s_and_b32 s0, vcc_lo, s0
	v_cndmask_b32_e64 v4, 0, 1, s0
	s_delay_alu instid0(VALU_DEP_1)
	v_add_nc_u32_e32 v4, v3, v4
; %bb.3109:
	s_or_b32 exec_lo, exec_lo, s2
	s_mov_b32 s0, 0
	global_store_b8 v[0:1], v4, off
.LBB167_3110:
	s_mov_b32 s2, 0
.LBB167_3111:
	s_delay_alu instid0(SALU_CYCLE_1)
	s_and_b32 vcc_lo, exec_lo, s2
	s_cbranch_vccz .LBB167_3114
; %bb.3112:
	v_cmp_eq_u16_e64 s0, s3, 29
	s_delay_alu instid0(VALU_DEP_1)
	s_and_b32 vcc_lo, exec_lo, s0
	s_mov_b32 s0, -1
	s_cbranch_vccz .LBB167_3114
; %bb.3113:
	v_cvt_f32_f16_e32 v3, v2
	v_mov_b32_e32 v4, 0
	s_mov_b32 s0, 0
	s_delay_alu instid0(VALU_DEP_2)
	v_cvt_u32_f32_e32 v3, v3
	global_store_b64 v[0:1], v[3:4], off
.LBB167_3114:
	s_mov_b32 s2, 0
.LBB167_3115:
	s_delay_alu instid0(SALU_CYCLE_1)
	s_and_b32 vcc_lo, exec_lo, s2
	s_cbranch_vccz .LBB167_3130
; %bb.3116:
	v_cmp_lt_i16_e64 s2, s3, 27
	s_delay_alu instid0(VALU_DEP_1)
	s_and_b32 vcc_lo, exec_lo, s2
	s_mov_b32 s2, -1
	s_cbranch_vccnz .LBB167_3122
; %bb.3117:
	v_cmp_gt_i16_e64 s2, s3, 27
	s_delay_alu instid0(VALU_DEP_1)
	s_and_b32 vcc_lo, exec_lo, s2
	s_mov_b32 s2, -1
	s_cbranch_vccz .LBB167_3119
; %bb.3118:
	v_cvt_f32_f16_e32 v3, v2
	s_mov_b32 s2, 0
	s_delay_alu instid0(VALU_DEP_1)
	v_cvt_u32_f32_e32 v3, v3
	global_store_b32 v[0:1], v3, off
.LBB167_3119:
	s_and_not1_b32 vcc_lo, exec_lo, s2
	s_cbranch_vccnz .LBB167_3121
; %bb.3120:
	v_cvt_u16_f16_e32 v3, v2
	global_store_b16 v[0:1], v3, off
.LBB167_3121:
	s_mov_b32 s2, 0
.LBB167_3122:
	s_delay_alu instid0(SALU_CYCLE_1)
	s_and_not1_b32 vcc_lo, exec_lo, s2
	s_cbranch_vccnz .LBB167_3130
; %bb.3123:
	v_cvt_f32_f16_e32 v3, v2
	v_mov_b32_e32 v5, 0x80
	s_mov_b32 s2, exec_lo
	s_delay_alu instid0(VALU_DEP_2) | instskip(NEXT) | instid1(VALU_DEP_1)
	v_and_b32_e32 v4, 0x7fffffff, v3
	v_cmpx_gt_u32_e32 0x43800000, v4
	s_cbranch_execz .LBB167_3129
; %bb.3124:
	v_cmp_lt_u32_e32 vcc_lo, 0x3bffffff, v4
	s_mov_b32 s4, 0
                                        ; implicit-def: $vgpr4
	s_and_saveexec_b32 s5, vcc_lo
	s_delay_alu instid0(SALU_CYCLE_1)
	s_xor_b32 s5, exec_lo, s5
	s_cbranch_execz .LBB167_3173
; %bb.3125:
	v_bfe_u32 v4, v3, 20, 1
	s_mov_b32 s4, exec_lo
	s_delay_alu instid0(VALU_DEP_1) | instskip(NEXT) | instid1(VALU_DEP_1)
	v_add3_u32 v4, v3, v4, 0x487ffff
	v_lshrrev_b32_e32 v4, 20, v4
	s_or_saveexec_b32 s5, s5
                                        ; implicit-def: $sgpr6
	s_delay_alu instid0(SALU_CYCLE_1)
	s_xor_b32 exec_lo, exec_lo, s5
	s_cbranch_execnz .LBB167_3174
.LBB167_3126:
	s_or_b32 exec_lo, exec_lo, s5
	v_mov_b32_e32 v5, s6
	s_and_saveexec_b32 s5, s4
.LBB167_3127:
	v_lshrrev_b32_e32 v3, 24, v3
	s_delay_alu instid0(VALU_DEP_1)
	v_and_or_b32 v5, 0x80, v3, v4
.LBB167_3128:
	s_or_b32 exec_lo, exec_lo, s5
.LBB167_3129:
	s_delay_alu instid0(SALU_CYCLE_1)
	s_or_b32 exec_lo, exec_lo, s2
	global_store_b8 v[0:1], v5, off
.LBB167_3130:
	s_mov_b32 s2, 0
.LBB167_3131:
	s_delay_alu instid0(SALU_CYCLE_1)
	s_and_b32 vcc_lo, exec_lo, s2
	s_cbranch_vccz .LBB167_3171
; %bb.3132:
	v_cmp_gt_i16_e64 s1, s3, 22
	s_delay_alu instid0(VALU_DEP_1)
	s_and_b32 vcc_lo, exec_lo, s1
	s_mov_b32 s1, -1
	s_cbranch_vccz .LBB167_3164
; %bb.3133:
	v_cmp_lt_i16_e64 s1, s3, 24
	s_delay_alu instid0(VALU_DEP_1)
	s_and_b32 vcc_lo, exec_lo, s1
	s_mov_b32 s1, -1
	s_cbranch_vccnz .LBB167_3153
; %bb.3134:
	v_cmp_gt_i16_e64 s1, s3, 24
	s_delay_alu instid0(VALU_DEP_1)
	s_and_b32 vcc_lo, exec_lo, s1
	s_mov_b32 s1, -1
	s_cbranch_vccz .LBB167_3142
; %bb.3135:
	v_cvt_f32_f16_e32 v3, v2
	v_mov_b32_e32 v5, 0x80
	s_mov_b32 s1, exec_lo
	s_delay_alu instid0(VALU_DEP_2) | instskip(NEXT) | instid1(VALU_DEP_1)
	v_and_b32_e32 v4, 0x7fffffff, v3
	v_cmpx_gt_u32_e32 0x47800000, v4
	s_cbranch_execz .LBB167_3141
; %bb.3136:
	v_cmp_lt_u32_e32 vcc_lo, 0x37ffffff, v4
	s_mov_b32 s2, 0
                                        ; implicit-def: $vgpr4
	s_and_saveexec_b32 s4, vcc_lo
	s_delay_alu instid0(SALU_CYCLE_1)
	s_xor_b32 s4, exec_lo, s4
	s_cbranch_execz .LBB167_3179
; %bb.3137:
	v_bfe_u32 v4, v3, 21, 1
	s_mov_b32 s2, exec_lo
	s_delay_alu instid0(VALU_DEP_1) | instskip(NEXT) | instid1(VALU_DEP_1)
	v_add3_u32 v4, v3, v4, 0x88fffff
	v_lshrrev_b32_e32 v4, 21, v4
	s_or_saveexec_b32 s4, s4
                                        ; implicit-def: $sgpr5
	s_delay_alu instid0(SALU_CYCLE_1)
	s_xor_b32 exec_lo, exec_lo, s4
	s_cbranch_execnz .LBB167_3180
.LBB167_3138:
	s_or_b32 exec_lo, exec_lo, s4
	v_mov_b32_e32 v5, s5
	s_and_saveexec_b32 s4, s2
.LBB167_3139:
	v_lshrrev_b32_e32 v3, 24, v3
	s_delay_alu instid0(VALU_DEP_1)
	v_and_or_b32 v5, 0x80, v3, v4
.LBB167_3140:
	s_or_b32 exec_lo, exec_lo, s4
.LBB167_3141:
	s_delay_alu instid0(SALU_CYCLE_1)
	s_or_b32 exec_lo, exec_lo, s1
	s_mov_b32 s1, 0
	global_store_b8 v[0:1], v5, off
.LBB167_3142:
	s_and_b32 vcc_lo, exec_lo, s1
	s_cbranch_vccz .LBB167_3152
; %bb.3143:
	v_cvt_f32_f16_e32 v3, v2
	s_mov_b32 s1, exec_lo
                                        ; implicit-def: $vgpr4
	s_delay_alu instid0(VALU_DEP_1) | instskip(NEXT) | instid1(VALU_DEP_1)
	v_and_b32_e32 v5, 0x7fffffff, v3
	v_cmpx_gt_u32_e32 0x43f00000, v5
	s_xor_b32 s1, exec_lo, s1
	s_cbranch_execz .LBB167_3149
; %bb.3144:
	s_mov_b32 s2, exec_lo
                                        ; implicit-def: $vgpr4
	v_cmpx_lt_u32_e32 0x3c7fffff, v5
	s_xor_b32 s2, exec_lo, s2
; %bb.3145:
	v_bfe_u32 v4, v3, 20, 1
	s_delay_alu instid0(VALU_DEP_1) | instskip(NEXT) | instid1(VALU_DEP_1)
	v_add3_u32 v4, v3, v4, 0x407ffff
	v_and_b32_e32 v5, 0xff00000, v4
	v_lshrrev_b32_e32 v4, 20, v4
	s_delay_alu instid0(VALU_DEP_2) | instskip(NEXT) | instid1(VALU_DEP_2)
	v_cmp_ne_u32_e32 vcc_lo, 0x7f00000, v5
	v_cndmask_b32_e32 v4, 0x7e, v4, vcc_lo
; %bb.3146:
	s_and_not1_saveexec_b32 s2, s2
; %bb.3147:
	v_add_f32_e64 v4, 0x46800000, |v3|
; %bb.3148:
	s_or_b32 exec_lo, exec_lo, s2
                                        ; implicit-def: $vgpr5
.LBB167_3149:
	s_and_not1_saveexec_b32 s1, s1
; %bb.3150:
	v_mov_b32_e32 v4, 0x7f
	v_cmp_lt_u32_e32 vcc_lo, 0x7f800000, v5
	s_delay_alu instid0(VALU_DEP_2)
	v_cndmask_b32_e32 v4, 0x7e, v4, vcc_lo
; %bb.3151:
	s_or_b32 exec_lo, exec_lo, s1
	v_lshrrev_b32_e32 v3, 24, v3
	s_delay_alu instid0(VALU_DEP_1)
	v_and_or_b32 v3, 0x80, v3, v4
	global_store_b8 v[0:1], v3, off
.LBB167_3152:
	s_mov_b32 s1, 0
.LBB167_3153:
	s_delay_alu instid0(SALU_CYCLE_1)
	s_and_not1_b32 vcc_lo, exec_lo, s1
	s_cbranch_vccnz .LBB167_3163
; %bb.3154:
	v_cvt_f32_f16_e32 v3, v2
	s_mov_b32 s1, exec_lo
                                        ; implicit-def: $vgpr4
	s_delay_alu instid0(VALU_DEP_1) | instskip(NEXT) | instid1(VALU_DEP_1)
	v_and_b32_e32 v5, 0x7fffffff, v3
	v_cmpx_gt_u32_e32 0x47800000, v5
	s_xor_b32 s1, exec_lo, s1
	s_cbranch_execz .LBB167_3160
; %bb.3155:
	s_mov_b32 s2, exec_lo
                                        ; implicit-def: $vgpr4
	v_cmpx_lt_u32_e32 0x387fffff, v5
	s_xor_b32 s2, exec_lo, s2
; %bb.3156:
	v_bfe_u32 v4, v3, 21, 1
	s_delay_alu instid0(VALU_DEP_1) | instskip(NEXT) | instid1(VALU_DEP_1)
	v_add3_u32 v4, v3, v4, 0x80fffff
	v_lshrrev_b32_e32 v4, 21, v4
; %bb.3157:
	s_and_not1_saveexec_b32 s2, s2
; %bb.3158:
	v_add_f32_e64 v4, 0x43000000, |v3|
; %bb.3159:
	s_or_b32 exec_lo, exec_lo, s2
                                        ; implicit-def: $vgpr5
.LBB167_3160:
	s_and_not1_saveexec_b32 s1, s1
; %bb.3161:
	v_mov_b32_e32 v4, 0x7f
	v_cmp_lt_u32_e32 vcc_lo, 0x7f800000, v5
	s_delay_alu instid0(VALU_DEP_2)
	v_cndmask_b32_e32 v4, 0x7c, v4, vcc_lo
; %bb.3162:
	s_or_b32 exec_lo, exec_lo, s1
	v_lshrrev_b32_e32 v3, 24, v3
	s_delay_alu instid0(VALU_DEP_1)
	v_and_or_b32 v3, 0x80, v3, v4
	global_store_b8 v[0:1], v3, off
.LBB167_3163:
	s_mov_b32 s1, 0
.LBB167_3164:
	s_delay_alu instid0(SALU_CYCLE_1)
	s_and_not1_b32 vcc_lo, exec_lo, s1
	s_mov_b32 s1, 0
	s_cbranch_vccnz .LBB167_3171
; %bb.3165:
	v_cmp_gt_i16_e64 s1, s3, 14
	s_delay_alu instid0(VALU_DEP_1)
	s_and_b32 vcc_lo, exec_lo, s1
	s_mov_b32 s1, -1
	s_cbranch_vccz .LBB167_3169
; %bb.3166:
	v_cmp_eq_u16_e64 s0, s3, 15
	s_delay_alu instid0(VALU_DEP_1)
	s_and_b32 vcc_lo, exec_lo, s0
	s_mov_b32 s0, -1
	s_cbranch_vccz .LBB167_3168
; %bb.3167:
	v_cvt_f32_f16_e32 v3, v2
	v_cmp_o_f16_e32 vcc_lo, v2, v2
	s_mov_b32 s0, 0
	s_delay_alu instid0(VALU_DEP_2) | instskip(NEXT) | instid1(VALU_DEP_1)
	v_bfe_u32 v4, v3, 16, 1
	v_add3_u32 v3, v3, v4, 0x7fff
	s_delay_alu instid0(VALU_DEP_1) | instskip(NEXT) | instid1(VALU_DEP_1)
	v_lshrrev_b32_e32 v3, 16, v3
	v_cndmask_b32_e32 v3, 0x7fc0, v3, vcc_lo
	global_store_b16 v[0:1], v3, off
.LBB167_3168:
	s_mov_b32 s1, 0
.LBB167_3169:
	s_delay_alu instid0(SALU_CYCLE_1)
	s_and_b32 vcc_lo, exec_lo, s1
	s_mov_b32 s1, 0
	s_cbranch_vccz .LBB167_3171
; %bb.3170:
	v_cmp_ne_u16_e64 s0, s3, 11
	s_mov_b32 s1, -1
.LBB167_3171:
	s_delay_alu instid0(VALU_DEP_1)
	s_and_b32 vcc_lo, exec_lo, s0
	s_cbranch_vccnz .LBB167_3177
.LBB167_3172:
	s_mov_b32 s0, 0
	s_branch .LBB167_3050
.LBB167_3173:
	s_or_saveexec_b32 s5, s5
                                        ; implicit-def: $sgpr6
	s_delay_alu instid0(SALU_CYCLE_1)
	s_xor_b32 exec_lo, exec_lo, s5
	s_cbranch_execz .LBB167_3126
.LBB167_3174:
	v_add_f32_e64 v4, 0x46000000, |v3|
	s_and_not1_b32 s4, s4, exec_lo
	s_mov_b32 s6, 0
	s_delay_alu instid0(VALU_DEP_1) | instskip(NEXT) | instid1(VALU_DEP_1)
	v_and_b32_e32 v4, 0xff, v4
	v_cmp_ne_u32_e32 vcc_lo, 0, v4
	s_and_b32 s7, vcc_lo, exec_lo
	s_delay_alu instid0(SALU_CYCLE_1)
	s_or_b32 s4, s4, s7
	s_or_b32 exec_lo, exec_lo, s5
	v_mov_b32_e32 v5, s6
	s_and_saveexec_b32 s5, s4
	s_cbranch_execnz .LBB167_3127
	s_branch .LBB167_3128
.LBB167_3175:
	s_trap 2
	s_sendmsg_rtn_b32 s0, sendmsg(MSG_RTN_GET_DOORBELL)
	s_mov_b32 ttmp2, m0
	s_waitcnt lgkmcnt(0)
	s_and_b32 s0, s0, 0x3ff
	s_delay_alu instid0(SALU_CYCLE_1) | instskip(NEXT) | instid1(SALU_CYCLE_1)
	s_bitset1_b32 s0, 10
	s_mov_b32 m0, s0
	s_sendmsg sendmsg(MSG_INTERRUPT)
	s_mov_b32 m0, ttmp2
.LBB167_3176:                           ; =>This Inner Loop Header: Depth=1
	s_sethalt 5
	s_branch .LBB167_3176
.LBB167_3177:
	s_cbranch_execnz .LBB167_3181
; %bb.3178:
	s_mov_b32 s1, 0
	s_or_b32 s10, s10, exec_lo
	s_branch .LBB167_3172
.LBB167_3179:
	s_or_saveexec_b32 s4, s4
                                        ; implicit-def: $sgpr5
	s_delay_alu instid0(SALU_CYCLE_1)
	s_xor_b32 exec_lo, exec_lo, s4
	s_cbranch_execz .LBB167_3138
.LBB167_3180:
	v_add_f32_e64 v4, 0x42800000, |v3|
	s_and_not1_b32 s2, s2, exec_lo
	s_mov_b32 s5, 0
	s_delay_alu instid0(VALU_DEP_1) | instskip(NEXT) | instid1(VALU_DEP_1)
	v_and_b32_e32 v4, 0xff, v4
	v_cmp_ne_u32_e32 vcc_lo, 0, v4
	s_and_b32 s6, vcc_lo, exec_lo
	s_delay_alu instid0(SALU_CYCLE_1)
	s_or_b32 s2, s2, s6
	s_or_b32 exec_lo, exec_lo, s4
	v_mov_b32_e32 v5, s5
	s_and_saveexec_b32 s4, s2
	s_cbranch_execnz .LBB167_3139
	s_branch .LBB167_3140
.LBB167_3181:
	s_trap 2
	s_sendmsg_rtn_b32 s0, sendmsg(MSG_RTN_GET_DOORBELL)
	s_mov_b32 ttmp2, m0
	s_waitcnt lgkmcnt(0)
	s_and_b32 s0, s0, 0x3ff
	s_delay_alu instid0(SALU_CYCLE_1) | instskip(NEXT) | instid1(SALU_CYCLE_1)
	s_bitset1_b32 s0, 10
	s_mov_b32 m0, s0
	s_sendmsg sendmsg(MSG_INTERRUPT)
	s_mov_b32 m0, ttmp2
.LBB167_3182:                           ; =>This Inner Loop Header: Depth=1
	s_sethalt 5
	s_branch .LBB167_3182
	.section	.rodata,"a",@progbits
	.p2align	6, 0x0
	.amdhsa_kernel _ZN2at6native32elementwise_kernel_manual_unrollILi128ELi4EZNS0_15gpu_kernel_implIZNS0_12_GLOBAL__N_119masked_scale_kernelIhN3c104HalfEfEEvRNS_6TensorERKS7_SA_T1_EUlS6_hE_EEvRNS_18TensorIteratorBaseERKT_EUlibE0_EEviSB_
		.amdhsa_group_segment_fixed_size 0
		.amdhsa_private_segment_fixed_size 0
		.amdhsa_kernarg_size 432
		.amdhsa_user_sgpr_count 15
		.amdhsa_user_sgpr_dispatch_ptr 0
		.amdhsa_user_sgpr_queue_ptr 0
		.amdhsa_user_sgpr_kernarg_segment_ptr 1
		.amdhsa_user_sgpr_dispatch_id 0
		.amdhsa_user_sgpr_private_segment_size 0
		.amdhsa_wavefront_size32 1
		.amdhsa_uses_dynamic_stack 0
		.amdhsa_enable_private_segment 0
		.amdhsa_system_sgpr_workgroup_id_x 1
		.amdhsa_system_sgpr_workgroup_id_y 0
		.amdhsa_system_sgpr_workgroup_id_z 0
		.amdhsa_system_sgpr_workgroup_info 0
		.amdhsa_system_vgpr_workitem_id 0
		.amdhsa_next_free_vgpr 22
		.amdhsa_next_free_sgpr 62
		.amdhsa_reserve_vcc 1
		.amdhsa_float_round_mode_32 0
		.amdhsa_float_round_mode_16_64 0
		.amdhsa_float_denorm_mode_32 3
		.amdhsa_float_denorm_mode_16_64 3
		.amdhsa_dx10_clamp 1
		.amdhsa_ieee_mode 1
		.amdhsa_fp16_overflow 0
		.amdhsa_workgroup_processor_mode 1
		.amdhsa_memory_ordered 1
		.amdhsa_forward_progress 0
		.amdhsa_shared_vgpr_count 0
		.amdhsa_exception_fp_ieee_invalid_op 0
		.amdhsa_exception_fp_denorm_src 0
		.amdhsa_exception_fp_ieee_div_zero 0
		.amdhsa_exception_fp_ieee_overflow 0
		.amdhsa_exception_fp_ieee_underflow 0
		.amdhsa_exception_fp_ieee_inexact 0
		.amdhsa_exception_int_div_zero 0
	.end_amdhsa_kernel
	.section	.text._ZN2at6native32elementwise_kernel_manual_unrollILi128ELi4EZNS0_15gpu_kernel_implIZNS0_12_GLOBAL__N_119masked_scale_kernelIhN3c104HalfEfEEvRNS_6TensorERKS7_SA_T1_EUlS6_hE_EEvRNS_18TensorIteratorBaseERKT_EUlibE0_EEviSB_,"axG",@progbits,_ZN2at6native32elementwise_kernel_manual_unrollILi128ELi4EZNS0_15gpu_kernel_implIZNS0_12_GLOBAL__N_119masked_scale_kernelIhN3c104HalfEfEEvRNS_6TensorERKS7_SA_T1_EUlS6_hE_EEvRNS_18TensorIteratorBaseERKT_EUlibE0_EEviSB_,comdat
.Lfunc_end167:
	.size	_ZN2at6native32elementwise_kernel_manual_unrollILi128ELi4EZNS0_15gpu_kernel_implIZNS0_12_GLOBAL__N_119masked_scale_kernelIhN3c104HalfEfEEvRNS_6TensorERKS7_SA_T1_EUlS6_hE_EEvRNS_18TensorIteratorBaseERKT_EUlibE0_EEviSB_, .Lfunc_end167-_ZN2at6native32elementwise_kernel_manual_unrollILi128ELi4EZNS0_15gpu_kernel_implIZNS0_12_GLOBAL__N_119masked_scale_kernelIhN3c104HalfEfEEvRNS_6TensorERKS7_SA_T1_EUlS6_hE_EEvRNS_18TensorIteratorBaseERKT_EUlibE0_EEviSB_
                                        ; -- End function
	.section	.AMDGPU.csdata,"",@progbits
; Kernel info:
; codeLenInByte = 62732
; NumSgprs: 64
; NumVgprs: 22
; ScratchSize: 0
; MemoryBound: 1
; FloatMode: 240
; IeeeMode: 1
; LDSByteSize: 0 bytes/workgroup (compile time only)
; SGPRBlocks: 7
; VGPRBlocks: 2
; NumSGPRsForWavesPerEU: 64
; NumVGPRsForWavesPerEU: 22
; Occupancy: 16
; WaveLimiterHint : 1
; COMPUTE_PGM_RSRC2:SCRATCH_EN: 0
; COMPUTE_PGM_RSRC2:USER_SGPR: 15
; COMPUTE_PGM_RSRC2:TRAP_HANDLER: 0
; COMPUTE_PGM_RSRC2:TGID_X_EN: 1
; COMPUTE_PGM_RSRC2:TGID_Y_EN: 0
; COMPUTE_PGM_RSRC2:TGID_Z_EN: 0
; COMPUTE_PGM_RSRC2:TIDIG_COMP_CNT: 0
	.section	.text._ZN2at6native29vectorized_elementwise_kernelILi16EZNS0_12_GLOBAL__N_119masked_scale_kernelIhN3c108BFloat16EfEEvRNS_6TensorERKS6_S9_T1_EUlS5_hE_St5arrayIPcLm3EEEEviT0_SA_,"axG",@progbits,_ZN2at6native29vectorized_elementwise_kernelILi16EZNS0_12_GLOBAL__N_119masked_scale_kernelIhN3c108BFloat16EfEEvRNS_6TensorERKS6_S9_T1_EUlS5_hE_St5arrayIPcLm3EEEEviT0_SA_,comdat
	.globl	_ZN2at6native29vectorized_elementwise_kernelILi16EZNS0_12_GLOBAL__N_119masked_scale_kernelIhN3c108BFloat16EfEEvRNS_6TensorERKS6_S9_T1_EUlS5_hE_St5arrayIPcLm3EEEEviT0_SA_ ; -- Begin function _ZN2at6native29vectorized_elementwise_kernelILi16EZNS0_12_GLOBAL__N_119masked_scale_kernelIhN3c108BFloat16EfEEvRNS_6TensorERKS6_S9_T1_EUlS5_hE_St5arrayIPcLm3EEEEviT0_SA_
	.p2align	8
	.type	_ZN2at6native29vectorized_elementwise_kernelILi16EZNS0_12_GLOBAL__N_119masked_scale_kernelIhN3c108BFloat16EfEEvRNS_6TensorERKS6_S9_T1_EUlS5_hE_St5arrayIPcLm3EEEEviT0_SA_,@function
_ZN2at6native29vectorized_elementwise_kernelILi16EZNS0_12_GLOBAL__N_119masked_scale_kernelIhN3c108BFloat16EfEEvRNS_6TensorERKS6_S9_T1_EUlS5_hE_St5arrayIPcLm3EEEEviT0_SA_: ; @_ZN2at6native29vectorized_elementwise_kernelILi16EZNS0_12_GLOBAL__N_119masked_scale_kernelIhN3c108BFloat16EfEEvRNS_6TensorERKS6_S9_T1_EUlS5_hE_St5arrayIPcLm3EEEEviT0_SA_
; %bb.0:
	s_clause 0x2
	s_load_b64 s[8:9], s[0:1], 0x0
	s_load_b128 s[4:7], s[0:1], 0x8
	s_load_b64 s[10:11], s[0:1], 0x18
	s_lshl_b32 s2, s15, 11
	s_mov_b32 s0, -1
	s_waitcnt lgkmcnt(0)
	s_sub_i32 s8, s8, s2
	s_delay_alu instid0(SALU_CYCLE_1)
	s_cmpk_gt_i32 s8, 0x7ff
	s_cbranch_scc0 .LBB168_2
; %bb.1:
	s_ashr_i32 s3, s2, 31
	v_lshlrev_b32_e32 v7, 4, v0
	s_lshl_b64 s[0:1], s[2:3], 1
	s_delay_alu instid0(SALU_CYCLE_1)
	s_add_u32 s12, s6, s0
	s_addc_u32 s13, s7, s1
	global_load_b128 v[1:4], v7, s[12:13]
	s_add_u32 s12, s10, s2
	s_addc_u32 s13, s11, s3
	s_waitcnt vmcnt(0)
	v_lshlrev_b32_e32 v11, 16, v4
	v_and_b32_e32 v4, 0xffff0000, v4
	v_lshlrev_b32_e32 v5, 3, v0
	global_load_b64 v[5:6], v5, s[12:13]
	s_add_u32 s12, s4, s0
	s_addc_u32 s13, s5, s1
	s_mov_b32 s0, 0
	s_waitcnt vmcnt(0)
	v_cvt_f32_ubyte0_e32 v12, v5
	v_cvt_f32_ubyte1_e32 v13, v5
	v_cvt_f32_ubyte2_e32 v14, v5
	v_cvt_f32_ubyte3_e32 v5, v5
	v_cvt_f32_ubyte2_e32 v17, v6
	v_lshlrev_b32_e32 v9, 16, v2
	v_and_b32_e32 v2, 0xffff0000, v2
	v_cvt_f32_ubyte0_e32 v15, v6
	v_cvt_f32_ubyte1_e32 v16, v6
	v_cvt_f32_ubyte3_e32 v6, v6
	v_lshlrev_b32_e32 v10, 16, v3
	v_mul_f32_e32 v2, v2, v5
	s_delay_alu instid0(VALU_DEP_3) | instskip(NEXT) | instid1(VALU_DEP_2)
	v_mul_f32_e32 v4, v4, v6
	v_mul_f32_e32 v2, s9, v2
	;; [unrolled: 1-line block ×3, first 2 shown]
	v_dual_mul_f32 v5, v9, v14 :: v_dual_lshlrev_b32 v8, 16, v1
	s_delay_alu instid0(VALU_DEP_4) | instskip(NEXT) | instid1(VALU_DEP_3)
	v_dual_mul_f32 v4, s9, v4 :: v_dual_and_b32 v1, 0xffff0000, v1
	v_mul_f32_e32 v6, s9, v6
	s_delay_alu instid0(VALU_DEP_3) | instskip(NEXT) | instid1(VALU_DEP_3)
	v_dual_mul_f32 v8, v8, v12 :: v_dual_and_b32 v3, 0xffff0000, v3
	v_mul_f32_e32 v1, v1, v13
	v_mul_f32_e32 v5, s9, v5
	v_bfe_u32 v12, v2, 16, 1
	s_delay_alu instid0(VALU_DEP_4)
	v_mul_f32_e32 v8, s9, v8
	v_mul_f32_e32 v3, v3, v16
	;; [unrolled: 1-line block ×4, first 2 shown]
	v_bfe_u32 v13, v5, 16, 1
	v_add3_u32 v12, v2, v12, 0x7fff
	v_mul_f32_e32 v3, s9, v3
	v_bfe_u32 v10, v1, 16, 1
	v_cmp_o_f32_e32 vcc_lo, v1, v1
	v_add3_u32 v13, v5, v13, 0x7fff
	v_lshrrev_b32_e32 v12, 16, v12
	v_bfe_u32 v14, v3, 16, 1
	v_add3_u32 v10, v1, v10, 0x7fff
	v_bfe_u32 v16, v4, 16, 1
	v_lshrrev_b32_e32 v13, 16, v13
	v_mul_f32_e32 v9, s9, v9
	v_add3_u32 v14, v3, v14, 0x7fff
	v_lshrrev_b32_e32 v10, 16, v10
	v_bfe_u32 v17, v6, 16, 1
	v_add3_u32 v16, v4, v16, 0x7fff
	v_bfe_u32 v15, v9, 16, 1
	v_lshrrev_b32_e32 v14, 16, v14
	v_cndmask_b32_e32 v1, 0x7fc0, v10, vcc_lo
	v_cmp_o_f32_e32 vcc_lo, v2, v2
	v_add3_u32 v17, v6, v17, 0x7fff
	v_lshrrev_b32_e32 v16, 16, v16
	v_bfe_u32 v11, v8, 16, 1
	v_add3_u32 v15, v9, v15, 0x7fff
	v_cndmask_b32_e32 v2, 0x7fc0, v12, vcc_lo
	v_cmp_o_f32_e32 vcc_lo, v5, v5
	v_lshrrev_b32_e32 v17, 16, v17
	v_add3_u32 v11, v8, v11, 0x7fff
	v_lshrrev_b32_e32 v15, 16, v15
	v_cndmask_b32_e32 v5, 0x7fc0, v13, vcc_lo
	v_cmp_o_f32_e32 vcc_lo, v3, v3
	s_delay_alu instid0(VALU_DEP_4) | instskip(NEXT) | instid1(VALU_DEP_3)
	v_lshrrev_b32_e32 v11, 16, v11
	v_perm_b32 v2, v2, v5, 0x5040100
	v_cndmask_b32_e32 v3, 0x7fc0, v14, vcc_lo
	v_cmp_o_f32_e32 vcc_lo, v4, v4
	v_cndmask_b32_e32 v4, 0x7fc0, v16, vcc_lo
	v_cmp_o_f32_e32 vcc_lo, v6, v6
	;; [unrolled: 2-line block ×3, first 2 shown]
	s_delay_alu instid0(VALU_DEP_2) | instskip(SKIP_2) | instid1(VALU_DEP_2)
	v_perm_b32 v4, v4, v6, 0x5040100
	v_cndmask_b32_e32 v9, 0x7fc0, v15, vcc_lo
	v_cmp_o_f32_e32 vcc_lo, v8, v8
	v_perm_b32 v3, v3, v9, 0x5040100
	v_cndmask_b32_e32 v8, 0x7fc0, v11, vcc_lo
	s_delay_alu instid0(VALU_DEP_1)
	v_perm_b32 v1, v1, v8, 0x5040100
	global_store_b128 v7, v[1:4], s[12:13]
.LBB168_2:
	s_and_not1_b32 vcc_lo, exec_lo, s0
	s_cbranch_vccnz .LBB168_43
; %bb.3:
	v_cmp_gt_i32_e32 vcc_lo, s8, v0
	v_dual_mov_b32 v2, 0 :: v_dual_mov_b32 v15, v0
	v_mov_b32_e32 v4, 0
	v_or_b32_e32 v1, s2, v0
	v_or_b32_e32 v3, 0x100, v0
	v_mov_b32_e32 v6, 0
	s_and_saveexec_b32 s1, vcc_lo
	s_cbranch_execz .LBB168_5
; %bb.4:
	v_mov_b32_e32 v2, 0
	v_or_b32_e32 v15, 0x100, v0
	s_delay_alu instid0(VALU_DEP_2) | instskip(NEXT) | instid1(VALU_DEP_1)
	v_lshlrev_b64 v[5:6], 1, v[1:2]
	v_add_co_u32 v5, s0, s6, v5
	s_delay_alu instid0(VALU_DEP_1)
	v_add_co_ci_u32_e64 v6, s0, s7, v6, s0
	global_load_u16 v2, v[5:6], off
	global_load_u8 v6, v1, s[10:11]
.LBB168_5:
	s_or_b32 exec_lo, exec_lo, s1
	v_mov_b32_e32 v7, 0
	s_mov_b32 s1, exec_lo
	v_cmpx_gt_i32_e64 s8, v15
	s_cbranch_execz .LBB168_7
; %bb.6:
	v_dual_mov_b32 v8, 0 :: v_dual_add_nc_u32 v7, s2, v15
	v_add_nc_u32_e32 v15, 0x100, v15
	s_delay_alu instid0(VALU_DEP_2) | instskip(NEXT) | instid1(VALU_DEP_1)
	v_lshlrev_b64 v[4:5], 1, v[7:8]
	v_add_co_u32 v4, s0, s6, v4
	s_delay_alu instid0(VALU_DEP_1)
	v_add_co_ci_u32_e64 v5, s0, s7, v5, s0
	global_load_u16 v4, v[4:5], off
	global_load_u8 v7, v7, s[10:11]
.LBB168_7:
	s_or_b32 exec_lo, exec_lo, s1
	v_dual_mov_b32 v9, 0 :: v_dual_mov_b32 v10, 0
	v_mov_b32_e32 v5, 0
	s_mov_b32 s1, exec_lo
	v_cmpx_gt_i32_e64 s8, v15
	s_cbranch_execz .LBB168_9
; %bb.8:
	v_dual_mov_b32 v9, 0 :: v_dual_add_nc_u32 v8, s2, v15
	v_add_nc_u32_e32 v15, 0x100, v15
	s_delay_alu instid0(VALU_DEP_2) | instskip(NEXT) | instid1(VALU_DEP_1)
	v_lshlrev_b64 v[9:10], 1, v[8:9]
	v_add_co_u32 v9, s0, s6, v9
	s_delay_alu instid0(VALU_DEP_1)
	v_add_co_ci_u32_e64 v10, s0, s7, v10, s0
	global_load_u16 v9, v[9:10], off
	global_load_u8 v10, v8, s[10:11]
.LBB168_9:
	s_or_b32 exec_lo, exec_lo, s1
	v_mov_b32_e32 v11, 0
	s_mov_b32 s1, exec_lo
	v_cmpx_gt_i32_e64 s8, v15
	s_cbranch_execz .LBB168_11
; %bb.10:
	v_dual_mov_b32 v12, 0 :: v_dual_add_nc_u32 v11, s2, v15
	v_add_nc_u32_e32 v15, 0x100, v15
	s_delay_alu instid0(VALU_DEP_2) | instskip(NEXT) | instid1(VALU_DEP_1)
	v_lshlrev_b64 v[12:13], 1, v[11:12]
	v_add_co_u32 v12, s0, s6, v12
	s_delay_alu instid0(VALU_DEP_1)
	v_add_co_ci_u32_e64 v13, s0, s7, v13, s0
	global_load_u16 v5, v[12:13], off
	global_load_u8 v11, v11, s[10:11]
.LBB168_11:
	s_or_b32 exec_lo, exec_lo, s1
	v_dual_mov_b32 v13, 0 :: v_dual_mov_b32 v8, 0
	v_mov_b32_e32 v14, 0
	s_mov_b32 s1, exec_lo
	v_cmpx_gt_i32_e64 s8, v15
	s_cbranch_execz .LBB168_13
; %bb.12:
	v_dual_mov_b32 v13, 0 :: v_dual_add_nc_u32 v12, s2, v15
	v_add_nc_u32_e32 v15, 0x100, v15
	s_delay_alu instid0(VALU_DEP_2) | instskip(NEXT) | instid1(VALU_DEP_1)
	v_lshlrev_b64 v[13:14], 1, v[12:13]
	v_add_co_u32 v13, s0, s6, v13
	s_delay_alu instid0(VALU_DEP_1)
	v_add_co_ci_u32_e64 v14, s0, s7, v14, s0
	global_load_u16 v13, v[13:14], off
	global_load_u8 v14, v12, s[10:11]
.LBB168_13:
	;; [unrolled: 33-line block ×3, first 2 shown]
	s_or_b32 exec_lo, exec_lo, s1
	v_mov_b32_e32 v21, 0
	s_mov_b32 s1, exec_lo
	v_cmpx_gt_i32_e64 s8, v15
	s_cbranch_execz .LBB168_19
; %bb.18:
	v_dual_mov_b32 v19, 0 :: v_dual_add_nc_u32 v18, s2, v15
	s_delay_alu instid0(VALU_DEP_1) | instskip(NEXT) | instid1(VALU_DEP_1)
	v_lshlrev_b64 v[21:22], 1, v[18:19]
	v_add_co_u32 v21, s0, s6, v21
	s_delay_alu instid0(VALU_DEP_1)
	v_add_co_ci_u32_e64 v22, s0, s7, v22, s0
	global_load_u16 v12, v[21:22], off
	global_load_u8 v21, v18, s[10:11]
	s_or_b32 exec_lo, exec_lo, s1
                                        ; implicit-def: $vgpr19
	s_and_saveexec_b32 s1, vcc_lo
	s_cbranch_execz .LBB168_21
	s_branch .LBB168_20
.LBB168_19:
	s_or_b32 exec_lo, exec_lo, s1
                                        ; implicit-def: $vgpr19
	s_and_saveexec_b32 s1, vcc_lo
	s_cbranch_execz .LBB168_21
.LBB168_20:
	s_waitcnt vmcnt(0)
	v_cvt_f32_ubyte0_e32 v6, v6
	v_lshlrev_b32_e32 v2, 16, v2
	s_delay_alu instid0(VALU_DEP_1) | instskip(NEXT) | instid1(VALU_DEP_1)
	v_mul_f32_e32 v2, v6, v2
	v_mul_f32_e32 v2, s9, v2
	s_delay_alu instid0(VALU_DEP_1) | instskip(SKIP_1) | instid1(VALU_DEP_2)
	v_bfe_u32 v6, v2, 16, 1
	v_cmp_o_f32_e64 s0, v2, v2
	v_add3_u32 v6, v2, v6, 0x7fff
	s_delay_alu instid0(VALU_DEP_1) | instskip(NEXT) | instid1(VALU_DEP_1)
	v_lshrrev_b32_e32 v6, 16, v6
	v_cndmask_b32_e64 v19, 0x7fc0, v6, s0
.LBB168_21:
	s_or_b32 exec_lo, exec_lo, s1
	s_delay_alu instid0(SALU_CYCLE_1)
	s_mov_b32 s1, exec_lo
                                        ; implicit-def: $vgpr18
	v_cmpx_gt_i32_e64 s8, v3
	s_cbranch_execz .LBB168_23
; %bb.22:
	s_waitcnt vmcnt(0)
	v_cvt_f32_ubyte0_e32 v2, v7
	v_lshlrev_b32_e32 v4, 16, v4
	s_delay_alu instid0(VALU_DEP_1) | instskip(NEXT) | instid1(VALU_DEP_1)
	v_mul_f32_e32 v2, v2, v4
	v_mul_f32_e32 v2, s9, v2
	s_delay_alu instid0(VALU_DEP_1) | instskip(SKIP_1) | instid1(VALU_DEP_2)
	v_bfe_u32 v4, v2, 16, 1
	v_cmp_o_f32_e64 s0, v2, v2
	v_add3_u32 v4, v2, v4, 0x7fff
	s_delay_alu instid0(VALU_DEP_1) | instskip(NEXT) | instid1(VALU_DEP_1)
	v_lshrrev_b32_e32 v4, 16, v4
	v_cndmask_b32_e64 v18, 0x7fc0, v4, s0
.LBB168_23:
	s_or_b32 exec_lo, exec_lo, s1
	s_waitcnt vmcnt(1)
	v_or_b32_e32 v2, 0x200, v0
	s_mov_b32 s1, exec_lo
                                        ; implicit-def: $vgpr15
	s_delay_alu instid0(VALU_DEP_1)
	v_cmpx_gt_i32_e64 s8, v2
	s_cbranch_execz .LBB168_25
; %bb.24:
	s_waitcnt vmcnt(0)
	v_cvt_f32_ubyte0_e32 v2, v10
	v_lshlrev_b32_e32 v4, 16, v9
	s_delay_alu instid0(VALU_DEP_1) | instskip(NEXT) | instid1(VALU_DEP_1)
	v_mul_f32_e32 v2, v2, v4
	v_mul_f32_e32 v2, s9, v2
	s_delay_alu instid0(VALU_DEP_1) | instskip(SKIP_1) | instid1(VALU_DEP_2)
	v_bfe_u32 v4, v2, 16, 1
	v_cmp_o_f32_e64 s0, v2, v2
	v_add3_u32 v4, v2, v4, 0x7fff
	s_delay_alu instid0(VALU_DEP_1) | instskip(NEXT) | instid1(VALU_DEP_1)
	v_lshrrev_b32_e32 v4, 16, v4
	v_cndmask_b32_e64 v15, 0x7fc0, v4, s0
.LBB168_25:
	s_or_b32 exec_lo, exec_lo, s1
	v_or_b32_e32 v2, 0x300, v0
	s_mov_b32 s1, exec_lo
                                        ; implicit-def: $vgpr9
	s_delay_alu instid0(VALU_DEP_1)
	v_cmpx_gt_i32_e64 s8, v2
	s_cbranch_execz .LBB168_27
; %bb.26:
	s_waitcnt vmcnt(0)
	v_cvt_f32_ubyte0_e32 v2, v11
	v_lshlrev_b32_e32 v4, 16, v5
	s_delay_alu instid0(VALU_DEP_1) | instskip(NEXT) | instid1(VALU_DEP_1)
	v_mul_f32_e32 v2, v2, v4
	v_mul_f32_e32 v2, s9, v2
	s_delay_alu instid0(VALU_DEP_1) | instskip(SKIP_1) | instid1(VALU_DEP_2)
	v_bfe_u32 v4, v2, 16, 1
	v_cmp_o_f32_e64 s0, v2, v2
	v_add3_u32 v4, v2, v4, 0x7fff
	s_delay_alu instid0(VALU_DEP_1) | instskip(NEXT) | instid1(VALU_DEP_1)
	v_lshrrev_b32_e32 v4, 16, v4
	v_cndmask_b32_e64 v9, 0x7fc0, v4, s0
.LBB168_27:
	s_or_b32 exec_lo, exec_lo, s1
	v_or_b32_e32 v2, 0x400, v0
	s_mov_b32 s1, exec_lo
                                        ; implicit-def: $vgpr7
	s_delay_alu instid0(VALU_DEP_1)
	v_cmpx_gt_i32_e64 s8, v2
	s_cbranch_execz .LBB168_29
; %bb.28:
	s_waitcnt vmcnt(0)
	v_cvt_f32_ubyte0_e32 v2, v14
	v_lshlrev_b32_e32 v4, 16, v13
	s_delay_alu instid0(VALU_DEP_1) | instskip(NEXT) | instid1(VALU_DEP_1)
	v_mul_f32_e32 v2, v2, v4
	v_mul_f32_e32 v2, s9, v2
	s_delay_alu instid0(VALU_DEP_1) | instskip(SKIP_1) | instid1(VALU_DEP_2)
	v_bfe_u32 v4, v2, 16, 1
	v_cmp_o_f32_e64 s0, v2, v2
	v_add3_u32 v4, v2, v4, 0x7fff
	s_delay_alu instid0(VALU_DEP_1) | instskip(NEXT) | instid1(VALU_DEP_1)
	v_lshrrev_b32_e32 v4, 16, v4
	v_cndmask_b32_e64 v7, 0x7fc0, v4, s0
.LBB168_29:
	s_or_b32 exec_lo, exec_lo, s1
	v_or_b32_e32 v2, 0x500, v0
	s_mov_b32 s1, exec_lo
                                        ; implicit-def: $vgpr5
	s_delay_alu instid0(VALU_DEP_1)
	v_cmpx_gt_i32_e64 s8, v2
	s_cbranch_execz .LBB168_31
; %bb.30:
	s_waitcnt vmcnt(0)
	v_cvt_f32_ubyte0_e32 v2, v16
	v_lshlrev_b32_e32 v4, 16, v8
	s_delay_alu instid0(VALU_DEP_1) | instskip(NEXT) | instid1(VALU_DEP_1)
	v_mul_f32_e32 v2, v2, v4
	v_mul_f32_e32 v2, s9, v2
	s_delay_alu instid0(VALU_DEP_1) | instskip(SKIP_1) | instid1(VALU_DEP_2)
	v_bfe_u32 v4, v2, 16, 1
	v_cmp_o_f32_e64 s0, v2, v2
	v_add3_u32 v4, v2, v4, 0x7fff
	s_delay_alu instid0(VALU_DEP_1) | instskip(NEXT) | instid1(VALU_DEP_1)
	v_lshrrev_b32_e32 v4, 16, v4
	v_cndmask_b32_e64 v5, 0x7fc0, v4, s0
.LBB168_31:
	s_or_b32 exec_lo, exec_lo, s1
	v_or_b32_e32 v2, 0x600, v0
	s_mov_b32 s1, exec_lo
                                        ; implicit-def: $vgpr4
	s_delay_alu instid0(VALU_DEP_1)
	v_cmpx_gt_i32_e64 s8, v2
	s_cbranch_execz .LBB168_33
; %bb.32:
	s_waitcnt vmcnt(0)
	v_cvt_f32_ubyte0_e32 v2, v20
	v_lshlrev_b32_e32 v4, 16, v17
	s_delay_alu instid0(VALU_DEP_1) | instskip(NEXT) | instid1(VALU_DEP_1)
	v_mul_f32_e32 v2, v2, v4
	v_mul_f32_e32 v2, s9, v2
	s_delay_alu instid0(VALU_DEP_1) | instskip(SKIP_1) | instid1(VALU_DEP_2)
	v_bfe_u32 v4, v2, 16, 1
	v_cmp_o_f32_e64 s0, v2, v2
	v_add3_u32 v4, v2, v4, 0x7fff
	s_delay_alu instid0(VALU_DEP_1) | instskip(NEXT) | instid1(VALU_DEP_1)
	v_lshrrev_b32_e32 v4, 16, v4
	v_cndmask_b32_e64 v4, 0x7fc0, v4, s0
.LBB168_33:
	s_or_b32 exec_lo, exec_lo, s1
	v_or_b32_e32 v2, 0x700, v0
	s_mov_b32 s1, exec_lo
                                        ; implicit-def: $vgpr6
	s_delay_alu instid0(VALU_DEP_1)
	v_cmpx_gt_i32_e64 s8, v2
	s_cbranch_execz .LBB168_44
; %bb.34:
	s_waitcnt vmcnt(0)
	v_cvt_f32_ubyte0_e32 v2, v21
	v_lshlrev_b32_e32 v6, 16, v12
	s_delay_alu instid0(VALU_DEP_1) | instskip(NEXT) | instid1(VALU_DEP_1)
	v_mul_f32_e32 v2, v2, v6
	v_mul_f32_e32 v2, s9, v2
	s_delay_alu instid0(VALU_DEP_1) | instskip(SKIP_1) | instid1(VALU_DEP_2)
	v_bfe_u32 v6, v2, 16, 1
	v_cmp_o_f32_e64 s0, v2, v2
	v_add3_u32 v6, v2, v6, 0x7fff
	s_delay_alu instid0(VALU_DEP_1) | instskip(NEXT) | instid1(VALU_DEP_1)
	v_lshrrev_b32_e32 v6, 16, v6
	v_cndmask_b32_e64 v6, 0x7fc0, v6, s0
	s_or_b32 exec_lo, exec_lo, s1
	s_and_saveexec_b32 s0, vcc_lo
	s_delay_alu instid0(SALU_CYCLE_1)
	s_xor_b32 s0, exec_lo, s0
	s_cbranch_execnz .LBB168_45
.LBB168_35:
	s_or_b32 exec_lo, exec_lo, s0
	s_delay_alu instid0(SALU_CYCLE_1)
	s_mov_b32 s0, exec_lo
	v_cmpx_gt_i32_e64 s8, v0
	s_cbranch_execz .LBB168_46
.LBB168_36:
	v_dual_mov_b32 v2, 0 :: v_dual_add_nc_u32 v1, s2, v0
	v_add_nc_u32_e32 v0, 0x100, v0
	s_delay_alu instid0(VALU_DEP_2) | instskip(NEXT) | instid1(VALU_DEP_1)
	v_lshlrev_b64 v[1:2], 1, v[1:2]
	v_add_co_u32 v1, vcc_lo, s4, v1
	s_delay_alu instid0(VALU_DEP_2) | instskip(SKIP_2) | instid1(SALU_CYCLE_1)
	v_add_co_ci_u32_e32 v2, vcc_lo, s5, v2, vcc_lo
	global_store_b16 v[1:2], v18, off
	s_or_b32 exec_lo, exec_lo, s0
	s_mov_b32 s0, exec_lo
	v_cmpx_gt_i32_e64 s8, v0
	s_cbranch_execnz .LBB168_47
.LBB168_37:
	s_or_b32 exec_lo, exec_lo, s0
	s_delay_alu instid0(SALU_CYCLE_1)
	s_mov_b32 s0, exec_lo
	v_cmpx_gt_i32_e64 s8, v0
	s_cbranch_execz .LBB168_48
.LBB168_38:
	v_dual_mov_b32 v2, 0 :: v_dual_add_nc_u32 v1, s2, v0
	v_add_nc_u32_e32 v0, 0x100, v0
	s_delay_alu instid0(VALU_DEP_2) | instskip(NEXT) | instid1(VALU_DEP_1)
	v_lshlrev_b64 v[1:2], 1, v[1:2]
	v_add_co_u32 v1, vcc_lo, s4, v1
	s_delay_alu instid0(VALU_DEP_2) | instskip(SKIP_2) | instid1(SALU_CYCLE_1)
	v_add_co_ci_u32_e32 v2, vcc_lo, s5, v2, vcc_lo
	global_store_b16 v[1:2], v9, off
	s_or_b32 exec_lo, exec_lo, s0
	s_mov_b32 s0, exec_lo
	v_cmpx_gt_i32_e64 s8, v0
	s_cbranch_execnz .LBB168_49
.LBB168_39:
	s_or_b32 exec_lo, exec_lo, s0
	s_delay_alu instid0(SALU_CYCLE_1)
	s_mov_b32 s0, exec_lo
	v_cmpx_gt_i32_e64 s8, v0
	s_cbranch_execz .LBB168_50
.LBB168_40:
	v_dual_mov_b32 v2, 0 :: v_dual_add_nc_u32 v1, s2, v0
	v_add_nc_u32_e32 v0, 0x100, v0
	s_delay_alu instid0(VALU_DEP_2) | instskip(NEXT) | instid1(VALU_DEP_1)
	v_lshlrev_b64 v[1:2], 1, v[1:2]
	v_add_co_u32 v1, vcc_lo, s4, v1
	s_delay_alu instid0(VALU_DEP_2) | instskip(SKIP_2) | instid1(SALU_CYCLE_1)
	v_add_co_ci_u32_e32 v2, vcc_lo, s5, v2, vcc_lo
	global_store_b16 v[1:2], v5, off
	s_or_b32 exec_lo, exec_lo, s0
	s_mov_b32 s0, exec_lo
	v_cmpx_gt_i32_e64 s8, v0
	s_cbranch_execnz .LBB168_51
.LBB168_41:
	s_or_b32 exec_lo, exec_lo, s0
	s_delay_alu instid0(SALU_CYCLE_1)
	s_mov_b32 s0, exec_lo
	v_cmpx_gt_i32_e64 s8, v0
	s_cbranch_execz .LBB168_43
.LBB168_42:
	v_dual_mov_b32 v1, 0 :: v_dual_add_nc_u32 v0, s2, v0
	s_delay_alu instid0(VALU_DEP_1) | instskip(NEXT) | instid1(VALU_DEP_1)
	v_lshlrev_b64 v[0:1], 1, v[0:1]
	v_add_co_u32 v0, vcc_lo, s4, v0
	s_delay_alu instid0(VALU_DEP_2)
	v_add_co_ci_u32_e32 v1, vcc_lo, s5, v1, vcc_lo
	s_waitcnt vmcnt(0)
	global_store_b16 v[0:1], v6, off
.LBB168_43:
	s_nop 0
	s_sendmsg sendmsg(MSG_DEALLOC_VGPRS)
	s_endpgm
.LBB168_44:
	s_or_b32 exec_lo, exec_lo, s1
	s_and_saveexec_b32 s0, vcc_lo
	s_delay_alu instid0(SALU_CYCLE_1)
	s_xor_b32 s0, exec_lo, s0
	s_cbranch_execz .LBB168_35
.LBB168_45:
	v_mov_b32_e32 v2, 0
	s_delay_alu instid0(VALU_DEP_1) | instskip(SKIP_1) | instid1(VALU_DEP_1)
	v_lshlrev_b64 v[0:1], 1, v[1:2]
	s_waitcnt vmcnt(0)
	v_add_co_u32 v10, vcc_lo, s4, v0
	s_delay_alu instid0(VALU_DEP_2) | instskip(SKIP_3) | instid1(SALU_CYCLE_1)
	v_add_co_ci_u32_e32 v11, vcc_lo, s5, v1, vcc_lo
	v_mov_b32_e32 v0, v3
	global_store_b16 v[10:11], v19, off
	s_or_b32 exec_lo, exec_lo, s0
	s_mov_b32 s0, exec_lo
	v_cmpx_gt_i32_e64 s8, v0
	s_cbranch_execnz .LBB168_36
.LBB168_46:
	s_or_b32 exec_lo, exec_lo, s0
	s_delay_alu instid0(SALU_CYCLE_1)
	s_mov_b32 s0, exec_lo
	v_cmpx_gt_i32_e64 s8, v0
	s_cbranch_execz .LBB168_37
.LBB168_47:
	v_dual_mov_b32 v2, 0 :: v_dual_add_nc_u32 v1, s2, v0
	v_add_nc_u32_e32 v0, 0x100, v0
	s_delay_alu instid0(VALU_DEP_2) | instskip(NEXT) | instid1(VALU_DEP_1)
	v_lshlrev_b64 v[1:2], 1, v[1:2]
	v_add_co_u32 v1, vcc_lo, s4, v1
	s_delay_alu instid0(VALU_DEP_2) | instskip(SKIP_2) | instid1(SALU_CYCLE_1)
	v_add_co_ci_u32_e32 v2, vcc_lo, s5, v2, vcc_lo
	global_store_b16 v[1:2], v15, off
	s_or_b32 exec_lo, exec_lo, s0
	s_mov_b32 s0, exec_lo
	v_cmpx_gt_i32_e64 s8, v0
	s_cbranch_execnz .LBB168_38
.LBB168_48:
	s_or_b32 exec_lo, exec_lo, s0
	s_delay_alu instid0(SALU_CYCLE_1)
	s_mov_b32 s0, exec_lo
	v_cmpx_gt_i32_e64 s8, v0
	s_cbranch_execz .LBB168_39
.LBB168_49:
	v_dual_mov_b32 v2, 0 :: v_dual_add_nc_u32 v1, s2, v0
	v_add_nc_u32_e32 v0, 0x100, v0
	s_delay_alu instid0(VALU_DEP_2) | instskip(NEXT) | instid1(VALU_DEP_1)
	v_lshlrev_b64 v[1:2], 1, v[1:2]
	v_add_co_u32 v1, vcc_lo, s4, v1
	s_delay_alu instid0(VALU_DEP_2) | instskip(SKIP_3) | instid1(SALU_CYCLE_1)
	v_add_co_ci_u32_e32 v2, vcc_lo, s5, v2, vcc_lo
	s_waitcnt vmcnt(0)
	global_store_b16 v[1:2], v7, off
	s_or_b32 exec_lo, exec_lo, s0
	s_mov_b32 s0, exec_lo
	v_cmpx_gt_i32_e64 s8, v0
	s_cbranch_execnz .LBB168_40
.LBB168_50:
	s_or_b32 exec_lo, exec_lo, s0
	s_delay_alu instid0(SALU_CYCLE_1)
	s_mov_b32 s0, exec_lo
	v_cmpx_gt_i32_e64 s8, v0
	s_cbranch_execz .LBB168_41
.LBB168_51:
	v_dual_mov_b32 v2, 0 :: v_dual_add_nc_u32 v1, s2, v0
	v_add_nc_u32_e32 v0, 0x100, v0
	s_delay_alu instid0(VALU_DEP_2) | instskip(NEXT) | instid1(VALU_DEP_1)
	v_lshlrev_b64 v[1:2], 1, v[1:2]
	v_add_co_u32 v1, vcc_lo, s4, v1
	s_delay_alu instid0(VALU_DEP_2) | instskip(SKIP_2) | instid1(SALU_CYCLE_1)
	v_add_co_ci_u32_e32 v2, vcc_lo, s5, v2, vcc_lo
	global_store_b16 v[1:2], v4, off
	s_or_b32 exec_lo, exec_lo, s0
	s_mov_b32 s0, exec_lo
	v_cmpx_gt_i32_e64 s8, v0
	s_cbranch_execnz .LBB168_42
	s_branch .LBB168_43
	.section	.rodata,"a",@progbits
	.p2align	6, 0x0
	.amdhsa_kernel _ZN2at6native29vectorized_elementwise_kernelILi16EZNS0_12_GLOBAL__N_119masked_scale_kernelIhN3c108BFloat16EfEEvRNS_6TensorERKS6_S9_T1_EUlS5_hE_St5arrayIPcLm3EEEEviT0_SA_
		.amdhsa_group_segment_fixed_size 0
		.amdhsa_private_segment_fixed_size 0
		.amdhsa_kernarg_size 32
		.amdhsa_user_sgpr_count 15
		.amdhsa_user_sgpr_dispatch_ptr 0
		.amdhsa_user_sgpr_queue_ptr 0
		.amdhsa_user_sgpr_kernarg_segment_ptr 1
		.amdhsa_user_sgpr_dispatch_id 0
		.amdhsa_user_sgpr_private_segment_size 0
		.amdhsa_wavefront_size32 1
		.amdhsa_uses_dynamic_stack 0
		.amdhsa_enable_private_segment 0
		.amdhsa_system_sgpr_workgroup_id_x 1
		.amdhsa_system_sgpr_workgroup_id_y 0
		.amdhsa_system_sgpr_workgroup_id_z 0
		.amdhsa_system_sgpr_workgroup_info 0
		.amdhsa_system_vgpr_workitem_id 0
		.amdhsa_next_free_vgpr 23
		.amdhsa_next_free_sgpr 16
		.amdhsa_reserve_vcc 1
		.amdhsa_float_round_mode_32 0
		.amdhsa_float_round_mode_16_64 0
		.amdhsa_float_denorm_mode_32 3
		.amdhsa_float_denorm_mode_16_64 3
		.amdhsa_dx10_clamp 1
		.amdhsa_ieee_mode 1
		.amdhsa_fp16_overflow 0
		.amdhsa_workgroup_processor_mode 1
		.amdhsa_memory_ordered 1
		.amdhsa_forward_progress 0
		.amdhsa_shared_vgpr_count 0
		.amdhsa_exception_fp_ieee_invalid_op 0
		.amdhsa_exception_fp_denorm_src 0
		.amdhsa_exception_fp_ieee_div_zero 0
		.amdhsa_exception_fp_ieee_overflow 0
		.amdhsa_exception_fp_ieee_underflow 0
		.amdhsa_exception_fp_ieee_inexact 0
		.amdhsa_exception_int_div_zero 0
	.end_amdhsa_kernel
	.section	.text._ZN2at6native29vectorized_elementwise_kernelILi16EZNS0_12_GLOBAL__N_119masked_scale_kernelIhN3c108BFloat16EfEEvRNS_6TensorERKS6_S9_T1_EUlS5_hE_St5arrayIPcLm3EEEEviT0_SA_,"axG",@progbits,_ZN2at6native29vectorized_elementwise_kernelILi16EZNS0_12_GLOBAL__N_119masked_scale_kernelIhN3c108BFloat16EfEEvRNS_6TensorERKS6_S9_T1_EUlS5_hE_St5arrayIPcLm3EEEEviT0_SA_,comdat
.Lfunc_end168:
	.size	_ZN2at6native29vectorized_elementwise_kernelILi16EZNS0_12_GLOBAL__N_119masked_scale_kernelIhN3c108BFloat16EfEEvRNS_6TensorERKS6_S9_T1_EUlS5_hE_St5arrayIPcLm3EEEEviT0_SA_, .Lfunc_end168-_ZN2at6native29vectorized_elementwise_kernelILi16EZNS0_12_GLOBAL__N_119masked_scale_kernelIhN3c108BFloat16EfEEvRNS_6TensorERKS6_S9_T1_EUlS5_hE_St5arrayIPcLm3EEEEviT0_SA_
                                        ; -- End function
	.section	.AMDGPU.csdata,"",@progbits
; Kernel info:
; codeLenInByte = 3016
; NumSgprs: 18
; NumVgprs: 23
; ScratchSize: 0
; MemoryBound: 0
; FloatMode: 240
; IeeeMode: 1
; LDSByteSize: 0 bytes/workgroup (compile time only)
; SGPRBlocks: 2
; VGPRBlocks: 2
; NumSGPRsForWavesPerEU: 18
; NumVGPRsForWavesPerEU: 23
; Occupancy: 16
; WaveLimiterHint : 0
; COMPUTE_PGM_RSRC2:SCRATCH_EN: 0
; COMPUTE_PGM_RSRC2:USER_SGPR: 15
; COMPUTE_PGM_RSRC2:TRAP_HANDLER: 0
; COMPUTE_PGM_RSRC2:TGID_X_EN: 1
; COMPUTE_PGM_RSRC2:TGID_Y_EN: 0
; COMPUTE_PGM_RSRC2:TGID_Z_EN: 0
; COMPUTE_PGM_RSRC2:TIDIG_COMP_CNT: 0
	.section	.text._ZN2at6native29vectorized_elementwise_kernelILi8EZNS0_12_GLOBAL__N_119masked_scale_kernelIhN3c108BFloat16EfEEvRNS_6TensorERKS6_S9_T1_EUlS5_hE_St5arrayIPcLm3EEEEviT0_SA_,"axG",@progbits,_ZN2at6native29vectorized_elementwise_kernelILi8EZNS0_12_GLOBAL__N_119masked_scale_kernelIhN3c108BFloat16EfEEvRNS_6TensorERKS6_S9_T1_EUlS5_hE_St5arrayIPcLm3EEEEviT0_SA_,comdat
	.globl	_ZN2at6native29vectorized_elementwise_kernelILi8EZNS0_12_GLOBAL__N_119masked_scale_kernelIhN3c108BFloat16EfEEvRNS_6TensorERKS6_S9_T1_EUlS5_hE_St5arrayIPcLm3EEEEviT0_SA_ ; -- Begin function _ZN2at6native29vectorized_elementwise_kernelILi8EZNS0_12_GLOBAL__N_119masked_scale_kernelIhN3c108BFloat16EfEEvRNS_6TensorERKS6_S9_T1_EUlS5_hE_St5arrayIPcLm3EEEEviT0_SA_
	.p2align	8
	.type	_ZN2at6native29vectorized_elementwise_kernelILi8EZNS0_12_GLOBAL__N_119masked_scale_kernelIhN3c108BFloat16EfEEvRNS_6TensorERKS6_S9_T1_EUlS5_hE_St5arrayIPcLm3EEEEviT0_SA_,@function
_ZN2at6native29vectorized_elementwise_kernelILi8EZNS0_12_GLOBAL__N_119masked_scale_kernelIhN3c108BFloat16EfEEvRNS_6TensorERKS6_S9_T1_EUlS5_hE_St5arrayIPcLm3EEEEviT0_SA_: ; @_ZN2at6native29vectorized_elementwise_kernelILi8EZNS0_12_GLOBAL__N_119masked_scale_kernelIhN3c108BFloat16EfEEvRNS_6TensorERKS6_S9_T1_EUlS5_hE_St5arrayIPcLm3EEEEviT0_SA_
; %bb.0:
	s_clause 0x2
	s_load_b64 s[8:9], s[0:1], 0x0
	s_load_b128 s[4:7], s[0:1], 0x8
	s_load_b64 s[10:11], s[0:1], 0x18
	s_lshl_b32 s2, s15, 11
	s_mov_b32 s0, -1
	s_waitcnt lgkmcnt(0)
	s_sub_i32 s8, s8, s2
	s_delay_alu instid0(SALU_CYCLE_1)
	s_cmpk_gt_i32 s8, 0x7ff
	s_cbranch_scc0 .LBB169_2
; %bb.1:
	s_ashr_i32 s3, s2, 31
	v_lshlrev_b32_e32 v7, 4, v0
	s_lshl_b64 s[0:1], s[2:3], 1
	s_delay_alu instid0(SALU_CYCLE_1)
	s_add_u32 s12, s6, s0
	s_addc_u32 s13, s7, s1
	global_load_b128 v[1:4], v7, s[12:13]
	s_add_u32 s12, s10, s2
	s_addc_u32 s13, s11, s3
	s_waitcnt vmcnt(0)
	v_lshlrev_b32_e32 v11, 16, v4
	v_and_b32_e32 v4, 0xffff0000, v4
	v_lshlrev_b32_e32 v5, 3, v0
	global_load_b64 v[5:6], v5, s[12:13]
	s_add_u32 s12, s4, s0
	s_addc_u32 s13, s5, s1
	s_mov_b32 s0, 0
	s_waitcnt vmcnt(0)
	v_cvt_f32_ubyte0_e32 v12, v5
	v_cvt_f32_ubyte1_e32 v13, v5
	v_cvt_f32_ubyte2_e32 v14, v5
	v_cvt_f32_ubyte3_e32 v5, v5
	v_cvt_f32_ubyte2_e32 v17, v6
	v_lshlrev_b32_e32 v9, 16, v2
	v_and_b32_e32 v2, 0xffff0000, v2
	v_cvt_f32_ubyte0_e32 v15, v6
	v_cvt_f32_ubyte1_e32 v16, v6
	v_cvt_f32_ubyte3_e32 v6, v6
	v_lshlrev_b32_e32 v10, 16, v3
	v_mul_f32_e32 v2, v2, v5
	s_delay_alu instid0(VALU_DEP_3) | instskip(NEXT) | instid1(VALU_DEP_2)
	v_mul_f32_e32 v4, v4, v6
	v_mul_f32_e32 v2, s9, v2
	;; [unrolled: 1-line block ×3, first 2 shown]
	v_dual_mul_f32 v5, v9, v14 :: v_dual_lshlrev_b32 v8, 16, v1
	s_delay_alu instid0(VALU_DEP_4) | instskip(NEXT) | instid1(VALU_DEP_3)
	v_dual_mul_f32 v4, s9, v4 :: v_dual_and_b32 v1, 0xffff0000, v1
	v_mul_f32_e32 v6, s9, v6
	s_delay_alu instid0(VALU_DEP_3) | instskip(NEXT) | instid1(VALU_DEP_3)
	v_dual_mul_f32 v8, v8, v12 :: v_dual_and_b32 v3, 0xffff0000, v3
	v_mul_f32_e32 v1, v1, v13
	v_mul_f32_e32 v5, s9, v5
	v_bfe_u32 v12, v2, 16, 1
	s_delay_alu instid0(VALU_DEP_4)
	v_mul_f32_e32 v8, s9, v8
	v_mul_f32_e32 v3, v3, v16
	;; [unrolled: 1-line block ×4, first 2 shown]
	v_bfe_u32 v13, v5, 16, 1
	v_add3_u32 v12, v2, v12, 0x7fff
	v_mul_f32_e32 v3, s9, v3
	v_bfe_u32 v10, v1, 16, 1
	v_cmp_o_f32_e32 vcc_lo, v1, v1
	v_add3_u32 v13, v5, v13, 0x7fff
	v_lshrrev_b32_e32 v12, 16, v12
	v_bfe_u32 v14, v3, 16, 1
	v_add3_u32 v10, v1, v10, 0x7fff
	v_bfe_u32 v16, v4, 16, 1
	v_lshrrev_b32_e32 v13, 16, v13
	v_mul_f32_e32 v9, s9, v9
	v_add3_u32 v14, v3, v14, 0x7fff
	v_lshrrev_b32_e32 v10, 16, v10
	v_bfe_u32 v17, v6, 16, 1
	v_add3_u32 v16, v4, v16, 0x7fff
	v_bfe_u32 v15, v9, 16, 1
	v_lshrrev_b32_e32 v14, 16, v14
	v_cndmask_b32_e32 v1, 0x7fc0, v10, vcc_lo
	v_cmp_o_f32_e32 vcc_lo, v2, v2
	v_add3_u32 v17, v6, v17, 0x7fff
	v_lshrrev_b32_e32 v16, 16, v16
	v_bfe_u32 v11, v8, 16, 1
	v_add3_u32 v15, v9, v15, 0x7fff
	v_cndmask_b32_e32 v2, 0x7fc0, v12, vcc_lo
	v_cmp_o_f32_e32 vcc_lo, v5, v5
	v_lshrrev_b32_e32 v17, 16, v17
	v_add3_u32 v11, v8, v11, 0x7fff
	v_lshrrev_b32_e32 v15, 16, v15
	v_cndmask_b32_e32 v5, 0x7fc0, v13, vcc_lo
	v_cmp_o_f32_e32 vcc_lo, v3, v3
	s_delay_alu instid0(VALU_DEP_4) | instskip(NEXT) | instid1(VALU_DEP_3)
	v_lshrrev_b32_e32 v11, 16, v11
	v_perm_b32 v2, v2, v5, 0x5040100
	v_cndmask_b32_e32 v3, 0x7fc0, v14, vcc_lo
	v_cmp_o_f32_e32 vcc_lo, v4, v4
	v_cndmask_b32_e32 v4, 0x7fc0, v16, vcc_lo
	v_cmp_o_f32_e32 vcc_lo, v6, v6
	;; [unrolled: 2-line block ×3, first 2 shown]
	s_delay_alu instid0(VALU_DEP_2) | instskip(SKIP_2) | instid1(VALU_DEP_2)
	v_perm_b32 v4, v4, v6, 0x5040100
	v_cndmask_b32_e32 v9, 0x7fc0, v15, vcc_lo
	v_cmp_o_f32_e32 vcc_lo, v8, v8
	v_perm_b32 v3, v3, v9, 0x5040100
	v_cndmask_b32_e32 v8, 0x7fc0, v11, vcc_lo
	s_delay_alu instid0(VALU_DEP_1)
	v_perm_b32 v1, v1, v8, 0x5040100
	global_store_b128 v7, v[1:4], s[12:13]
.LBB169_2:
	s_and_not1_b32 vcc_lo, exec_lo, s0
	s_cbranch_vccnz .LBB169_43
; %bb.3:
	v_cmp_gt_i32_e32 vcc_lo, s8, v0
	v_dual_mov_b32 v2, 0 :: v_dual_mov_b32 v15, v0
	v_mov_b32_e32 v4, 0
	v_or_b32_e32 v1, s2, v0
	v_or_b32_e32 v3, 0x100, v0
	v_mov_b32_e32 v6, 0
	s_and_saveexec_b32 s1, vcc_lo
	s_cbranch_execz .LBB169_5
; %bb.4:
	v_mov_b32_e32 v2, 0
	v_or_b32_e32 v15, 0x100, v0
	s_delay_alu instid0(VALU_DEP_2) | instskip(NEXT) | instid1(VALU_DEP_1)
	v_lshlrev_b64 v[5:6], 1, v[1:2]
	v_add_co_u32 v5, s0, s6, v5
	s_delay_alu instid0(VALU_DEP_1)
	v_add_co_ci_u32_e64 v6, s0, s7, v6, s0
	global_load_u16 v2, v[5:6], off
	global_load_u8 v6, v1, s[10:11]
.LBB169_5:
	s_or_b32 exec_lo, exec_lo, s1
	v_mov_b32_e32 v7, 0
	s_mov_b32 s1, exec_lo
	v_cmpx_gt_i32_e64 s8, v15
	s_cbranch_execz .LBB169_7
; %bb.6:
	v_dual_mov_b32 v8, 0 :: v_dual_add_nc_u32 v7, s2, v15
	v_add_nc_u32_e32 v15, 0x100, v15
	s_delay_alu instid0(VALU_DEP_2) | instskip(NEXT) | instid1(VALU_DEP_1)
	v_lshlrev_b64 v[4:5], 1, v[7:8]
	v_add_co_u32 v4, s0, s6, v4
	s_delay_alu instid0(VALU_DEP_1)
	v_add_co_ci_u32_e64 v5, s0, s7, v5, s0
	global_load_u16 v4, v[4:5], off
	global_load_u8 v7, v7, s[10:11]
.LBB169_7:
	s_or_b32 exec_lo, exec_lo, s1
	v_dual_mov_b32 v9, 0 :: v_dual_mov_b32 v10, 0
	v_mov_b32_e32 v5, 0
	s_mov_b32 s1, exec_lo
	v_cmpx_gt_i32_e64 s8, v15
	s_cbranch_execz .LBB169_9
; %bb.8:
	v_dual_mov_b32 v9, 0 :: v_dual_add_nc_u32 v8, s2, v15
	v_add_nc_u32_e32 v15, 0x100, v15
	s_delay_alu instid0(VALU_DEP_2) | instskip(NEXT) | instid1(VALU_DEP_1)
	v_lshlrev_b64 v[9:10], 1, v[8:9]
	v_add_co_u32 v9, s0, s6, v9
	s_delay_alu instid0(VALU_DEP_1)
	v_add_co_ci_u32_e64 v10, s0, s7, v10, s0
	global_load_u16 v9, v[9:10], off
	global_load_u8 v10, v8, s[10:11]
.LBB169_9:
	s_or_b32 exec_lo, exec_lo, s1
	v_mov_b32_e32 v11, 0
	s_mov_b32 s1, exec_lo
	v_cmpx_gt_i32_e64 s8, v15
	s_cbranch_execz .LBB169_11
; %bb.10:
	v_dual_mov_b32 v12, 0 :: v_dual_add_nc_u32 v11, s2, v15
	v_add_nc_u32_e32 v15, 0x100, v15
	s_delay_alu instid0(VALU_DEP_2) | instskip(NEXT) | instid1(VALU_DEP_1)
	v_lshlrev_b64 v[12:13], 1, v[11:12]
	v_add_co_u32 v12, s0, s6, v12
	s_delay_alu instid0(VALU_DEP_1)
	v_add_co_ci_u32_e64 v13, s0, s7, v13, s0
	global_load_u16 v5, v[12:13], off
	global_load_u8 v11, v11, s[10:11]
.LBB169_11:
	s_or_b32 exec_lo, exec_lo, s1
	v_dual_mov_b32 v13, 0 :: v_dual_mov_b32 v8, 0
	v_mov_b32_e32 v14, 0
	s_mov_b32 s1, exec_lo
	v_cmpx_gt_i32_e64 s8, v15
	s_cbranch_execz .LBB169_13
; %bb.12:
	v_dual_mov_b32 v13, 0 :: v_dual_add_nc_u32 v12, s2, v15
	v_add_nc_u32_e32 v15, 0x100, v15
	s_delay_alu instid0(VALU_DEP_2) | instskip(NEXT) | instid1(VALU_DEP_1)
	v_lshlrev_b64 v[13:14], 1, v[12:13]
	v_add_co_u32 v13, s0, s6, v13
	s_delay_alu instid0(VALU_DEP_1)
	v_add_co_ci_u32_e64 v14, s0, s7, v14, s0
	global_load_u16 v13, v[13:14], off
	global_load_u8 v14, v12, s[10:11]
.LBB169_13:
	;; [unrolled: 33-line block ×3, first 2 shown]
	s_or_b32 exec_lo, exec_lo, s1
	v_mov_b32_e32 v21, 0
	s_mov_b32 s1, exec_lo
	v_cmpx_gt_i32_e64 s8, v15
	s_cbranch_execz .LBB169_19
; %bb.18:
	v_dual_mov_b32 v19, 0 :: v_dual_add_nc_u32 v18, s2, v15
	s_delay_alu instid0(VALU_DEP_1) | instskip(NEXT) | instid1(VALU_DEP_1)
	v_lshlrev_b64 v[21:22], 1, v[18:19]
	v_add_co_u32 v21, s0, s6, v21
	s_delay_alu instid0(VALU_DEP_1)
	v_add_co_ci_u32_e64 v22, s0, s7, v22, s0
	global_load_u16 v12, v[21:22], off
	global_load_u8 v21, v18, s[10:11]
	s_or_b32 exec_lo, exec_lo, s1
                                        ; implicit-def: $vgpr19
	s_and_saveexec_b32 s1, vcc_lo
	s_cbranch_execz .LBB169_21
	s_branch .LBB169_20
.LBB169_19:
	s_or_b32 exec_lo, exec_lo, s1
                                        ; implicit-def: $vgpr19
	s_and_saveexec_b32 s1, vcc_lo
	s_cbranch_execz .LBB169_21
.LBB169_20:
	s_waitcnt vmcnt(0)
	v_cvt_f32_ubyte0_e32 v6, v6
	v_lshlrev_b32_e32 v2, 16, v2
	s_delay_alu instid0(VALU_DEP_1) | instskip(NEXT) | instid1(VALU_DEP_1)
	v_mul_f32_e32 v2, v6, v2
	v_mul_f32_e32 v2, s9, v2
	s_delay_alu instid0(VALU_DEP_1) | instskip(SKIP_1) | instid1(VALU_DEP_2)
	v_bfe_u32 v6, v2, 16, 1
	v_cmp_o_f32_e64 s0, v2, v2
	v_add3_u32 v6, v2, v6, 0x7fff
	s_delay_alu instid0(VALU_DEP_1) | instskip(NEXT) | instid1(VALU_DEP_1)
	v_lshrrev_b32_e32 v6, 16, v6
	v_cndmask_b32_e64 v19, 0x7fc0, v6, s0
.LBB169_21:
	s_or_b32 exec_lo, exec_lo, s1
	s_delay_alu instid0(SALU_CYCLE_1)
	s_mov_b32 s1, exec_lo
                                        ; implicit-def: $vgpr18
	v_cmpx_gt_i32_e64 s8, v3
	s_cbranch_execz .LBB169_23
; %bb.22:
	s_waitcnt vmcnt(0)
	v_cvt_f32_ubyte0_e32 v2, v7
	v_lshlrev_b32_e32 v4, 16, v4
	s_delay_alu instid0(VALU_DEP_1) | instskip(NEXT) | instid1(VALU_DEP_1)
	v_mul_f32_e32 v2, v2, v4
	v_mul_f32_e32 v2, s9, v2
	s_delay_alu instid0(VALU_DEP_1) | instskip(SKIP_1) | instid1(VALU_DEP_2)
	v_bfe_u32 v4, v2, 16, 1
	v_cmp_o_f32_e64 s0, v2, v2
	v_add3_u32 v4, v2, v4, 0x7fff
	s_delay_alu instid0(VALU_DEP_1) | instskip(NEXT) | instid1(VALU_DEP_1)
	v_lshrrev_b32_e32 v4, 16, v4
	v_cndmask_b32_e64 v18, 0x7fc0, v4, s0
.LBB169_23:
	s_or_b32 exec_lo, exec_lo, s1
	s_waitcnt vmcnt(1)
	v_or_b32_e32 v2, 0x200, v0
	s_mov_b32 s1, exec_lo
                                        ; implicit-def: $vgpr15
	s_delay_alu instid0(VALU_DEP_1)
	v_cmpx_gt_i32_e64 s8, v2
	s_cbranch_execz .LBB169_25
; %bb.24:
	s_waitcnt vmcnt(0)
	v_cvt_f32_ubyte0_e32 v2, v10
	v_lshlrev_b32_e32 v4, 16, v9
	s_delay_alu instid0(VALU_DEP_1) | instskip(NEXT) | instid1(VALU_DEP_1)
	v_mul_f32_e32 v2, v2, v4
	v_mul_f32_e32 v2, s9, v2
	s_delay_alu instid0(VALU_DEP_1) | instskip(SKIP_1) | instid1(VALU_DEP_2)
	v_bfe_u32 v4, v2, 16, 1
	v_cmp_o_f32_e64 s0, v2, v2
	v_add3_u32 v4, v2, v4, 0x7fff
	s_delay_alu instid0(VALU_DEP_1) | instskip(NEXT) | instid1(VALU_DEP_1)
	v_lshrrev_b32_e32 v4, 16, v4
	v_cndmask_b32_e64 v15, 0x7fc0, v4, s0
.LBB169_25:
	s_or_b32 exec_lo, exec_lo, s1
	v_or_b32_e32 v2, 0x300, v0
	s_mov_b32 s1, exec_lo
                                        ; implicit-def: $vgpr9
	s_delay_alu instid0(VALU_DEP_1)
	v_cmpx_gt_i32_e64 s8, v2
	s_cbranch_execz .LBB169_27
; %bb.26:
	s_waitcnt vmcnt(0)
	v_cvt_f32_ubyte0_e32 v2, v11
	v_lshlrev_b32_e32 v4, 16, v5
	s_delay_alu instid0(VALU_DEP_1) | instskip(NEXT) | instid1(VALU_DEP_1)
	v_mul_f32_e32 v2, v2, v4
	v_mul_f32_e32 v2, s9, v2
	s_delay_alu instid0(VALU_DEP_1) | instskip(SKIP_1) | instid1(VALU_DEP_2)
	v_bfe_u32 v4, v2, 16, 1
	v_cmp_o_f32_e64 s0, v2, v2
	v_add3_u32 v4, v2, v4, 0x7fff
	s_delay_alu instid0(VALU_DEP_1) | instskip(NEXT) | instid1(VALU_DEP_1)
	v_lshrrev_b32_e32 v4, 16, v4
	v_cndmask_b32_e64 v9, 0x7fc0, v4, s0
.LBB169_27:
	s_or_b32 exec_lo, exec_lo, s1
	v_or_b32_e32 v2, 0x400, v0
	s_mov_b32 s1, exec_lo
                                        ; implicit-def: $vgpr7
	s_delay_alu instid0(VALU_DEP_1)
	v_cmpx_gt_i32_e64 s8, v2
	s_cbranch_execz .LBB169_29
; %bb.28:
	s_waitcnt vmcnt(0)
	v_cvt_f32_ubyte0_e32 v2, v14
	v_lshlrev_b32_e32 v4, 16, v13
	s_delay_alu instid0(VALU_DEP_1) | instskip(NEXT) | instid1(VALU_DEP_1)
	v_mul_f32_e32 v2, v2, v4
	v_mul_f32_e32 v2, s9, v2
	s_delay_alu instid0(VALU_DEP_1) | instskip(SKIP_1) | instid1(VALU_DEP_2)
	v_bfe_u32 v4, v2, 16, 1
	v_cmp_o_f32_e64 s0, v2, v2
	v_add3_u32 v4, v2, v4, 0x7fff
	s_delay_alu instid0(VALU_DEP_1) | instskip(NEXT) | instid1(VALU_DEP_1)
	v_lshrrev_b32_e32 v4, 16, v4
	v_cndmask_b32_e64 v7, 0x7fc0, v4, s0
.LBB169_29:
	s_or_b32 exec_lo, exec_lo, s1
	v_or_b32_e32 v2, 0x500, v0
	s_mov_b32 s1, exec_lo
                                        ; implicit-def: $vgpr5
	s_delay_alu instid0(VALU_DEP_1)
	v_cmpx_gt_i32_e64 s8, v2
	s_cbranch_execz .LBB169_31
; %bb.30:
	s_waitcnt vmcnt(0)
	v_cvt_f32_ubyte0_e32 v2, v16
	v_lshlrev_b32_e32 v4, 16, v8
	s_delay_alu instid0(VALU_DEP_1) | instskip(NEXT) | instid1(VALU_DEP_1)
	v_mul_f32_e32 v2, v2, v4
	v_mul_f32_e32 v2, s9, v2
	s_delay_alu instid0(VALU_DEP_1) | instskip(SKIP_1) | instid1(VALU_DEP_2)
	v_bfe_u32 v4, v2, 16, 1
	v_cmp_o_f32_e64 s0, v2, v2
	v_add3_u32 v4, v2, v4, 0x7fff
	s_delay_alu instid0(VALU_DEP_1) | instskip(NEXT) | instid1(VALU_DEP_1)
	v_lshrrev_b32_e32 v4, 16, v4
	v_cndmask_b32_e64 v5, 0x7fc0, v4, s0
.LBB169_31:
	s_or_b32 exec_lo, exec_lo, s1
	v_or_b32_e32 v2, 0x600, v0
	s_mov_b32 s1, exec_lo
                                        ; implicit-def: $vgpr4
	s_delay_alu instid0(VALU_DEP_1)
	v_cmpx_gt_i32_e64 s8, v2
	s_cbranch_execz .LBB169_33
; %bb.32:
	s_waitcnt vmcnt(0)
	v_cvt_f32_ubyte0_e32 v2, v20
	v_lshlrev_b32_e32 v4, 16, v17
	s_delay_alu instid0(VALU_DEP_1) | instskip(NEXT) | instid1(VALU_DEP_1)
	v_mul_f32_e32 v2, v2, v4
	v_mul_f32_e32 v2, s9, v2
	s_delay_alu instid0(VALU_DEP_1) | instskip(SKIP_1) | instid1(VALU_DEP_2)
	v_bfe_u32 v4, v2, 16, 1
	v_cmp_o_f32_e64 s0, v2, v2
	v_add3_u32 v4, v2, v4, 0x7fff
	s_delay_alu instid0(VALU_DEP_1) | instskip(NEXT) | instid1(VALU_DEP_1)
	v_lshrrev_b32_e32 v4, 16, v4
	v_cndmask_b32_e64 v4, 0x7fc0, v4, s0
.LBB169_33:
	s_or_b32 exec_lo, exec_lo, s1
	v_or_b32_e32 v2, 0x700, v0
	s_mov_b32 s1, exec_lo
                                        ; implicit-def: $vgpr6
	s_delay_alu instid0(VALU_DEP_1)
	v_cmpx_gt_i32_e64 s8, v2
	s_cbranch_execz .LBB169_44
; %bb.34:
	s_waitcnt vmcnt(0)
	v_cvt_f32_ubyte0_e32 v2, v21
	v_lshlrev_b32_e32 v6, 16, v12
	s_delay_alu instid0(VALU_DEP_1) | instskip(NEXT) | instid1(VALU_DEP_1)
	v_mul_f32_e32 v2, v2, v6
	v_mul_f32_e32 v2, s9, v2
	s_delay_alu instid0(VALU_DEP_1) | instskip(SKIP_1) | instid1(VALU_DEP_2)
	v_bfe_u32 v6, v2, 16, 1
	v_cmp_o_f32_e64 s0, v2, v2
	v_add3_u32 v6, v2, v6, 0x7fff
	s_delay_alu instid0(VALU_DEP_1) | instskip(NEXT) | instid1(VALU_DEP_1)
	v_lshrrev_b32_e32 v6, 16, v6
	v_cndmask_b32_e64 v6, 0x7fc0, v6, s0
	s_or_b32 exec_lo, exec_lo, s1
	s_and_saveexec_b32 s0, vcc_lo
	s_delay_alu instid0(SALU_CYCLE_1)
	s_xor_b32 s0, exec_lo, s0
	s_cbranch_execnz .LBB169_45
.LBB169_35:
	s_or_b32 exec_lo, exec_lo, s0
	s_delay_alu instid0(SALU_CYCLE_1)
	s_mov_b32 s0, exec_lo
	v_cmpx_gt_i32_e64 s8, v0
	s_cbranch_execz .LBB169_46
.LBB169_36:
	v_dual_mov_b32 v2, 0 :: v_dual_add_nc_u32 v1, s2, v0
	v_add_nc_u32_e32 v0, 0x100, v0
	s_delay_alu instid0(VALU_DEP_2) | instskip(NEXT) | instid1(VALU_DEP_1)
	v_lshlrev_b64 v[1:2], 1, v[1:2]
	v_add_co_u32 v1, vcc_lo, s4, v1
	s_delay_alu instid0(VALU_DEP_2) | instskip(SKIP_2) | instid1(SALU_CYCLE_1)
	v_add_co_ci_u32_e32 v2, vcc_lo, s5, v2, vcc_lo
	global_store_b16 v[1:2], v18, off
	s_or_b32 exec_lo, exec_lo, s0
	s_mov_b32 s0, exec_lo
	v_cmpx_gt_i32_e64 s8, v0
	s_cbranch_execnz .LBB169_47
.LBB169_37:
	s_or_b32 exec_lo, exec_lo, s0
	s_delay_alu instid0(SALU_CYCLE_1)
	s_mov_b32 s0, exec_lo
	v_cmpx_gt_i32_e64 s8, v0
	s_cbranch_execz .LBB169_48
.LBB169_38:
	v_dual_mov_b32 v2, 0 :: v_dual_add_nc_u32 v1, s2, v0
	v_add_nc_u32_e32 v0, 0x100, v0
	s_delay_alu instid0(VALU_DEP_2) | instskip(NEXT) | instid1(VALU_DEP_1)
	v_lshlrev_b64 v[1:2], 1, v[1:2]
	v_add_co_u32 v1, vcc_lo, s4, v1
	s_delay_alu instid0(VALU_DEP_2) | instskip(SKIP_2) | instid1(SALU_CYCLE_1)
	v_add_co_ci_u32_e32 v2, vcc_lo, s5, v2, vcc_lo
	global_store_b16 v[1:2], v9, off
	s_or_b32 exec_lo, exec_lo, s0
	s_mov_b32 s0, exec_lo
	v_cmpx_gt_i32_e64 s8, v0
	s_cbranch_execnz .LBB169_49
.LBB169_39:
	s_or_b32 exec_lo, exec_lo, s0
	s_delay_alu instid0(SALU_CYCLE_1)
	s_mov_b32 s0, exec_lo
	v_cmpx_gt_i32_e64 s8, v0
	s_cbranch_execz .LBB169_50
.LBB169_40:
	v_dual_mov_b32 v2, 0 :: v_dual_add_nc_u32 v1, s2, v0
	v_add_nc_u32_e32 v0, 0x100, v0
	s_delay_alu instid0(VALU_DEP_2) | instskip(NEXT) | instid1(VALU_DEP_1)
	v_lshlrev_b64 v[1:2], 1, v[1:2]
	v_add_co_u32 v1, vcc_lo, s4, v1
	s_delay_alu instid0(VALU_DEP_2) | instskip(SKIP_2) | instid1(SALU_CYCLE_1)
	v_add_co_ci_u32_e32 v2, vcc_lo, s5, v2, vcc_lo
	global_store_b16 v[1:2], v5, off
	s_or_b32 exec_lo, exec_lo, s0
	s_mov_b32 s0, exec_lo
	v_cmpx_gt_i32_e64 s8, v0
	s_cbranch_execnz .LBB169_51
.LBB169_41:
	s_or_b32 exec_lo, exec_lo, s0
	s_delay_alu instid0(SALU_CYCLE_1)
	s_mov_b32 s0, exec_lo
	v_cmpx_gt_i32_e64 s8, v0
	s_cbranch_execz .LBB169_43
.LBB169_42:
	v_dual_mov_b32 v1, 0 :: v_dual_add_nc_u32 v0, s2, v0
	s_delay_alu instid0(VALU_DEP_1) | instskip(NEXT) | instid1(VALU_DEP_1)
	v_lshlrev_b64 v[0:1], 1, v[0:1]
	v_add_co_u32 v0, vcc_lo, s4, v0
	s_delay_alu instid0(VALU_DEP_2)
	v_add_co_ci_u32_e32 v1, vcc_lo, s5, v1, vcc_lo
	s_waitcnt vmcnt(0)
	global_store_b16 v[0:1], v6, off
.LBB169_43:
	s_nop 0
	s_sendmsg sendmsg(MSG_DEALLOC_VGPRS)
	s_endpgm
.LBB169_44:
	s_or_b32 exec_lo, exec_lo, s1
	s_and_saveexec_b32 s0, vcc_lo
	s_delay_alu instid0(SALU_CYCLE_1)
	s_xor_b32 s0, exec_lo, s0
	s_cbranch_execz .LBB169_35
.LBB169_45:
	v_mov_b32_e32 v2, 0
	s_delay_alu instid0(VALU_DEP_1) | instskip(SKIP_1) | instid1(VALU_DEP_1)
	v_lshlrev_b64 v[0:1], 1, v[1:2]
	s_waitcnt vmcnt(0)
	v_add_co_u32 v10, vcc_lo, s4, v0
	s_delay_alu instid0(VALU_DEP_2) | instskip(SKIP_3) | instid1(SALU_CYCLE_1)
	v_add_co_ci_u32_e32 v11, vcc_lo, s5, v1, vcc_lo
	v_mov_b32_e32 v0, v3
	global_store_b16 v[10:11], v19, off
	s_or_b32 exec_lo, exec_lo, s0
	s_mov_b32 s0, exec_lo
	v_cmpx_gt_i32_e64 s8, v0
	s_cbranch_execnz .LBB169_36
.LBB169_46:
	s_or_b32 exec_lo, exec_lo, s0
	s_delay_alu instid0(SALU_CYCLE_1)
	s_mov_b32 s0, exec_lo
	v_cmpx_gt_i32_e64 s8, v0
	s_cbranch_execz .LBB169_37
.LBB169_47:
	v_dual_mov_b32 v2, 0 :: v_dual_add_nc_u32 v1, s2, v0
	v_add_nc_u32_e32 v0, 0x100, v0
	s_delay_alu instid0(VALU_DEP_2) | instskip(NEXT) | instid1(VALU_DEP_1)
	v_lshlrev_b64 v[1:2], 1, v[1:2]
	v_add_co_u32 v1, vcc_lo, s4, v1
	s_delay_alu instid0(VALU_DEP_2) | instskip(SKIP_2) | instid1(SALU_CYCLE_1)
	v_add_co_ci_u32_e32 v2, vcc_lo, s5, v2, vcc_lo
	global_store_b16 v[1:2], v15, off
	s_or_b32 exec_lo, exec_lo, s0
	s_mov_b32 s0, exec_lo
	v_cmpx_gt_i32_e64 s8, v0
	s_cbranch_execnz .LBB169_38
.LBB169_48:
	s_or_b32 exec_lo, exec_lo, s0
	s_delay_alu instid0(SALU_CYCLE_1)
	s_mov_b32 s0, exec_lo
	v_cmpx_gt_i32_e64 s8, v0
	s_cbranch_execz .LBB169_39
.LBB169_49:
	v_dual_mov_b32 v2, 0 :: v_dual_add_nc_u32 v1, s2, v0
	v_add_nc_u32_e32 v0, 0x100, v0
	s_delay_alu instid0(VALU_DEP_2) | instskip(NEXT) | instid1(VALU_DEP_1)
	v_lshlrev_b64 v[1:2], 1, v[1:2]
	v_add_co_u32 v1, vcc_lo, s4, v1
	s_delay_alu instid0(VALU_DEP_2) | instskip(SKIP_3) | instid1(SALU_CYCLE_1)
	v_add_co_ci_u32_e32 v2, vcc_lo, s5, v2, vcc_lo
	s_waitcnt vmcnt(0)
	global_store_b16 v[1:2], v7, off
	s_or_b32 exec_lo, exec_lo, s0
	s_mov_b32 s0, exec_lo
	v_cmpx_gt_i32_e64 s8, v0
	s_cbranch_execnz .LBB169_40
.LBB169_50:
	s_or_b32 exec_lo, exec_lo, s0
	s_delay_alu instid0(SALU_CYCLE_1)
	s_mov_b32 s0, exec_lo
	v_cmpx_gt_i32_e64 s8, v0
	s_cbranch_execz .LBB169_41
.LBB169_51:
	v_dual_mov_b32 v2, 0 :: v_dual_add_nc_u32 v1, s2, v0
	v_add_nc_u32_e32 v0, 0x100, v0
	s_delay_alu instid0(VALU_DEP_2) | instskip(NEXT) | instid1(VALU_DEP_1)
	v_lshlrev_b64 v[1:2], 1, v[1:2]
	v_add_co_u32 v1, vcc_lo, s4, v1
	s_delay_alu instid0(VALU_DEP_2) | instskip(SKIP_2) | instid1(SALU_CYCLE_1)
	v_add_co_ci_u32_e32 v2, vcc_lo, s5, v2, vcc_lo
	global_store_b16 v[1:2], v4, off
	s_or_b32 exec_lo, exec_lo, s0
	s_mov_b32 s0, exec_lo
	v_cmpx_gt_i32_e64 s8, v0
	s_cbranch_execnz .LBB169_42
	s_branch .LBB169_43
	.section	.rodata,"a",@progbits
	.p2align	6, 0x0
	.amdhsa_kernel _ZN2at6native29vectorized_elementwise_kernelILi8EZNS0_12_GLOBAL__N_119masked_scale_kernelIhN3c108BFloat16EfEEvRNS_6TensorERKS6_S9_T1_EUlS5_hE_St5arrayIPcLm3EEEEviT0_SA_
		.amdhsa_group_segment_fixed_size 0
		.amdhsa_private_segment_fixed_size 0
		.amdhsa_kernarg_size 32
		.amdhsa_user_sgpr_count 15
		.amdhsa_user_sgpr_dispatch_ptr 0
		.amdhsa_user_sgpr_queue_ptr 0
		.amdhsa_user_sgpr_kernarg_segment_ptr 1
		.amdhsa_user_sgpr_dispatch_id 0
		.amdhsa_user_sgpr_private_segment_size 0
		.amdhsa_wavefront_size32 1
		.amdhsa_uses_dynamic_stack 0
		.amdhsa_enable_private_segment 0
		.amdhsa_system_sgpr_workgroup_id_x 1
		.amdhsa_system_sgpr_workgroup_id_y 0
		.amdhsa_system_sgpr_workgroup_id_z 0
		.amdhsa_system_sgpr_workgroup_info 0
		.amdhsa_system_vgpr_workitem_id 0
		.amdhsa_next_free_vgpr 23
		.amdhsa_next_free_sgpr 16
		.amdhsa_reserve_vcc 1
		.amdhsa_float_round_mode_32 0
		.amdhsa_float_round_mode_16_64 0
		.amdhsa_float_denorm_mode_32 3
		.amdhsa_float_denorm_mode_16_64 3
		.amdhsa_dx10_clamp 1
		.amdhsa_ieee_mode 1
		.amdhsa_fp16_overflow 0
		.amdhsa_workgroup_processor_mode 1
		.amdhsa_memory_ordered 1
		.amdhsa_forward_progress 0
		.amdhsa_shared_vgpr_count 0
		.amdhsa_exception_fp_ieee_invalid_op 0
		.amdhsa_exception_fp_denorm_src 0
		.amdhsa_exception_fp_ieee_div_zero 0
		.amdhsa_exception_fp_ieee_overflow 0
		.amdhsa_exception_fp_ieee_underflow 0
		.amdhsa_exception_fp_ieee_inexact 0
		.amdhsa_exception_int_div_zero 0
	.end_amdhsa_kernel
	.section	.text._ZN2at6native29vectorized_elementwise_kernelILi8EZNS0_12_GLOBAL__N_119masked_scale_kernelIhN3c108BFloat16EfEEvRNS_6TensorERKS6_S9_T1_EUlS5_hE_St5arrayIPcLm3EEEEviT0_SA_,"axG",@progbits,_ZN2at6native29vectorized_elementwise_kernelILi8EZNS0_12_GLOBAL__N_119masked_scale_kernelIhN3c108BFloat16EfEEvRNS_6TensorERKS6_S9_T1_EUlS5_hE_St5arrayIPcLm3EEEEviT0_SA_,comdat
.Lfunc_end169:
	.size	_ZN2at6native29vectorized_elementwise_kernelILi8EZNS0_12_GLOBAL__N_119masked_scale_kernelIhN3c108BFloat16EfEEvRNS_6TensorERKS6_S9_T1_EUlS5_hE_St5arrayIPcLm3EEEEviT0_SA_, .Lfunc_end169-_ZN2at6native29vectorized_elementwise_kernelILi8EZNS0_12_GLOBAL__N_119masked_scale_kernelIhN3c108BFloat16EfEEvRNS_6TensorERKS6_S9_T1_EUlS5_hE_St5arrayIPcLm3EEEEviT0_SA_
                                        ; -- End function
	.section	.AMDGPU.csdata,"",@progbits
; Kernel info:
; codeLenInByte = 3016
; NumSgprs: 18
; NumVgprs: 23
; ScratchSize: 0
; MemoryBound: 0
; FloatMode: 240
; IeeeMode: 1
; LDSByteSize: 0 bytes/workgroup (compile time only)
; SGPRBlocks: 2
; VGPRBlocks: 2
; NumSGPRsForWavesPerEU: 18
; NumVGPRsForWavesPerEU: 23
; Occupancy: 16
; WaveLimiterHint : 0
; COMPUTE_PGM_RSRC2:SCRATCH_EN: 0
; COMPUTE_PGM_RSRC2:USER_SGPR: 15
; COMPUTE_PGM_RSRC2:TRAP_HANDLER: 0
; COMPUTE_PGM_RSRC2:TGID_X_EN: 1
; COMPUTE_PGM_RSRC2:TGID_Y_EN: 0
; COMPUTE_PGM_RSRC2:TGID_Z_EN: 0
; COMPUTE_PGM_RSRC2:TIDIG_COMP_CNT: 0
	.section	.text._ZN2at6native29vectorized_elementwise_kernelILi4EZNS0_12_GLOBAL__N_119masked_scale_kernelIhN3c108BFloat16EfEEvRNS_6TensorERKS6_S9_T1_EUlS5_hE_St5arrayIPcLm3EEEEviT0_SA_,"axG",@progbits,_ZN2at6native29vectorized_elementwise_kernelILi4EZNS0_12_GLOBAL__N_119masked_scale_kernelIhN3c108BFloat16EfEEvRNS_6TensorERKS6_S9_T1_EUlS5_hE_St5arrayIPcLm3EEEEviT0_SA_,comdat
	.globl	_ZN2at6native29vectorized_elementwise_kernelILi4EZNS0_12_GLOBAL__N_119masked_scale_kernelIhN3c108BFloat16EfEEvRNS_6TensorERKS6_S9_T1_EUlS5_hE_St5arrayIPcLm3EEEEviT0_SA_ ; -- Begin function _ZN2at6native29vectorized_elementwise_kernelILi4EZNS0_12_GLOBAL__N_119masked_scale_kernelIhN3c108BFloat16EfEEvRNS_6TensorERKS6_S9_T1_EUlS5_hE_St5arrayIPcLm3EEEEviT0_SA_
	.p2align	8
	.type	_ZN2at6native29vectorized_elementwise_kernelILi4EZNS0_12_GLOBAL__N_119masked_scale_kernelIhN3c108BFloat16EfEEvRNS_6TensorERKS6_S9_T1_EUlS5_hE_St5arrayIPcLm3EEEEviT0_SA_,@function
_ZN2at6native29vectorized_elementwise_kernelILi4EZNS0_12_GLOBAL__N_119masked_scale_kernelIhN3c108BFloat16EfEEvRNS_6TensorERKS6_S9_T1_EUlS5_hE_St5arrayIPcLm3EEEEviT0_SA_: ; @_ZN2at6native29vectorized_elementwise_kernelILi4EZNS0_12_GLOBAL__N_119masked_scale_kernelIhN3c108BFloat16EfEEvRNS_6TensorERKS6_S9_T1_EUlS5_hE_St5arrayIPcLm3EEEEviT0_SA_
; %bb.0:
	s_clause 0x2
	s_load_b64 s[8:9], s[0:1], 0x0
	s_load_b128 s[4:7], s[0:1], 0x8
	s_load_b64 s[10:11], s[0:1], 0x18
	s_lshl_b32 s2, s15, 11
	s_mov_b32 s0, -1
	s_waitcnt lgkmcnt(0)
	s_sub_i32 s8, s8, s2
	s_delay_alu instid0(SALU_CYCLE_1)
	s_cmpk_gt_i32 s8, 0x7ff
	s_cbranch_scc0 .LBB170_2
; %bb.1:
	s_ashr_i32 s3, s2, 31
	v_lshlrev_b32_e32 v5, 3, v0
	s_lshl_b64 s[0:1], s[2:3], 1
	s_delay_alu instid0(SALU_CYCLE_1)
	s_add_u32 s12, s6, s0
	s_addc_u32 s13, s7, s1
	s_clause 0x1
	global_load_b64 v[1:2], v5, s[12:13]
	global_load_b64 v[3:4], v5, s[12:13] offset:2048
	s_add_u32 s12, s10, s2
	s_addc_u32 s13, s11, s3
	s_waitcnt vmcnt(0)
	v_and_b32_e32 v11, 0xffff0000, v4
	v_lshlrev_b32_e32 v4, 16, v4
	v_and_b32_e32 v9, 0xffff0000, v2
	v_lshlrev_b32_e32 v6, 2, v0
	s_clause 0x1
	global_load_b32 v7, v6, s[12:13]
	global_load_b32 v6, v6, s[12:13] offset:1024
	s_add_u32 s12, s4, s0
	s_addc_u32 s13, s5, s1
	s_mov_b32 s0, 0
	s_waitcnt vmcnt(1)
	v_cvt_f32_ubyte0_e32 v12, v7
	v_cvt_f32_ubyte1_e32 v13, v7
	v_cvt_f32_ubyte2_e32 v14, v7
	v_cvt_f32_ubyte3_e32 v7, v7
	s_waitcnt vmcnt(0)
	v_cvt_f32_ubyte0_e32 v15, v6
	v_lshlrev_b32_e32 v2, 16, v2
	v_cvt_f32_ubyte2_e32 v17, v6
	v_and_b32_e32 v8, 0xffff0000, v1
	v_cvt_f32_ubyte1_e32 v16, v6
	v_cvt_f32_ubyte3_e32 v6, v6
	v_dual_mul_f32 v2, v2, v14 :: v_dual_lshlrev_b32 v1, 16, v1
	v_dual_mul_f32 v4, v4, v17 :: v_dual_mul_f32 v7, v9, v7
	s_delay_alu instid0(VALU_DEP_3) | instskip(NEXT) | instid1(VALU_DEP_3)
	v_mul_f32_e32 v6, v11, v6
	v_dual_mul_f32 v2, s9, v2 :: v_dual_mul_f32 v1, v1, v12
	v_and_b32_e32 v10, 0xffff0000, v3
	s_delay_alu instid0(VALU_DEP_4) | instskip(SKIP_1) | instid1(VALU_DEP_4)
	v_dual_mul_f32 v7, s9, v7 :: v_dual_mul_f32 v8, v8, v13
	v_lshlrev_b32_e32 v3, 16, v3
	v_mul_f32_e32 v1, s9, v1
	s_delay_alu instid0(VALU_DEP_4) | instskip(NEXT) | instid1(VALU_DEP_4)
	v_mul_f32_e32 v9, v10, v16
	v_bfe_u32 v13, v7, 16, 1
	v_mul_f32_e32 v8, s9, v8
	v_bfe_u32 v12, v2, 16, 1
	v_cmp_o_f32_e32 vcc_lo, v7, v7
	v_mul_f32_e32 v3, v3, v15
	v_add3_u32 v13, v7, v13, 0x7fff
	v_bfe_u32 v11, v8, 16, 1
	v_add3_u32 v12, v2, v12, 0x7fff
	v_dual_mul_f32 v9, s9, v9 :: v_dual_mul_f32 v6, s9, v6
	s_delay_alu instid0(VALU_DEP_4)
	v_and_b32_e32 v13, 0xffff0000, v13
	v_bfe_u32 v10, v1, 16, 1
	v_add3_u32 v11, v8, v11, 0x7fff
	v_lshrrev_b32_e32 v12, 16, v12
	v_dual_mul_f32 v3, s9, v3 :: v_dual_mul_f32 v4, s9, v4
	v_cndmask_b32_e32 v7, 0x7fc00000, v13, vcc_lo
	v_cmp_o_f32_e32 vcc_lo, v2, v2
	v_bfe_u32 v15, v9, 16, 1
	v_add3_u32 v10, v1, v10, 0x7fff
	v_and_b32_e32 v11, 0xffff0000, v11
	v_bfe_u32 v14, v3, 16, 1
	v_cndmask_b32_e32 v2, 0x7fc0, v12, vcc_lo
	v_cmp_o_f32_e32 vcc_lo, v8, v8
	v_add3_u32 v15, v9, v15, 0x7fff
	v_lshrrev_b32_e32 v10, 16, v10
	v_bfe_u32 v17, v6, 16, 1
	v_add3_u32 v14, v3, v14, 0x7fff
	v_cndmask_b32_e32 v8, 0x7fc00000, v11, vcc_lo
	v_cmp_o_f32_e32 vcc_lo, v1, v1
	v_and_b32_e32 v15, 0xffff0000, v15
	v_bfe_u32 v16, v4, 16, 1
	v_add3_u32 v17, v6, v17, 0x7fff
	v_lshrrev_b32_e32 v14, 16, v14
	v_cndmask_b32_e32 v1, 0x7fc0, v10, vcc_lo
	v_cmp_o_f32_e32 vcc_lo, v9, v9
	v_add3_u32 v16, v4, v16, 0x7fff
	v_and_b32_e32 v17, 0xffff0000, v17
	v_or3_b32 v2, 0, v2, v7
	v_or_b32_e32 v1, v8, v1
	v_cndmask_b32_e32 v9, 0x7fc00000, v15, vcc_lo
	v_cmp_o_f32_e32 vcc_lo, v3, v3
	v_lshrrev_b32_e32 v16, 16, v16
	s_delay_alu instid0(VALU_DEP_4) | instskip(SKIP_2) | instid1(VALU_DEP_2)
	v_or3_b32 v1, v1, 0, 0
	v_cndmask_b32_e32 v3, 0x7fc0, v14, vcc_lo
	v_cmp_o_f32_e32 vcc_lo, v6, v6
	v_or_b32_e32 v3, v9, v3
	v_cndmask_b32_e32 v6, 0x7fc00000, v17, vcc_lo
	v_cmp_o_f32_e32 vcc_lo, v4, v4
	s_delay_alu instid0(VALU_DEP_3) | instskip(SKIP_1) | instid1(VALU_DEP_1)
	v_or3_b32 v3, v3, 0, 0
	v_cndmask_b32_e32 v4, 0x7fc0, v16, vcc_lo
	v_or3_b32 v4, 0, v4, v6
	s_clause 0x1
	global_store_b64 v5, v[1:2], s[12:13]
	global_store_b64 v5, v[3:4], s[12:13] offset:2048
.LBB170_2:
	s_and_not1_b32 vcc_lo, exec_lo, s0
	s_cbranch_vccnz .LBB170_43
; %bb.3:
	v_cmp_gt_i32_e32 vcc_lo, s8, v0
	v_dual_mov_b32 v2, 0 :: v_dual_mov_b32 v15, v0
	v_mov_b32_e32 v4, 0
	v_or_b32_e32 v1, s2, v0
	v_or_b32_e32 v3, 0x100, v0
	v_mov_b32_e32 v6, 0
	s_and_saveexec_b32 s1, vcc_lo
	s_cbranch_execz .LBB170_5
; %bb.4:
	v_mov_b32_e32 v2, 0
	v_or_b32_e32 v15, 0x100, v0
	s_delay_alu instid0(VALU_DEP_2) | instskip(NEXT) | instid1(VALU_DEP_1)
	v_lshlrev_b64 v[5:6], 1, v[1:2]
	v_add_co_u32 v5, s0, s6, v5
	s_delay_alu instid0(VALU_DEP_1)
	v_add_co_ci_u32_e64 v6, s0, s7, v6, s0
	global_load_u16 v2, v[5:6], off
	global_load_u8 v6, v1, s[10:11]
.LBB170_5:
	s_or_b32 exec_lo, exec_lo, s1
	v_mov_b32_e32 v7, 0
	s_mov_b32 s1, exec_lo
	v_cmpx_gt_i32_e64 s8, v15
	s_cbranch_execz .LBB170_7
; %bb.6:
	v_dual_mov_b32 v8, 0 :: v_dual_add_nc_u32 v7, s2, v15
	v_add_nc_u32_e32 v15, 0x100, v15
	s_delay_alu instid0(VALU_DEP_2) | instskip(NEXT) | instid1(VALU_DEP_1)
	v_lshlrev_b64 v[4:5], 1, v[7:8]
	v_add_co_u32 v4, s0, s6, v4
	s_delay_alu instid0(VALU_DEP_1)
	v_add_co_ci_u32_e64 v5, s0, s7, v5, s0
	global_load_u16 v4, v[4:5], off
	global_load_u8 v7, v7, s[10:11]
.LBB170_7:
	s_or_b32 exec_lo, exec_lo, s1
	v_dual_mov_b32 v9, 0 :: v_dual_mov_b32 v10, 0
	v_mov_b32_e32 v5, 0
	s_mov_b32 s1, exec_lo
	v_cmpx_gt_i32_e64 s8, v15
	s_cbranch_execz .LBB170_9
; %bb.8:
	v_dual_mov_b32 v9, 0 :: v_dual_add_nc_u32 v8, s2, v15
	v_add_nc_u32_e32 v15, 0x100, v15
	s_delay_alu instid0(VALU_DEP_2) | instskip(NEXT) | instid1(VALU_DEP_1)
	v_lshlrev_b64 v[9:10], 1, v[8:9]
	v_add_co_u32 v9, s0, s6, v9
	s_delay_alu instid0(VALU_DEP_1)
	v_add_co_ci_u32_e64 v10, s0, s7, v10, s0
	global_load_u16 v9, v[9:10], off
	global_load_u8 v10, v8, s[10:11]
.LBB170_9:
	s_or_b32 exec_lo, exec_lo, s1
	v_mov_b32_e32 v11, 0
	s_mov_b32 s1, exec_lo
	v_cmpx_gt_i32_e64 s8, v15
	s_cbranch_execz .LBB170_11
; %bb.10:
	v_dual_mov_b32 v12, 0 :: v_dual_add_nc_u32 v11, s2, v15
	v_add_nc_u32_e32 v15, 0x100, v15
	s_delay_alu instid0(VALU_DEP_2) | instskip(NEXT) | instid1(VALU_DEP_1)
	v_lshlrev_b64 v[12:13], 1, v[11:12]
	v_add_co_u32 v12, s0, s6, v12
	s_delay_alu instid0(VALU_DEP_1)
	v_add_co_ci_u32_e64 v13, s0, s7, v13, s0
	global_load_u16 v5, v[12:13], off
	global_load_u8 v11, v11, s[10:11]
.LBB170_11:
	s_or_b32 exec_lo, exec_lo, s1
	v_dual_mov_b32 v13, 0 :: v_dual_mov_b32 v8, 0
	v_mov_b32_e32 v14, 0
	s_mov_b32 s1, exec_lo
	v_cmpx_gt_i32_e64 s8, v15
	s_cbranch_execz .LBB170_13
; %bb.12:
	v_dual_mov_b32 v13, 0 :: v_dual_add_nc_u32 v12, s2, v15
	v_add_nc_u32_e32 v15, 0x100, v15
	s_delay_alu instid0(VALU_DEP_2) | instskip(NEXT) | instid1(VALU_DEP_1)
	v_lshlrev_b64 v[13:14], 1, v[12:13]
	v_add_co_u32 v13, s0, s6, v13
	s_delay_alu instid0(VALU_DEP_1)
	v_add_co_ci_u32_e64 v14, s0, s7, v14, s0
	global_load_u16 v13, v[13:14], off
	global_load_u8 v14, v12, s[10:11]
.LBB170_13:
	;; [unrolled: 33-line block ×3, first 2 shown]
	s_or_b32 exec_lo, exec_lo, s1
	v_mov_b32_e32 v21, 0
	s_mov_b32 s1, exec_lo
	v_cmpx_gt_i32_e64 s8, v15
	s_cbranch_execz .LBB170_19
; %bb.18:
	v_dual_mov_b32 v19, 0 :: v_dual_add_nc_u32 v18, s2, v15
	s_delay_alu instid0(VALU_DEP_1) | instskip(NEXT) | instid1(VALU_DEP_1)
	v_lshlrev_b64 v[21:22], 1, v[18:19]
	v_add_co_u32 v21, s0, s6, v21
	s_delay_alu instid0(VALU_DEP_1)
	v_add_co_ci_u32_e64 v22, s0, s7, v22, s0
	global_load_u16 v12, v[21:22], off
	global_load_u8 v21, v18, s[10:11]
	s_or_b32 exec_lo, exec_lo, s1
                                        ; implicit-def: $vgpr19
	s_and_saveexec_b32 s1, vcc_lo
	s_cbranch_execz .LBB170_21
	s_branch .LBB170_20
.LBB170_19:
	s_or_b32 exec_lo, exec_lo, s1
                                        ; implicit-def: $vgpr19
	s_and_saveexec_b32 s1, vcc_lo
	s_cbranch_execz .LBB170_21
.LBB170_20:
	s_waitcnt vmcnt(0)
	v_cvt_f32_ubyte0_e32 v6, v6
	v_lshlrev_b32_e32 v2, 16, v2
	s_delay_alu instid0(VALU_DEP_1) | instskip(NEXT) | instid1(VALU_DEP_1)
	v_mul_f32_e32 v2, v6, v2
	v_mul_f32_e32 v2, s9, v2
	s_delay_alu instid0(VALU_DEP_1) | instskip(SKIP_1) | instid1(VALU_DEP_2)
	v_bfe_u32 v6, v2, 16, 1
	v_cmp_o_f32_e64 s0, v2, v2
	v_add3_u32 v6, v2, v6, 0x7fff
	s_delay_alu instid0(VALU_DEP_1) | instskip(NEXT) | instid1(VALU_DEP_1)
	v_lshrrev_b32_e32 v6, 16, v6
	v_cndmask_b32_e64 v19, 0x7fc0, v6, s0
.LBB170_21:
	s_or_b32 exec_lo, exec_lo, s1
	s_delay_alu instid0(SALU_CYCLE_1)
	s_mov_b32 s1, exec_lo
                                        ; implicit-def: $vgpr18
	v_cmpx_gt_i32_e64 s8, v3
	s_cbranch_execz .LBB170_23
; %bb.22:
	s_waitcnt vmcnt(0)
	v_cvt_f32_ubyte0_e32 v2, v7
	v_lshlrev_b32_e32 v4, 16, v4
	s_delay_alu instid0(VALU_DEP_1) | instskip(NEXT) | instid1(VALU_DEP_1)
	v_mul_f32_e32 v2, v2, v4
	v_mul_f32_e32 v2, s9, v2
	s_delay_alu instid0(VALU_DEP_1) | instskip(SKIP_1) | instid1(VALU_DEP_2)
	v_bfe_u32 v4, v2, 16, 1
	v_cmp_o_f32_e64 s0, v2, v2
	v_add3_u32 v4, v2, v4, 0x7fff
	s_delay_alu instid0(VALU_DEP_1) | instskip(NEXT) | instid1(VALU_DEP_1)
	v_lshrrev_b32_e32 v4, 16, v4
	v_cndmask_b32_e64 v18, 0x7fc0, v4, s0
.LBB170_23:
	s_or_b32 exec_lo, exec_lo, s1
	s_waitcnt vmcnt(1)
	v_or_b32_e32 v2, 0x200, v0
	s_mov_b32 s1, exec_lo
                                        ; implicit-def: $vgpr15
	s_delay_alu instid0(VALU_DEP_1)
	v_cmpx_gt_i32_e64 s8, v2
	s_cbranch_execz .LBB170_25
; %bb.24:
	s_waitcnt vmcnt(0)
	v_cvt_f32_ubyte0_e32 v2, v10
	v_lshlrev_b32_e32 v4, 16, v9
	s_delay_alu instid0(VALU_DEP_1) | instskip(NEXT) | instid1(VALU_DEP_1)
	v_mul_f32_e32 v2, v2, v4
	v_mul_f32_e32 v2, s9, v2
	s_delay_alu instid0(VALU_DEP_1) | instskip(SKIP_1) | instid1(VALU_DEP_2)
	v_bfe_u32 v4, v2, 16, 1
	v_cmp_o_f32_e64 s0, v2, v2
	v_add3_u32 v4, v2, v4, 0x7fff
	s_delay_alu instid0(VALU_DEP_1) | instskip(NEXT) | instid1(VALU_DEP_1)
	v_lshrrev_b32_e32 v4, 16, v4
	v_cndmask_b32_e64 v15, 0x7fc0, v4, s0
.LBB170_25:
	s_or_b32 exec_lo, exec_lo, s1
	v_or_b32_e32 v2, 0x300, v0
	s_mov_b32 s1, exec_lo
                                        ; implicit-def: $vgpr9
	s_delay_alu instid0(VALU_DEP_1)
	v_cmpx_gt_i32_e64 s8, v2
	s_cbranch_execz .LBB170_27
; %bb.26:
	s_waitcnt vmcnt(0)
	v_cvt_f32_ubyte0_e32 v2, v11
	v_lshlrev_b32_e32 v4, 16, v5
	s_delay_alu instid0(VALU_DEP_1) | instskip(NEXT) | instid1(VALU_DEP_1)
	v_mul_f32_e32 v2, v2, v4
	v_mul_f32_e32 v2, s9, v2
	s_delay_alu instid0(VALU_DEP_1) | instskip(SKIP_1) | instid1(VALU_DEP_2)
	v_bfe_u32 v4, v2, 16, 1
	v_cmp_o_f32_e64 s0, v2, v2
	v_add3_u32 v4, v2, v4, 0x7fff
	s_delay_alu instid0(VALU_DEP_1) | instskip(NEXT) | instid1(VALU_DEP_1)
	v_lshrrev_b32_e32 v4, 16, v4
	v_cndmask_b32_e64 v9, 0x7fc0, v4, s0
.LBB170_27:
	s_or_b32 exec_lo, exec_lo, s1
	v_or_b32_e32 v2, 0x400, v0
	s_mov_b32 s1, exec_lo
                                        ; implicit-def: $vgpr7
	s_delay_alu instid0(VALU_DEP_1)
	v_cmpx_gt_i32_e64 s8, v2
	s_cbranch_execz .LBB170_29
; %bb.28:
	s_waitcnt vmcnt(0)
	v_cvt_f32_ubyte0_e32 v2, v14
	v_lshlrev_b32_e32 v4, 16, v13
	s_delay_alu instid0(VALU_DEP_1) | instskip(NEXT) | instid1(VALU_DEP_1)
	v_mul_f32_e32 v2, v2, v4
	v_mul_f32_e32 v2, s9, v2
	s_delay_alu instid0(VALU_DEP_1) | instskip(SKIP_1) | instid1(VALU_DEP_2)
	v_bfe_u32 v4, v2, 16, 1
	v_cmp_o_f32_e64 s0, v2, v2
	v_add3_u32 v4, v2, v4, 0x7fff
	s_delay_alu instid0(VALU_DEP_1) | instskip(NEXT) | instid1(VALU_DEP_1)
	v_lshrrev_b32_e32 v4, 16, v4
	v_cndmask_b32_e64 v7, 0x7fc0, v4, s0
.LBB170_29:
	s_or_b32 exec_lo, exec_lo, s1
	v_or_b32_e32 v2, 0x500, v0
	s_mov_b32 s1, exec_lo
                                        ; implicit-def: $vgpr5
	s_delay_alu instid0(VALU_DEP_1)
	v_cmpx_gt_i32_e64 s8, v2
	s_cbranch_execz .LBB170_31
; %bb.30:
	s_waitcnt vmcnt(0)
	v_cvt_f32_ubyte0_e32 v2, v16
	v_lshlrev_b32_e32 v4, 16, v8
	s_delay_alu instid0(VALU_DEP_1) | instskip(NEXT) | instid1(VALU_DEP_1)
	v_mul_f32_e32 v2, v2, v4
	v_mul_f32_e32 v2, s9, v2
	s_delay_alu instid0(VALU_DEP_1) | instskip(SKIP_1) | instid1(VALU_DEP_2)
	v_bfe_u32 v4, v2, 16, 1
	v_cmp_o_f32_e64 s0, v2, v2
	v_add3_u32 v4, v2, v4, 0x7fff
	s_delay_alu instid0(VALU_DEP_1) | instskip(NEXT) | instid1(VALU_DEP_1)
	v_lshrrev_b32_e32 v4, 16, v4
	v_cndmask_b32_e64 v5, 0x7fc0, v4, s0
.LBB170_31:
	s_or_b32 exec_lo, exec_lo, s1
	v_or_b32_e32 v2, 0x600, v0
	s_mov_b32 s1, exec_lo
                                        ; implicit-def: $vgpr4
	s_delay_alu instid0(VALU_DEP_1)
	v_cmpx_gt_i32_e64 s8, v2
	s_cbranch_execz .LBB170_33
; %bb.32:
	s_waitcnt vmcnt(0)
	v_cvt_f32_ubyte0_e32 v2, v20
	v_lshlrev_b32_e32 v4, 16, v17
	s_delay_alu instid0(VALU_DEP_1) | instskip(NEXT) | instid1(VALU_DEP_1)
	v_mul_f32_e32 v2, v2, v4
	v_mul_f32_e32 v2, s9, v2
	s_delay_alu instid0(VALU_DEP_1) | instskip(SKIP_1) | instid1(VALU_DEP_2)
	v_bfe_u32 v4, v2, 16, 1
	v_cmp_o_f32_e64 s0, v2, v2
	v_add3_u32 v4, v2, v4, 0x7fff
	s_delay_alu instid0(VALU_DEP_1) | instskip(NEXT) | instid1(VALU_DEP_1)
	v_lshrrev_b32_e32 v4, 16, v4
	v_cndmask_b32_e64 v4, 0x7fc0, v4, s0
.LBB170_33:
	s_or_b32 exec_lo, exec_lo, s1
	v_or_b32_e32 v2, 0x700, v0
	s_mov_b32 s1, exec_lo
                                        ; implicit-def: $vgpr6
	s_delay_alu instid0(VALU_DEP_1)
	v_cmpx_gt_i32_e64 s8, v2
	s_cbranch_execz .LBB170_44
; %bb.34:
	s_waitcnt vmcnt(0)
	v_cvt_f32_ubyte0_e32 v2, v21
	v_lshlrev_b32_e32 v6, 16, v12
	s_delay_alu instid0(VALU_DEP_1) | instskip(NEXT) | instid1(VALU_DEP_1)
	v_mul_f32_e32 v2, v2, v6
	v_mul_f32_e32 v2, s9, v2
	s_delay_alu instid0(VALU_DEP_1) | instskip(SKIP_1) | instid1(VALU_DEP_2)
	v_bfe_u32 v6, v2, 16, 1
	v_cmp_o_f32_e64 s0, v2, v2
	v_add3_u32 v6, v2, v6, 0x7fff
	s_delay_alu instid0(VALU_DEP_1) | instskip(NEXT) | instid1(VALU_DEP_1)
	v_lshrrev_b32_e32 v6, 16, v6
	v_cndmask_b32_e64 v6, 0x7fc0, v6, s0
	s_or_b32 exec_lo, exec_lo, s1
	s_and_saveexec_b32 s0, vcc_lo
	s_delay_alu instid0(SALU_CYCLE_1)
	s_xor_b32 s0, exec_lo, s0
	s_cbranch_execnz .LBB170_45
.LBB170_35:
	s_or_b32 exec_lo, exec_lo, s0
	s_delay_alu instid0(SALU_CYCLE_1)
	s_mov_b32 s0, exec_lo
	v_cmpx_gt_i32_e64 s8, v0
	s_cbranch_execz .LBB170_46
.LBB170_36:
	v_dual_mov_b32 v2, 0 :: v_dual_add_nc_u32 v1, s2, v0
	v_add_nc_u32_e32 v0, 0x100, v0
	s_delay_alu instid0(VALU_DEP_2) | instskip(NEXT) | instid1(VALU_DEP_1)
	v_lshlrev_b64 v[1:2], 1, v[1:2]
	v_add_co_u32 v1, vcc_lo, s4, v1
	s_delay_alu instid0(VALU_DEP_2) | instskip(SKIP_2) | instid1(SALU_CYCLE_1)
	v_add_co_ci_u32_e32 v2, vcc_lo, s5, v2, vcc_lo
	global_store_b16 v[1:2], v18, off
	s_or_b32 exec_lo, exec_lo, s0
	s_mov_b32 s0, exec_lo
	v_cmpx_gt_i32_e64 s8, v0
	s_cbranch_execnz .LBB170_47
.LBB170_37:
	s_or_b32 exec_lo, exec_lo, s0
	s_delay_alu instid0(SALU_CYCLE_1)
	s_mov_b32 s0, exec_lo
	v_cmpx_gt_i32_e64 s8, v0
	s_cbranch_execz .LBB170_48
.LBB170_38:
	v_dual_mov_b32 v2, 0 :: v_dual_add_nc_u32 v1, s2, v0
	v_add_nc_u32_e32 v0, 0x100, v0
	s_delay_alu instid0(VALU_DEP_2) | instskip(NEXT) | instid1(VALU_DEP_1)
	v_lshlrev_b64 v[1:2], 1, v[1:2]
	v_add_co_u32 v1, vcc_lo, s4, v1
	s_delay_alu instid0(VALU_DEP_2) | instskip(SKIP_2) | instid1(SALU_CYCLE_1)
	v_add_co_ci_u32_e32 v2, vcc_lo, s5, v2, vcc_lo
	global_store_b16 v[1:2], v9, off
	s_or_b32 exec_lo, exec_lo, s0
	s_mov_b32 s0, exec_lo
	v_cmpx_gt_i32_e64 s8, v0
	s_cbranch_execnz .LBB170_49
.LBB170_39:
	s_or_b32 exec_lo, exec_lo, s0
	s_delay_alu instid0(SALU_CYCLE_1)
	s_mov_b32 s0, exec_lo
	v_cmpx_gt_i32_e64 s8, v0
	s_cbranch_execz .LBB170_50
.LBB170_40:
	v_dual_mov_b32 v2, 0 :: v_dual_add_nc_u32 v1, s2, v0
	v_add_nc_u32_e32 v0, 0x100, v0
	s_delay_alu instid0(VALU_DEP_2) | instskip(NEXT) | instid1(VALU_DEP_1)
	v_lshlrev_b64 v[1:2], 1, v[1:2]
	v_add_co_u32 v1, vcc_lo, s4, v1
	s_delay_alu instid0(VALU_DEP_2) | instskip(SKIP_2) | instid1(SALU_CYCLE_1)
	v_add_co_ci_u32_e32 v2, vcc_lo, s5, v2, vcc_lo
	global_store_b16 v[1:2], v5, off
	s_or_b32 exec_lo, exec_lo, s0
	s_mov_b32 s0, exec_lo
	v_cmpx_gt_i32_e64 s8, v0
	s_cbranch_execnz .LBB170_51
.LBB170_41:
	s_or_b32 exec_lo, exec_lo, s0
	s_delay_alu instid0(SALU_CYCLE_1)
	s_mov_b32 s0, exec_lo
	v_cmpx_gt_i32_e64 s8, v0
	s_cbranch_execz .LBB170_43
.LBB170_42:
	v_dual_mov_b32 v1, 0 :: v_dual_add_nc_u32 v0, s2, v0
	s_delay_alu instid0(VALU_DEP_1) | instskip(NEXT) | instid1(VALU_DEP_1)
	v_lshlrev_b64 v[0:1], 1, v[0:1]
	v_add_co_u32 v0, vcc_lo, s4, v0
	s_delay_alu instid0(VALU_DEP_2)
	v_add_co_ci_u32_e32 v1, vcc_lo, s5, v1, vcc_lo
	s_waitcnt vmcnt(0)
	global_store_b16 v[0:1], v6, off
.LBB170_43:
	s_nop 0
	s_sendmsg sendmsg(MSG_DEALLOC_VGPRS)
	s_endpgm
.LBB170_44:
	s_or_b32 exec_lo, exec_lo, s1
	s_and_saveexec_b32 s0, vcc_lo
	s_delay_alu instid0(SALU_CYCLE_1)
	s_xor_b32 s0, exec_lo, s0
	s_cbranch_execz .LBB170_35
.LBB170_45:
	v_mov_b32_e32 v2, 0
	s_delay_alu instid0(VALU_DEP_1) | instskip(SKIP_1) | instid1(VALU_DEP_1)
	v_lshlrev_b64 v[0:1], 1, v[1:2]
	s_waitcnt vmcnt(0)
	v_add_co_u32 v10, vcc_lo, s4, v0
	s_delay_alu instid0(VALU_DEP_2) | instskip(SKIP_3) | instid1(SALU_CYCLE_1)
	v_add_co_ci_u32_e32 v11, vcc_lo, s5, v1, vcc_lo
	v_mov_b32_e32 v0, v3
	global_store_b16 v[10:11], v19, off
	s_or_b32 exec_lo, exec_lo, s0
	s_mov_b32 s0, exec_lo
	v_cmpx_gt_i32_e64 s8, v0
	s_cbranch_execnz .LBB170_36
.LBB170_46:
	s_or_b32 exec_lo, exec_lo, s0
	s_delay_alu instid0(SALU_CYCLE_1)
	s_mov_b32 s0, exec_lo
	v_cmpx_gt_i32_e64 s8, v0
	s_cbranch_execz .LBB170_37
.LBB170_47:
	v_dual_mov_b32 v2, 0 :: v_dual_add_nc_u32 v1, s2, v0
	v_add_nc_u32_e32 v0, 0x100, v0
	s_delay_alu instid0(VALU_DEP_2) | instskip(NEXT) | instid1(VALU_DEP_1)
	v_lshlrev_b64 v[1:2], 1, v[1:2]
	v_add_co_u32 v1, vcc_lo, s4, v1
	s_delay_alu instid0(VALU_DEP_2) | instskip(SKIP_2) | instid1(SALU_CYCLE_1)
	v_add_co_ci_u32_e32 v2, vcc_lo, s5, v2, vcc_lo
	global_store_b16 v[1:2], v15, off
	s_or_b32 exec_lo, exec_lo, s0
	s_mov_b32 s0, exec_lo
	v_cmpx_gt_i32_e64 s8, v0
	s_cbranch_execnz .LBB170_38
.LBB170_48:
	s_or_b32 exec_lo, exec_lo, s0
	s_delay_alu instid0(SALU_CYCLE_1)
	s_mov_b32 s0, exec_lo
	v_cmpx_gt_i32_e64 s8, v0
	s_cbranch_execz .LBB170_39
.LBB170_49:
	v_dual_mov_b32 v2, 0 :: v_dual_add_nc_u32 v1, s2, v0
	v_add_nc_u32_e32 v0, 0x100, v0
	s_delay_alu instid0(VALU_DEP_2) | instskip(NEXT) | instid1(VALU_DEP_1)
	v_lshlrev_b64 v[1:2], 1, v[1:2]
	v_add_co_u32 v1, vcc_lo, s4, v1
	s_delay_alu instid0(VALU_DEP_2) | instskip(SKIP_3) | instid1(SALU_CYCLE_1)
	v_add_co_ci_u32_e32 v2, vcc_lo, s5, v2, vcc_lo
	s_waitcnt vmcnt(0)
	global_store_b16 v[1:2], v7, off
	s_or_b32 exec_lo, exec_lo, s0
	s_mov_b32 s0, exec_lo
	v_cmpx_gt_i32_e64 s8, v0
	s_cbranch_execnz .LBB170_40
.LBB170_50:
	s_or_b32 exec_lo, exec_lo, s0
	s_delay_alu instid0(SALU_CYCLE_1)
	s_mov_b32 s0, exec_lo
	v_cmpx_gt_i32_e64 s8, v0
	s_cbranch_execz .LBB170_41
.LBB170_51:
	v_dual_mov_b32 v2, 0 :: v_dual_add_nc_u32 v1, s2, v0
	v_add_nc_u32_e32 v0, 0x100, v0
	s_delay_alu instid0(VALU_DEP_2) | instskip(NEXT) | instid1(VALU_DEP_1)
	v_lshlrev_b64 v[1:2], 1, v[1:2]
	v_add_co_u32 v1, vcc_lo, s4, v1
	s_delay_alu instid0(VALU_DEP_2) | instskip(SKIP_2) | instid1(SALU_CYCLE_1)
	v_add_co_ci_u32_e32 v2, vcc_lo, s5, v2, vcc_lo
	global_store_b16 v[1:2], v4, off
	s_or_b32 exec_lo, exec_lo, s0
	s_mov_b32 s0, exec_lo
	v_cmpx_gt_i32_e64 s8, v0
	s_cbranch_execnz .LBB170_42
	s_branch .LBB170_43
	.section	.rodata,"a",@progbits
	.p2align	6, 0x0
	.amdhsa_kernel _ZN2at6native29vectorized_elementwise_kernelILi4EZNS0_12_GLOBAL__N_119masked_scale_kernelIhN3c108BFloat16EfEEvRNS_6TensorERKS6_S9_T1_EUlS5_hE_St5arrayIPcLm3EEEEviT0_SA_
		.amdhsa_group_segment_fixed_size 0
		.amdhsa_private_segment_fixed_size 0
		.amdhsa_kernarg_size 32
		.amdhsa_user_sgpr_count 15
		.amdhsa_user_sgpr_dispatch_ptr 0
		.amdhsa_user_sgpr_queue_ptr 0
		.amdhsa_user_sgpr_kernarg_segment_ptr 1
		.amdhsa_user_sgpr_dispatch_id 0
		.amdhsa_user_sgpr_private_segment_size 0
		.amdhsa_wavefront_size32 1
		.amdhsa_uses_dynamic_stack 0
		.amdhsa_enable_private_segment 0
		.amdhsa_system_sgpr_workgroup_id_x 1
		.amdhsa_system_sgpr_workgroup_id_y 0
		.amdhsa_system_sgpr_workgroup_id_z 0
		.amdhsa_system_sgpr_workgroup_info 0
		.amdhsa_system_vgpr_workitem_id 0
		.amdhsa_next_free_vgpr 23
		.amdhsa_next_free_sgpr 16
		.amdhsa_reserve_vcc 1
		.amdhsa_float_round_mode_32 0
		.amdhsa_float_round_mode_16_64 0
		.amdhsa_float_denorm_mode_32 3
		.amdhsa_float_denorm_mode_16_64 3
		.amdhsa_dx10_clamp 1
		.amdhsa_ieee_mode 1
		.amdhsa_fp16_overflow 0
		.amdhsa_workgroup_processor_mode 1
		.amdhsa_memory_ordered 1
		.amdhsa_forward_progress 0
		.amdhsa_shared_vgpr_count 0
		.amdhsa_exception_fp_ieee_invalid_op 0
		.amdhsa_exception_fp_denorm_src 0
		.amdhsa_exception_fp_ieee_div_zero 0
		.amdhsa_exception_fp_ieee_overflow 0
		.amdhsa_exception_fp_ieee_underflow 0
		.amdhsa_exception_fp_ieee_inexact 0
		.amdhsa_exception_int_div_zero 0
	.end_amdhsa_kernel
	.section	.text._ZN2at6native29vectorized_elementwise_kernelILi4EZNS0_12_GLOBAL__N_119masked_scale_kernelIhN3c108BFloat16EfEEvRNS_6TensorERKS6_S9_T1_EUlS5_hE_St5arrayIPcLm3EEEEviT0_SA_,"axG",@progbits,_ZN2at6native29vectorized_elementwise_kernelILi4EZNS0_12_GLOBAL__N_119masked_scale_kernelIhN3c108BFloat16EfEEvRNS_6TensorERKS6_S9_T1_EUlS5_hE_St5arrayIPcLm3EEEEviT0_SA_,comdat
.Lfunc_end170:
	.size	_ZN2at6native29vectorized_elementwise_kernelILi4EZNS0_12_GLOBAL__N_119masked_scale_kernelIhN3c108BFloat16EfEEvRNS_6TensorERKS6_S9_T1_EUlS5_hE_St5arrayIPcLm3EEEEviT0_SA_, .Lfunc_end170-_ZN2at6native29vectorized_elementwise_kernelILi4EZNS0_12_GLOBAL__N_119masked_scale_kernelIhN3c108BFloat16EfEEvRNS_6TensorERKS6_S9_T1_EUlS5_hE_St5arrayIPcLm3EEEEviT0_SA_
                                        ; -- End function
	.section	.AMDGPU.csdata,"",@progbits
; Kernel info:
; codeLenInByte = 3060
; NumSgprs: 18
; NumVgprs: 23
; ScratchSize: 0
; MemoryBound: 0
; FloatMode: 240
; IeeeMode: 1
; LDSByteSize: 0 bytes/workgroup (compile time only)
; SGPRBlocks: 2
; VGPRBlocks: 2
; NumSGPRsForWavesPerEU: 18
; NumVGPRsForWavesPerEU: 23
; Occupancy: 16
; WaveLimiterHint : 1
; COMPUTE_PGM_RSRC2:SCRATCH_EN: 0
; COMPUTE_PGM_RSRC2:USER_SGPR: 15
; COMPUTE_PGM_RSRC2:TRAP_HANDLER: 0
; COMPUTE_PGM_RSRC2:TGID_X_EN: 1
; COMPUTE_PGM_RSRC2:TGID_Y_EN: 0
; COMPUTE_PGM_RSRC2:TGID_Z_EN: 0
; COMPUTE_PGM_RSRC2:TIDIG_COMP_CNT: 0
	.section	.text._ZN2at6native29vectorized_elementwise_kernelILi2EZNS0_12_GLOBAL__N_119masked_scale_kernelIhN3c108BFloat16EfEEvRNS_6TensorERKS6_S9_T1_EUlS5_hE_St5arrayIPcLm3EEEEviT0_SA_,"axG",@progbits,_ZN2at6native29vectorized_elementwise_kernelILi2EZNS0_12_GLOBAL__N_119masked_scale_kernelIhN3c108BFloat16EfEEvRNS_6TensorERKS6_S9_T1_EUlS5_hE_St5arrayIPcLm3EEEEviT0_SA_,comdat
	.globl	_ZN2at6native29vectorized_elementwise_kernelILi2EZNS0_12_GLOBAL__N_119masked_scale_kernelIhN3c108BFloat16EfEEvRNS_6TensorERKS6_S9_T1_EUlS5_hE_St5arrayIPcLm3EEEEviT0_SA_ ; -- Begin function _ZN2at6native29vectorized_elementwise_kernelILi2EZNS0_12_GLOBAL__N_119masked_scale_kernelIhN3c108BFloat16EfEEvRNS_6TensorERKS6_S9_T1_EUlS5_hE_St5arrayIPcLm3EEEEviT0_SA_
	.p2align	8
	.type	_ZN2at6native29vectorized_elementwise_kernelILi2EZNS0_12_GLOBAL__N_119masked_scale_kernelIhN3c108BFloat16EfEEvRNS_6TensorERKS6_S9_T1_EUlS5_hE_St5arrayIPcLm3EEEEviT0_SA_,@function
_ZN2at6native29vectorized_elementwise_kernelILi2EZNS0_12_GLOBAL__N_119masked_scale_kernelIhN3c108BFloat16EfEEvRNS_6TensorERKS6_S9_T1_EUlS5_hE_St5arrayIPcLm3EEEEviT0_SA_: ; @_ZN2at6native29vectorized_elementwise_kernelILi2EZNS0_12_GLOBAL__N_119masked_scale_kernelIhN3c108BFloat16EfEEvRNS_6TensorERKS6_S9_T1_EUlS5_hE_St5arrayIPcLm3EEEEviT0_SA_
; %bb.0:
	s_clause 0x2
	s_load_b64 s[8:9], s[0:1], 0x0
	s_load_b128 s[4:7], s[0:1], 0x8
	s_load_b64 s[10:11], s[0:1], 0x18
	s_lshl_b32 s2, s15, 11
	s_mov_b32 s0, -1
	s_waitcnt lgkmcnt(0)
	s_sub_i32 s8, s8, s2
	s_delay_alu instid0(SALU_CYCLE_1)
	s_cmpk_gt_i32 s8, 0x7ff
	s_cbranch_scc0 .LBB171_2
; %bb.1:
	s_ashr_i32 s3, s2, 31
	v_lshlrev_b32_e32 v1, 2, v0
	s_lshl_b64 s[0:1], s[2:3], 1
	s_delay_alu instid0(SALU_CYCLE_1)
	s_add_u32 s12, s6, s0
	s_addc_u32 s13, s7, s1
	s_clause 0x3
	global_load_b32 v3, v1, s[12:13]
	global_load_b32 v4, v1, s[12:13] offset:1024
	global_load_b32 v5, v1, s[12:13] offset:2048
	;; [unrolled: 1-line block ×3, first 2 shown]
	s_add_u32 s12, s10, s2
	s_addc_u32 s13, s11, s3
	s_waitcnt vmcnt(1)
	v_and_b32_e32 v12, 0xffff0000, v5
	v_lshlrev_b32_e32 v5, 16, v5
	v_and_b32_e32 v10, 0xffff0000, v3
	v_lshlrev_b32_e32 v3, 16, v3
	v_lshlrev_b32_e32 v2, 1, v0
	s_clause 0x3
	global_load_u16 v7, v2, s[12:13]
	global_load_u16 v8, v2, s[12:13] offset:512
	global_load_u16 v9, v2, s[12:13] offset:1024
	;; [unrolled: 1-line block ×3, first 2 shown]
	s_add_u32 s12, s4, s0
	s_addc_u32 s13, s5, s1
	s_mov_b32 s0, 0
	s_waitcnt vmcnt(3)
	v_cvt_f32_ubyte0_e32 v14, v7
	v_cvt_f32_ubyte1_e32 v7, v7
	s_waitcnt vmcnt(1)
	v_cvt_f32_ubyte0_e32 v16, v9
	v_cvt_f32_ubyte0_e32 v15, v8
	v_cvt_f32_ubyte1_e32 v8, v8
	v_and_b32_e32 v13, 0xffff0000, v6
	v_lshlrev_b32_e32 v6, 16, v6
	s_waitcnt vmcnt(0)
	v_cvt_f32_ubyte0_e32 v17, v2
	v_and_b32_e32 v11, 0xffff0000, v4
	v_cvt_f32_ubyte1_e32 v2, v2
	v_mul_f32_e32 v5, v5, v16
	v_mul_f32_e32 v7, v10, v7
	v_mul_f32_e32 v6, v6, v17
	v_mul_f32_e32 v8, v11, v8
	v_mul_f32_e32 v2, v13, v2
	v_mul_f32_e32 v3, v3, v14
	v_mul_f32_e32 v7, s9, v7
	v_cvt_f32_ubyte1_e32 v9, v9
	v_mul_f32_e32 v8, s9, v8
	s_delay_alu instid0(VALU_DEP_4) | instskip(NEXT) | instid1(VALU_DEP_4)
	v_dual_mul_f32 v3, s9, v3 :: v_dual_lshlrev_b32 v4, 16, v4
	v_bfe_u32 v11, v7, 16, 1
	s_delay_alu instid0(VALU_DEP_4) | instskip(NEXT) | instid1(VALU_DEP_4)
	v_mul_f32_e32 v9, v12, v9
	v_bfe_u32 v13, v8, 16, 1
	s_delay_alu instid0(VALU_DEP_4)
	v_mul_f32_e32 v4, v4, v15
	v_bfe_u32 v10, v3, 16, 1
	v_add3_u32 v11, v7, v11, 0x7fff
	v_cmp_o_f32_e32 vcc_lo, v7, v7
	v_dual_mul_f32 v9, s9, v9 :: v_dual_mul_f32 v2, s9, v2
	v_mul_f32_e32 v4, s9, v4
	v_add3_u32 v10, v3, v10, 0x7fff
	v_and_b32_e32 v11, 0xffff0000, v11
	v_add3_u32 v13, v8, v13, 0x7fff
	v_dual_mul_f32 v5, s9, v5 :: v_dual_mul_f32 v6, s9, v6
	v_bfe_u32 v12, v4, 16, 1
	v_lshrrev_b32_e32 v10, 16, v10
	v_cndmask_b32_e32 v7, 0x7fc00000, v11, vcc_lo
	v_cmp_o_f32_e32 vcc_lo, v3, v3
	v_bfe_u32 v15, v9, 16, 1
	v_add3_u32 v12, v4, v12, 0x7fff
	v_and_b32_e32 v13, 0xffff0000, v13
	v_bfe_u32 v14, v5, 16, 1
	v_cndmask_b32_e32 v3, 0x7fc0, v10, vcc_lo
	v_cmp_o_f32_e32 vcc_lo, v8, v8
	v_add3_u32 v15, v9, v15, 0x7fff
	v_lshrrev_b32_e32 v12, 16, v12
	v_bfe_u32 v17, v2, 16, 1
	v_add3_u32 v14, v5, v14, 0x7fff
	v_cndmask_b32_e32 v8, 0x7fc00000, v13, vcc_lo
	v_cmp_o_f32_e32 vcc_lo, v4, v4
	v_and_b32_e32 v15, 0xffff0000, v15
	v_bfe_u32 v16, v6, 16, 1
	v_add3_u32 v17, v2, v17, 0x7fff
	v_lshrrev_b32_e32 v14, 16, v14
	v_cndmask_b32_e32 v4, 0x7fc0, v12, vcc_lo
	v_cmp_o_f32_e32 vcc_lo, v9, v9
	v_add3_u32 v16, v6, v16, 0x7fff
	v_and_b32_e32 v17, 0xffff0000, v17
	v_or_b32_e32 v3, v7, v3
	v_or_b32_e32 v4, v8, v4
	v_cndmask_b32_e32 v9, 0x7fc00000, v15, vcc_lo
	v_cmp_o_f32_e32 vcc_lo, v5, v5
	v_lshrrev_b32_e32 v16, 16, v16
	v_cndmask_b32_e32 v5, 0x7fc0, v14, vcc_lo
	v_cmp_o_f32_e32 vcc_lo, v2, v2
	s_delay_alu instid0(VALU_DEP_2) | instskip(SKIP_3) | instid1(VALU_DEP_1)
	v_or_b32_e32 v5, v9, v5
	v_cndmask_b32_e32 v2, 0x7fc00000, v17, vcc_lo
	v_cmp_o_f32_e32 vcc_lo, v6, v6
	v_cndmask_b32_e32 v6, 0x7fc0, v16, vcc_lo
	v_or_b32_e32 v2, v2, v6
	s_clause 0x3
	global_store_b32 v1, v3, s[12:13]
	global_store_b32 v1, v4, s[12:13] offset:1024
	global_store_b32 v1, v5, s[12:13] offset:2048
	global_store_b32 v1, v2, s[12:13] offset:3072
.LBB171_2:
	s_and_not1_b32 vcc_lo, exec_lo, s0
	s_cbranch_vccnz .LBB171_43
; %bb.3:
	v_cmp_gt_i32_e32 vcc_lo, s8, v0
	v_dual_mov_b32 v2, 0 :: v_dual_mov_b32 v15, v0
	v_mov_b32_e32 v4, 0
	v_or_b32_e32 v1, s2, v0
	v_or_b32_e32 v3, 0x100, v0
	v_mov_b32_e32 v6, 0
	s_and_saveexec_b32 s1, vcc_lo
	s_cbranch_execz .LBB171_5
; %bb.4:
	v_mov_b32_e32 v2, 0
	v_or_b32_e32 v15, 0x100, v0
	s_delay_alu instid0(VALU_DEP_2) | instskip(NEXT) | instid1(VALU_DEP_1)
	v_lshlrev_b64 v[5:6], 1, v[1:2]
	v_add_co_u32 v5, s0, s6, v5
	s_delay_alu instid0(VALU_DEP_1)
	v_add_co_ci_u32_e64 v6, s0, s7, v6, s0
	global_load_u16 v2, v[5:6], off
	global_load_u8 v6, v1, s[10:11]
.LBB171_5:
	s_or_b32 exec_lo, exec_lo, s1
	v_mov_b32_e32 v7, 0
	s_mov_b32 s1, exec_lo
	v_cmpx_gt_i32_e64 s8, v15
	s_cbranch_execz .LBB171_7
; %bb.6:
	v_dual_mov_b32 v8, 0 :: v_dual_add_nc_u32 v7, s2, v15
	v_add_nc_u32_e32 v15, 0x100, v15
	s_delay_alu instid0(VALU_DEP_2) | instskip(NEXT) | instid1(VALU_DEP_1)
	v_lshlrev_b64 v[4:5], 1, v[7:8]
	v_add_co_u32 v4, s0, s6, v4
	s_delay_alu instid0(VALU_DEP_1)
	v_add_co_ci_u32_e64 v5, s0, s7, v5, s0
	global_load_u16 v4, v[4:5], off
	global_load_u8 v7, v7, s[10:11]
.LBB171_7:
	s_or_b32 exec_lo, exec_lo, s1
	v_dual_mov_b32 v9, 0 :: v_dual_mov_b32 v10, 0
	v_mov_b32_e32 v5, 0
	s_mov_b32 s1, exec_lo
	v_cmpx_gt_i32_e64 s8, v15
	s_cbranch_execz .LBB171_9
; %bb.8:
	v_dual_mov_b32 v9, 0 :: v_dual_add_nc_u32 v8, s2, v15
	v_add_nc_u32_e32 v15, 0x100, v15
	s_delay_alu instid0(VALU_DEP_2) | instskip(NEXT) | instid1(VALU_DEP_1)
	v_lshlrev_b64 v[9:10], 1, v[8:9]
	v_add_co_u32 v9, s0, s6, v9
	s_delay_alu instid0(VALU_DEP_1)
	v_add_co_ci_u32_e64 v10, s0, s7, v10, s0
	global_load_u16 v9, v[9:10], off
	global_load_u8 v10, v8, s[10:11]
.LBB171_9:
	s_or_b32 exec_lo, exec_lo, s1
	v_mov_b32_e32 v11, 0
	s_mov_b32 s1, exec_lo
	v_cmpx_gt_i32_e64 s8, v15
	s_cbranch_execz .LBB171_11
; %bb.10:
	v_dual_mov_b32 v12, 0 :: v_dual_add_nc_u32 v11, s2, v15
	v_add_nc_u32_e32 v15, 0x100, v15
	s_delay_alu instid0(VALU_DEP_2) | instskip(NEXT) | instid1(VALU_DEP_1)
	v_lshlrev_b64 v[12:13], 1, v[11:12]
	v_add_co_u32 v12, s0, s6, v12
	s_delay_alu instid0(VALU_DEP_1)
	v_add_co_ci_u32_e64 v13, s0, s7, v13, s0
	global_load_u16 v5, v[12:13], off
	global_load_u8 v11, v11, s[10:11]
.LBB171_11:
	s_or_b32 exec_lo, exec_lo, s1
	v_dual_mov_b32 v13, 0 :: v_dual_mov_b32 v8, 0
	v_mov_b32_e32 v14, 0
	s_mov_b32 s1, exec_lo
	v_cmpx_gt_i32_e64 s8, v15
	s_cbranch_execz .LBB171_13
; %bb.12:
	v_dual_mov_b32 v13, 0 :: v_dual_add_nc_u32 v12, s2, v15
	v_add_nc_u32_e32 v15, 0x100, v15
	s_delay_alu instid0(VALU_DEP_2) | instskip(NEXT) | instid1(VALU_DEP_1)
	v_lshlrev_b64 v[13:14], 1, v[12:13]
	v_add_co_u32 v13, s0, s6, v13
	s_delay_alu instid0(VALU_DEP_1)
	v_add_co_ci_u32_e64 v14, s0, s7, v14, s0
	global_load_u16 v13, v[13:14], off
	global_load_u8 v14, v12, s[10:11]
.LBB171_13:
	;; [unrolled: 33-line block ×3, first 2 shown]
	s_or_b32 exec_lo, exec_lo, s1
	v_mov_b32_e32 v21, 0
	s_mov_b32 s1, exec_lo
	v_cmpx_gt_i32_e64 s8, v15
	s_cbranch_execz .LBB171_19
; %bb.18:
	v_dual_mov_b32 v19, 0 :: v_dual_add_nc_u32 v18, s2, v15
	s_delay_alu instid0(VALU_DEP_1) | instskip(NEXT) | instid1(VALU_DEP_1)
	v_lshlrev_b64 v[21:22], 1, v[18:19]
	v_add_co_u32 v21, s0, s6, v21
	s_delay_alu instid0(VALU_DEP_1)
	v_add_co_ci_u32_e64 v22, s0, s7, v22, s0
	global_load_u16 v12, v[21:22], off
	global_load_u8 v21, v18, s[10:11]
	s_or_b32 exec_lo, exec_lo, s1
                                        ; implicit-def: $vgpr19
	s_and_saveexec_b32 s1, vcc_lo
	s_cbranch_execz .LBB171_21
	s_branch .LBB171_20
.LBB171_19:
	s_or_b32 exec_lo, exec_lo, s1
                                        ; implicit-def: $vgpr19
	s_and_saveexec_b32 s1, vcc_lo
	s_cbranch_execz .LBB171_21
.LBB171_20:
	s_waitcnt vmcnt(0)
	v_cvt_f32_ubyte0_e32 v6, v6
	v_lshlrev_b32_e32 v2, 16, v2
	s_delay_alu instid0(VALU_DEP_1) | instskip(NEXT) | instid1(VALU_DEP_1)
	v_mul_f32_e32 v2, v6, v2
	v_mul_f32_e32 v2, s9, v2
	s_delay_alu instid0(VALU_DEP_1) | instskip(SKIP_1) | instid1(VALU_DEP_2)
	v_bfe_u32 v6, v2, 16, 1
	v_cmp_o_f32_e64 s0, v2, v2
	v_add3_u32 v6, v2, v6, 0x7fff
	s_delay_alu instid0(VALU_DEP_1) | instskip(NEXT) | instid1(VALU_DEP_1)
	v_lshrrev_b32_e32 v6, 16, v6
	v_cndmask_b32_e64 v19, 0x7fc0, v6, s0
.LBB171_21:
	s_or_b32 exec_lo, exec_lo, s1
	s_delay_alu instid0(SALU_CYCLE_1)
	s_mov_b32 s1, exec_lo
                                        ; implicit-def: $vgpr18
	v_cmpx_gt_i32_e64 s8, v3
	s_cbranch_execz .LBB171_23
; %bb.22:
	s_waitcnt vmcnt(0)
	v_cvt_f32_ubyte0_e32 v2, v7
	v_lshlrev_b32_e32 v4, 16, v4
	s_delay_alu instid0(VALU_DEP_1) | instskip(NEXT) | instid1(VALU_DEP_1)
	v_mul_f32_e32 v2, v2, v4
	v_mul_f32_e32 v2, s9, v2
	s_delay_alu instid0(VALU_DEP_1) | instskip(SKIP_1) | instid1(VALU_DEP_2)
	v_bfe_u32 v4, v2, 16, 1
	v_cmp_o_f32_e64 s0, v2, v2
	v_add3_u32 v4, v2, v4, 0x7fff
	s_delay_alu instid0(VALU_DEP_1) | instskip(NEXT) | instid1(VALU_DEP_1)
	v_lshrrev_b32_e32 v4, 16, v4
	v_cndmask_b32_e64 v18, 0x7fc0, v4, s0
.LBB171_23:
	s_or_b32 exec_lo, exec_lo, s1
	s_waitcnt vmcnt(1)
	v_or_b32_e32 v2, 0x200, v0
	s_mov_b32 s1, exec_lo
                                        ; implicit-def: $vgpr15
	s_delay_alu instid0(VALU_DEP_1)
	v_cmpx_gt_i32_e64 s8, v2
	s_cbranch_execz .LBB171_25
; %bb.24:
	s_waitcnt vmcnt(0)
	v_cvt_f32_ubyte0_e32 v2, v10
	v_lshlrev_b32_e32 v4, 16, v9
	s_delay_alu instid0(VALU_DEP_1) | instskip(NEXT) | instid1(VALU_DEP_1)
	v_mul_f32_e32 v2, v2, v4
	v_mul_f32_e32 v2, s9, v2
	s_delay_alu instid0(VALU_DEP_1) | instskip(SKIP_1) | instid1(VALU_DEP_2)
	v_bfe_u32 v4, v2, 16, 1
	v_cmp_o_f32_e64 s0, v2, v2
	v_add3_u32 v4, v2, v4, 0x7fff
	s_delay_alu instid0(VALU_DEP_1) | instskip(NEXT) | instid1(VALU_DEP_1)
	v_lshrrev_b32_e32 v4, 16, v4
	v_cndmask_b32_e64 v15, 0x7fc0, v4, s0
.LBB171_25:
	s_or_b32 exec_lo, exec_lo, s1
	v_or_b32_e32 v2, 0x300, v0
	s_mov_b32 s1, exec_lo
                                        ; implicit-def: $vgpr9
	s_delay_alu instid0(VALU_DEP_1)
	v_cmpx_gt_i32_e64 s8, v2
	s_cbranch_execz .LBB171_27
; %bb.26:
	s_waitcnt vmcnt(0)
	v_cvt_f32_ubyte0_e32 v2, v11
	v_lshlrev_b32_e32 v4, 16, v5
	s_delay_alu instid0(VALU_DEP_1) | instskip(NEXT) | instid1(VALU_DEP_1)
	v_mul_f32_e32 v2, v2, v4
	v_mul_f32_e32 v2, s9, v2
	s_delay_alu instid0(VALU_DEP_1) | instskip(SKIP_1) | instid1(VALU_DEP_2)
	v_bfe_u32 v4, v2, 16, 1
	v_cmp_o_f32_e64 s0, v2, v2
	v_add3_u32 v4, v2, v4, 0x7fff
	s_delay_alu instid0(VALU_DEP_1) | instskip(NEXT) | instid1(VALU_DEP_1)
	v_lshrrev_b32_e32 v4, 16, v4
	v_cndmask_b32_e64 v9, 0x7fc0, v4, s0
.LBB171_27:
	s_or_b32 exec_lo, exec_lo, s1
	v_or_b32_e32 v2, 0x400, v0
	s_mov_b32 s1, exec_lo
                                        ; implicit-def: $vgpr7
	s_delay_alu instid0(VALU_DEP_1)
	v_cmpx_gt_i32_e64 s8, v2
	s_cbranch_execz .LBB171_29
; %bb.28:
	s_waitcnt vmcnt(0)
	v_cvt_f32_ubyte0_e32 v2, v14
	v_lshlrev_b32_e32 v4, 16, v13
	s_delay_alu instid0(VALU_DEP_1) | instskip(NEXT) | instid1(VALU_DEP_1)
	v_mul_f32_e32 v2, v2, v4
	v_mul_f32_e32 v2, s9, v2
	s_delay_alu instid0(VALU_DEP_1) | instskip(SKIP_1) | instid1(VALU_DEP_2)
	v_bfe_u32 v4, v2, 16, 1
	v_cmp_o_f32_e64 s0, v2, v2
	v_add3_u32 v4, v2, v4, 0x7fff
	s_delay_alu instid0(VALU_DEP_1) | instskip(NEXT) | instid1(VALU_DEP_1)
	v_lshrrev_b32_e32 v4, 16, v4
	v_cndmask_b32_e64 v7, 0x7fc0, v4, s0
.LBB171_29:
	s_or_b32 exec_lo, exec_lo, s1
	v_or_b32_e32 v2, 0x500, v0
	s_mov_b32 s1, exec_lo
                                        ; implicit-def: $vgpr5
	s_delay_alu instid0(VALU_DEP_1)
	v_cmpx_gt_i32_e64 s8, v2
	s_cbranch_execz .LBB171_31
; %bb.30:
	s_waitcnt vmcnt(0)
	v_cvt_f32_ubyte0_e32 v2, v16
	v_lshlrev_b32_e32 v4, 16, v8
	s_delay_alu instid0(VALU_DEP_1) | instskip(NEXT) | instid1(VALU_DEP_1)
	v_mul_f32_e32 v2, v2, v4
	v_mul_f32_e32 v2, s9, v2
	s_delay_alu instid0(VALU_DEP_1) | instskip(SKIP_1) | instid1(VALU_DEP_2)
	v_bfe_u32 v4, v2, 16, 1
	v_cmp_o_f32_e64 s0, v2, v2
	v_add3_u32 v4, v2, v4, 0x7fff
	s_delay_alu instid0(VALU_DEP_1) | instskip(NEXT) | instid1(VALU_DEP_1)
	v_lshrrev_b32_e32 v4, 16, v4
	v_cndmask_b32_e64 v5, 0x7fc0, v4, s0
.LBB171_31:
	s_or_b32 exec_lo, exec_lo, s1
	v_or_b32_e32 v2, 0x600, v0
	s_mov_b32 s1, exec_lo
                                        ; implicit-def: $vgpr4
	s_delay_alu instid0(VALU_DEP_1)
	v_cmpx_gt_i32_e64 s8, v2
	s_cbranch_execz .LBB171_33
; %bb.32:
	s_waitcnt vmcnt(0)
	v_cvt_f32_ubyte0_e32 v2, v20
	v_lshlrev_b32_e32 v4, 16, v17
	s_delay_alu instid0(VALU_DEP_1) | instskip(NEXT) | instid1(VALU_DEP_1)
	v_mul_f32_e32 v2, v2, v4
	v_mul_f32_e32 v2, s9, v2
	s_delay_alu instid0(VALU_DEP_1) | instskip(SKIP_1) | instid1(VALU_DEP_2)
	v_bfe_u32 v4, v2, 16, 1
	v_cmp_o_f32_e64 s0, v2, v2
	v_add3_u32 v4, v2, v4, 0x7fff
	s_delay_alu instid0(VALU_DEP_1) | instskip(NEXT) | instid1(VALU_DEP_1)
	v_lshrrev_b32_e32 v4, 16, v4
	v_cndmask_b32_e64 v4, 0x7fc0, v4, s0
.LBB171_33:
	s_or_b32 exec_lo, exec_lo, s1
	v_or_b32_e32 v2, 0x700, v0
	s_mov_b32 s1, exec_lo
                                        ; implicit-def: $vgpr6
	s_delay_alu instid0(VALU_DEP_1)
	v_cmpx_gt_i32_e64 s8, v2
	s_cbranch_execz .LBB171_44
; %bb.34:
	s_waitcnt vmcnt(0)
	v_cvt_f32_ubyte0_e32 v2, v21
	v_lshlrev_b32_e32 v6, 16, v12
	s_delay_alu instid0(VALU_DEP_1) | instskip(NEXT) | instid1(VALU_DEP_1)
	v_mul_f32_e32 v2, v2, v6
	v_mul_f32_e32 v2, s9, v2
	s_delay_alu instid0(VALU_DEP_1) | instskip(SKIP_1) | instid1(VALU_DEP_2)
	v_bfe_u32 v6, v2, 16, 1
	v_cmp_o_f32_e64 s0, v2, v2
	v_add3_u32 v6, v2, v6, 0x7fff
	s_delay_alu instid0(VALU_DEP_1) | instskip(NEXT) | instid1(VALU_DEP_1)
	v_lshrrev_b32_e32 v6, 16, v6
	v_cndmask_b32_e64 v6, 0x7fc0, v6, s0
	s_or_b32 exec_lo, exec_lo, s1
	s_and_saveexec_b32 s0, vcc_lo
	s_delay_alu instid0(SALU_CYCLE_1)
	s_xor_b32 s0, exec_lo, s0
	s_cbranch_execnz .LBB171_45
.LBB171_35:
	s_or_b32 exec_lo, exec_lo, s0
	s_delay_alu instid0(SALU_CYCLE_1)
	s_mov_b32 s0, exec_lo
	v_cmpx_gt_i32_e64 s8, v0
	s_cbranch_execz .LBB171_46
.LBB171_36:
	v_dual_mov_b32 v2, 0 :: v_dual_add_nc_u32 v1, s2, v0
	v_add_nc_u32_e32 v0, 0x100, v0
	s_delay_alu instid0(VALU_DEP_2) | instskip(NEXT) | instid1(VALU_DEP_1)
	v_lshlrev_b64 v[1:2], 1, v[1:2]
	v_add_co_u32 v1, vcc_lo, s4, v1
	s_delay_alu instid0(VALU_DEP_2) | instskip(SKIP_2) | instid1(SALU_CYCLE_1)
	v_add_co_ci_u32_e32 v2, vcc_lo, s5, v2, vcc_lo
	global_store_b16 v[1:2], v18, off
	s_or_b32 exec_lo, exec_lo, s0
	s_mov_b32 s0, exec_lo
	v_cmpx_gt_i32_e64 s8, v0
	s_cbranch_execnz .LBB171_47
.LBB171_37:
	s_or_b32 exec_lo, exec_lo, s0
	s_delay_alu instid0(SALU_CYCLE_1)
	s_mov_b32 s0, exec_lo
	v_cmpx_gt_i32_e64 s8, v0
	s_cbranch_execz .LBB171_48
.LBB171_38:
	v_dual_mov_b32 v2, 0 :: v_dual_add_nc_u32 v1, s2, v0
	v_add_nc_u32_e32 v0, 0x100, v0
	s_delay_alu instid0(VALU_DEP_2) | instskip(NEXT) | instid1(VALU_DEP_1)
	v_lshlrev_b64 v[1:2], 1, v[1:2]
	v_add_co_u32 v1, vcc_lo, s4, v1
	s_delay_alu instid0(VALU_DEP_2) | instskip(SKIP_2) | instid1(SALU_CYCLE_1)
	v_add_co_ci_u32_e32 v2, vcc_lo, s5, v2, vcc_lo
	global_store_b16 v[1:2], v9, off
	s_or_b32 exec_lo, exec_lo, s0
	s_mov_b32 s0, exec_lo
	v_cmpx_gt_i32_e64 s8, v0
	s_cbranch_execnz .LBB171_49
.LBB171_39:
	s_or_b32 exec_lo, exec_lo, s0
	s_delay_alu instid0(SALU_CYCLE_1)
	s_mov_b32 s0, exec_lo
	v_cmpx_gt_i32_e64 s8, v0
	s_cbranch_execz .LBB171_50
.LBB171_40:
	v_dual_mov_b32 v2, 0 :: v_dual_add_nc_u32 v1, s2, v0
	v_add_nc_u32_e32 v0, 0x100, v0
	s_delay_alu instid0(VALU_DEP_2) | instskip(NEXT) | instid1(VALU_DEP_1)
	v_lshlrev_b64 v[1:2], 1, v[1:2]
	v_add_co_u32 v1, vcc_lo, s4, v1
	s_delay_alu instid0(VALU_DEP_2) | instskip(SKIP_2) | instid1(SALU_CYCLE_1)
	v_add_co_ci_u32_e32 v2, vcc_lo, s5, v2, vcc_lo
	global_store_b16 v[1:2], v5, off
	s_or_b32 exec_lo, exec_lo, s0
	s_mov_b32 s0, exec_lo
	v_cmpx_gt_i32_e64 s8, v0
	s_cbranch_execnz .LBB171_51
.LBB171_41:
	s_or_b32 exec_lo, exec_lo, s0
	s_delay_alu instid0(SALU_CYCLE_1)
	s_mov_b32 s0, exec_lo
	v_cmpx_gt_i32_e64 s8, v0
	s_cbranch_execz .LBB171_43
.LBB171_42:
	v_dual_mov_b32 v1, 0 :: v_dual_add_nc_u32 v0, s2, v0
	s_delay_alu instid0(VALU_DEP_1) | instskip(NEXT) | instid1(VALU_DEP_1)
	v_lshlrev_b64 v[0:1], 1, v[0:1]
	v_add_co_u32 v0, vcc_lo, s4, v0
	s_delay_alu instid0(VALU_DEP_2)
	v_add_co_ci_u32_e32 v1, vcc_lo, s5, v1, vcc_lo
	s_waitcnt vmcnt(0)
	global_store_b16 v[0:1], v6, off
.LBB171_43:
	s_nop 0
	s_sendmsg sendmsg(MSG_DEALLOC_VGPRS)
	s_endpgm
.LBB171_44:
	s_or_b32 exec_lo, exec_lo, s1
	s_and_saveexec_b32 s0, vcc_lo
	s_delay_alu instid0(SALU_CYCLE_1)
	s_xor_b32 s0, exec_lo, s0
	s_cbranch_execz .LBB171_35
.LBB171_45:
	v_mov_b32_e32 v2, 0
	s_delay_alu instid0(VALU_DEP_1) | instskip(SKIP_1) | instid1(VALU_DEP_1)
	v_lshlrev_b64 v[0:1], 1, v[1:2]
	s_waitcnt vmcnt(0)
	v_add_co_u32 v10, vcc_lo, s4, v0
	s_delay_alu instid0(VALU_DEP_2) | instskip(SKIP_3) | instid1(SALU_CYCLE_1)
	v_add_co_ci_u32_e32 v11, vcc_lo, s5, v1, vcc_lo
	v_mov_b32_e32 v0, v3
	global_store_b16 v[10:11], v19, off
	s_or_b32 exec_lo, exec_lo, s0
	s_mov_b32 s0, exec_lo
	v_cmpx_gt_i32_e64 s8, v0
	s_cbranch_execnz .LBB171_36
.LBB171_46:
	s_or_b32 exec_lo, exec_lo, s0
	s_delay_alu instid0(SALU_CYCLE_1)
	s_mov_b32 s0, exec_lo
	v_cmpx_gt_i32_e64 s8, v0
	s_cbranch_execz .LBB171_37
.LBB171_47:
	v_dual_mov_b32 v2, 0 :: v_dual_add_nc_u32 v1, s2, v0
	v_add_nc_u32_e32 v0, 0x100, v0
	s_delay_alu instid0(VALU_DEP_2) | instskip(NEXT) | instid1(VALU_DEP_1)
	v_lshlrev_b64 v[1:2], 1, v[1:2]
	v_add_co_u32 v1, vcc_lo, s4, v1
	s_delay_alu instid0(VALU_DEP_2) | instskip(SKIP_2) | instid1(SALU_CYCLE_1)
	v_add_co_ci_u32_e32 v2, vcc_lo, s5, v2, vcc_lo
	global_store_b16 v[1:2], v15, off
	s_or_b32 exec_lo, exec_lo, s0
	s_mov_b32 s0, exec_lo
	v_cmpx_gt_i32_e64 s8, v0
	s_cbranch_execnz .LBB171_38
.LBB171_48:
	s_or_b32 exec_lo, exec_lo, s0
	s_delay_alu instid0(SALU_CYCLE_1)
	s_mov_b32 s0, exec_lo
	v_cmpx_gt_i32_e64 s8, v0
	s_cbranch_execz .LBB171_39
.LBB171_49:
	v_dual_mov_b32 v2, 0 :: v_dual_add_nc_u32 v1, s2, v0
	v_add_nc_u32_e32 v0, 0x100, v0
	s_delay_alu instid0(VALU_DEP_2) | instskip(NEXT) | instid1(VALU_DEP_1)
	v_lshlrev_b64 v[1:2], 1, v[1:2]
	v_add_co_u32 v1, vcc_lo, s4, v1
	s_delay_alu instid0(VALU_DEP_2) | instskip(SKIP_3) | instid1(SALU_CYCLE_1)
	v_add_co_ci_u32_e32 v2, vcc_lo, s5, v2, vcc_lo
	s_waitcnt vmcnt(0)
	global_store_b16 v[1:2], v7, off
	s_or_b32 exec_lo, exec_lo, s0
	s_mov_b32 s0, exec_lo
	v_cmpx_gt_i32_e64 s8, v0
	s_cbranch_execnz .LBB171_40
.LBB171_50:
	s_or_b32 exec_lo, exec_lo, s0
	s_delay_alu instid0(SALU_CYCLE_1)
	s_mov_b32 s0, exec_lo
	v_cmpx_gt_i32_e64 s8, v0
	s_cbranch_execz .LBB171_41
.LBB171_51:
	v_dual_mov_b32 v2, 0 :: v_dual_add_nc_u32 v1, s2, v0
	v_add_nc_u32_e32 v0, 0x100, v0
	s_delay_alu instid0(VALU_DEP_2) | instskip(NEXT) | instid1(VALU_DEP_1)
	v_lshlrev_b64 v[1:2], 1, v[1:2]
	v_add_co_u32 v1, vcc_lo, s4, v1
	s_delay_alu instid0(VALU_DEP_2) | instskip(SKIP_2) | instid1(SALU_CYCLE_1)
	v_add_co_ci_u32_e32 v2, vcc_lo, s5, v2, vcc_lo
	global_store_b16 v[1:2], v4, off
	s_or_b32 exec_lo, exec_lo, s0
	s_mov_b32 s0, exec_lo
	v_cmpx_gt_i32_e64 s8, v0
	s_cbranch_execnz .LBB171_42
	s_branch .LBB171_43
	.section	.rodata,"a",@progbits
	.p2align	6, 0x0
	.amdhsa_kernel _ZN2at6native29vectorized_elementwise_kernelILi2EZNS0_12_GLOBAL__N_119masked_scale_kernelIhN3c108BFloat16EfEEvRNS_6TensorERKS6_S9_T1_EUlS5_hE_St5arrayIPcLm3EEEEviT0_SA_
		.amdhsa_group_segment_fixed_size 0
		.amdhsa_private_segment_fixed_size 0
		.amdhsa_kernarg_size 32
		.amdhsa_user_sgpr_count 15
		.amdhsa_user_sgpr_dispatch_ptr 0
		.amdhsa_user_sgpr_queue_ptr 0
		.amdhsa_user_sgpr_kernarg_segment_ptr 1
		.amdhsa_user_sgpr_dispatch_id 0
		.amdhsa_user_sgpr_private_segment_size 0
		.amdhsa_wavefront_size32 1
		.amdhsa_uses_dynamic_stack 0
		.amdhsa_enable_private_segment 0
		.amdhsa_system_sgpr_workgroup_id_x 1
		.amdhsa_system_sgpr_workgroup_id_y 0
		.amdhsa_system_sgpr_workgroup_id_z 0
		.amdhsa_system_sgpr_workgroup_info 0
		.amdhsa_system_vgpr_workitem_id 0
		.amdhsa_next_free_vgpr 23
		.amdhsa_next_free_sgpr 16
		.amdhsa_reserve_vcc 1
		.amdhsa_float_round_mode_32 0
		.amdhsa_float_round_mode_16_64 0
		.amdhsa_float_denorm_mode_32 3
		.amdhsa_float_denorm_mode_16_64 3
		.amdhsa_dx10_clamp 1
		.amdhsa_ieee_mode 1
		.amdhsa_fp16_overflow 0
		.amdhsa_workgroup_processor_mode 1
		.amdhsa_memory_ordered 1
		.amdhsa_forward_progress 0
		.amdhsa_shared_vgpr_count 0
		.amdhsa_exception_fp_ieee_invalid_op 0
		.amdhsa_exception_fp_denorm_src 0
		.amdhsa_exception_fp_ieee_div_zero 0
		.amdhsa_exception_fp_ieee_overflow 0
		.amdhsa_exception_fp_ieee_underflow 0
		.amdhsa_exception_fp_ieee_inexact 0
		.amdhsa_exception_int_div_zero 0
	.end_amdhsa_kernel
	.section	.text._ZN2at6native29vectorized_elementwise_kernelILi2EZNS0_12_GLOBAL__N_119masked_scale_kernelIhN3c108BFloat16EfEEvRNS_6TensorERKS6_S9_T1_EUlS5_hE_St5arrayIPcLm3EEEEviT0_SA_,"axG",@progbits,_ZN2at6native29vectorized_elementwise_kernelILi2EZNS0_12_GLOBAL__N_119masked_scale_kernelIhN3c108BFloat16EfEEvRNS_6TensorERKS6_S9_T1_EUlS5_hE_St5arrayIPcLm3EEEEviT0_SA_,comdat
.Lfunc_end171:
	.size	_ZN2at6native29vectorized_elementwise_kernelILi2EZNS0_12_GLOBAL__N_119masked_scale_kernelIhN3c108BFloat16EfEEvRNS_6TensorERKS6_S9_T1_EUlS5_hE_St5arrayIPcLm3EEEEviT0_SA_, .Lfunc_end171-_ZN2at6native29vectorized_elementwise_kernelILi2EZNS0_12_GLOBAL__N_119masked_scale_kernelIhN3c108BFloat16EfEEvRNS_6TensorERKS6_S9_T1_EUlS5_hE_St5arrayIPcLm3EEEEviT0_SA_
                                        ; -- End function
	.section	.AMDGPU.csdata,"",@progbits
; Kernel info:
; codeLenInByte = 3080
; NumSgprs: 18
; NumVgprs: 23
; ScratchSize: 0
; MemoryBound: 0
; FloatMode: 240
; IeeeMode: 1
; LDSByteSize: 0 bytes/workgroup (compile time only)
; SGPRBlocks: 2
; VGPRBlocks: 2
; NumSGPRsForWavesPerEU: 18
; NumVGPRsForWavesPerEU: 23
; Occupancy: 16
; WaveLimiterHint : 1
; COMPUTE_PGM_RSRC2:SCRATCH_EN: 0
; COMPUTE_PGM_RSRC2:USER_SGPR: 15
; COMPUTE_PGM_RSRC2:TRAP_HANDLER: 0
; COMPUTE_PGM_RSRC2:TGID_X_EN: 1
; COMPUTE_PGM_RSRC2:TGID_Y_EN: 0
; COMPUTE_PGM_RSRC2:TGID_Z_EN: 0
; COMPUTE_PGM_RSRC2:TIDIG_COMP_CNT: 0
	.section	.text._ZN2at6native27unrolled_elementwise_kernelIZNS0_12_GLOBAL__N_119masked_scale_kernelIhN3c108BFloat16EfEEvRNS_6TensorERKS6_S9_T1_EUlS5_hE_St5arrayIPcLm3EELi4E23TrivialOffsetCalculatorILi2EjESF_ILi1EjENS0_6memory15LoadWithoutCastENSI_16StoreWithoutCastEEEviT_T0_T2_T3_T4_T5_,"axG",@progbits,_ZN2at6native27unrolled_elementwise_kernelIZNS0_12_GLOBAL__N_119masked_scale_kernelIhN3c108BFloat16EfEEvRNS_6TensorERKS6_S9_T1_EUlS5_hE_St5arrayIPcLm3EELi4E23TrivialOffsetCalculatorILi2EjESF_ILi1EjENS0_6memory15LoadWithoutCastENSI_16StoreWithoutCastEEEviT_T0_T2_T3_T4_T5_,comdat
	.globl	_ZN2at6native27unrolled_elementwise_kernelIZNS0_12_GLOBAL__N_119masked_scale_kernelIhN3c108BFloat16EfEEvRNS_6TensorERKS6_S9_T1_EUlS5_hE_St5arrayIPcLm3EELi4E23TrivialOffsetCalculatorILi2EjESF_ILi1EjENS0_6memory15LoadWithoutCastENSI_16StoreWithoutCastEEEviT_T0_T2_T3_T4_T5_ ; -- Begin function _ZN2at6native27unrolled_elementwise_kernelIZNS0_12_GLOBAL__N_119masked_scale_kernelIhN3c108BFloat16EfEEvRNS_6TensorERKS6_S9_T1_EUlS5_hE_St5arrayIPcLm3EELi4E23TrivialOffsetCalculatorILi2EjESF_ILi1EjENS0_6memory15LoadWithoutCastENSI_16StoreWithoutCastEEEviT_T0_T2_T3_T4_T5_
	.p2align	8
	.type	_ZN2at6native27unrolled_elementwise_kernelIZNS0_12_GLOBAL__N_119masked_scale_kernelIhN3c108BFloat16EfEEvRNS_6TensorERKS6_S9_T1_EUlS5_hE_St5arrayIPcLm3EELi4E23TrivialOffsetCalculatorILi2EjESF_ILi1EjENS0_6memory15LoadWithoutCastENSI_16StoreWithoutCastEEEviT_T0_T2_T3_T4_T5_,@function
_ZN2at6native27unrolled_elementwise_kernelIZNS0_12_GLOBAL__N_119masked_scale_kernelIhN3c108BFloat16EfEEvRNS_6TensorERKS6_S9_T1_EUlS5_hE_St5arrayIPcLm3EELi4E23TrivialOffsetCalculatorILi2EjESF_ILi1EjENS0_6memory15LoadWithoutCastENSI_16StoreWithoutCastEEEviT_T0_T2_T3_T4_T5_: ; @_ZN2at6native27unrolled_elementwise_kernelIZNS0_12_GLOBAL__N_119masked_scale_kernelIhN3c108BFloat16EfEEvRNS_6TensorERKS6_S9_T1_EUlS5_hE_St5arrayIPcLm3EELi4E23TrivialOffsetCalculatorILi2EjESF_ILi1EjENS0_6memory15LoadWithoutCastENSI_16StoreWithoutCastEEEviT_T0_T2_T3_T4_T5_
; %bb.0:
	s_clause 0x2
	s_load_b64 s[2:3], s[0:1], 0x0
	s_load_b128 s[4:7], s[0:1], 0x8
	s_load_b64 s[8:9], s[0:1], 0x18
	s_lshl_b32 s1, s15, 10
	v_dual_mov_b32 v4, 0 :: v_dual_mov_b32 v5, 0
	v_mov_b32_e32 v2, 0
	v_or_b32_e32 v1, s1, v0
	v_or_b32_e32 v3, 0x100, v0
	v_mov_b32_e32 v8, v0
	s_waitcnt lgkmcnt(0)
	s_sub_i32 s2, s2, s1
	s_delay_alu instid0(SALU_CYCLE_1)
	v_cmp_gt_i32_e32 vcc_lo, s2, v0
	s_and_saveexec_b32 s10, vcc_lo
	s_cbranch_execz .LBB172_2
; %bb.1:
	v_mov_b32_e32 v2, 0
	v_or_b32_e32 v8, 0x100, v0
	s_delay_alu instid0(VALU_DEP_2) | instskip(NEXT) | instid1(VALU_DEP_1)
	v_lshlrev_b64 v[5:6], 1, v[1:2]
	v_add_co_u32 v5, s0, s6, v5
	s_delay_alu instid0(VALU_DEP_1)
	v_add_co_ci_u32_e64 v6, s0, s7, v6, s0
	global_load_u8 v2, v1, s[8:9]
	global_load_u16 v6, v[5:6], off
	s_waitcnt vmcnt(1)
	v_cvt_f32_ubyte0_e32 v5, v2
	s_waitcnt vmcnt(0)
	v_lshlrev_b32_e32 v2, 16, v6
.LBB172_2:
	s_or_b32 exec_lo, exec_lo, s10
	v_mov_b32_e32 v7, 0
	s_mov_b32 s10, exec_lo
	v_cmpx_gt_i32_e64 s2, v8
	s_cbranch_execz .LBB172_4
; %bb.3:
	v_dual_mov_b32 v7, 0 :: v_dual_add_nc_u32 v6, s1, v8
	v_add_nc_u32_e32 v8, 0x100, v8
	s_delay_alu instid0(VALU_DEP_2) | instskip(NEXT) | instid1(VALU_DEP_1)
	v_lshlrev_b64 v[9:10], 1, v[6:7]
	v_add_co_u32 v9, s0, s6, v9
	s_delay_alu instid0(VALU_DEP_1)
	v_add_co_ci_u32_e64 v10, s0, s7, v10, s0
	global_load_u8 v4, v6, s[8:9]
	global_load_u16 v6, v[9:10], off
	s_waitcnt vmcnt(1)
	v_cvt_f32_ubyte0_e32 v7, v4
	s_waitcnt vmcnt(0)
	v_lshlrev_b32_e32 v4, 16, v6
.LBB172_4:
	s_or_b32 exec_lo, exec_lo, s10
	v_dual_mov_b32 v6, 0 :: v_dual_mov_b32 v9, 0
	v_mov_b32_e32 v10, 0
	s_mov_b32 s10, exec_lo
	v_cmpx_gt_i32_e64 s2, v8
	s_cbranch_execz .LBB172_6
; %bb.5:
	v_dual_mov_b32 v10, 0 :: v_dual_add_nc_u32 v9, s1, v8
	v_add_nc_u32_e32 v8, 0x100, v8
	s_delay_alu instid0(VALU_DEP_2) | instskip(NEXT) | instid1(VALU_DEP_1)
	v_lshlrev_b64 v[10:11], 1, v[9:10]
	v_add_co_u32 v10, s0, s6, v10
	s_delay_alu instid0(VALU_DEP_1)
	v_add_co_ci_u32_e64 v11, s0, s7, v11, s0
	global_load_u8 v9, v9, s[8:9]
	global_load_u16 v11, v[10:11], off
	s_waitcnt vmcnt(1)
	v_cvt_f32_ubyte0_e32 v10, v9
	s_waitcnt vmcnt(0)
	v_lshlrev_b32_e32 v9, 16, v11
.LBB172_6:
	s_or_b32 exec_lo, exec_lo, s10
	v_mov_b32_e32 v12, 0
	s_mov_b32 s10, exec_lo
	v_cmpx_gt_i32_e64 s2, v8
	s_cbranch_execz .LBB172_8
; %bb.7:
	v_dual_mov_b32 v12, 0 :: v_dual_add_nc_u32 v11, s1, v8
	s_delay_alu instid0(VALU_DEP_1) | instskip(NEXT) | instid1(VALU_DEP_1)
	v_lshlrev_b64 v[12:13], 1, v[11:12]
	v_add_co_u32 v12, s0, s6, v12
	s_delay_alu instid0(VALU_DEP_1)
	v_add_co_ci_u32_e64 v13, s0, s7, v13, s0
	global_load_u8 v6, v11, s[8:9]
	global_load_u16 v8, v[12:13], off
	s_waitcnt vmcnt(1)
	v_cvt_f32_ubyte0_e32 v12, v6
	s_waitcnt vmcnt(0)
	v_lshlrev_b32_e32 v6, 16, v8
	s_or_b32 exec_lo, exec_lo, s10
                                        ; implicit-def: $vgpr11
	s_and_saveexec_b32 s6, vcc_lo
	s_branch .LBB172_9
.LBB172_8:
	s_or_b32 exec_lo, exec_lo, s10
                                        ; implicit-def: $vgpr11
	s_and_saveexec_b32 s6, vcc_lo
.LBB172_9:
	v_mul_f32_e32 v2, v2, v5
	s_delay_alu instid0(VALU_DEP_1) | instskip(NEXT) | instid1(VALU_DEP_1)
	v_mul_f32_e32 v2, s3, v2
	v_bfe_u32 v5, v2, 16, 1
	v_cmp_o_f32_e64 s0, v2, v2
	s_delay_alu instid0(VALU_DEP_2) | instskip(NEXT) | instid1(VALU_DEP_1)
	v_add3_u32 v5, v2, v5, 0x7fff
	v_lshrrev_b32_e32 v5, 16, v5
	s_delay_alu instid0(VALU_DEP_1)
	v_cndmask_b32_e64 v11, 0x7fc0, v5, s0
; %bb.10:
	s_or_b32 exec_lo, exec_lo, s6
	s_delay_alu instid0(SALU_CYCLE_1)
	s_mov_b32 s6, exec_lo
                                        ; implicit-def: $vgpr8
	v_cmpx_gt_i32_e64 s2, v3
; %bb.11:
	v_mul_f32_e32 v2, v4, v7
	s_delay_alu instid0(VALU_DEP_1) | instskip(NEXT) | instid1(VALU_DEP_1)
	v_mul_f32_e32 v2, s3, v2
	v_bfe_u32 v4, v2, 16, 1
	v_cmp_o_f32_e64 s0, v2, v2
	s_delay_alu instid0(VALU_DEP_2) | instskip(NEXT) | instid1(VALU_DEP_1)
	v_add3_u32 v4, v2, v4, 0x7fff
	v_lshrrev_b32_e32 v4, 16, v4
	s_delay_alu instid0(VALU_DEP_1)
	v_cndmask_b32_e64 v8, 0x7fc0, v4, s0
; %bb.12:
	s_or_b32 exec_lo, exec_lo, s6
	v_or_b32_e32 v2, 0x200, v0
	s_mov_b32 s6, exec_lo
                                        ; implicit-def: $vgpr4
	s_delay_alu instid0(VALU_DEP_1)
	v_cmpx_gt_i32_e64 s2, v2
; %bb.13:
	v_mul_f32_e32 v2, v9, v10
	s_delay_alu instid0(VALU_DEP_1) | instskip(NEXT) | instid1(VALU_DEP_1)
	v_mul_f32_e32 v2, s3, v2
	v_bfe_u32 v4, v2, 16, 1
	v_cmp_o_f32_e64 s0, v2, v2
	s_delay_alu instid0(VALU_DEP_2) | instskip(NEXT) | instid1(VALU_DEP_1)
	v_add3_u32 v4, v2, v4, 0x7fff
	v_lshrrev_b32_e32 v4, 16, v4
	s_delay_alu instid0(VALU_DEP_1)
	v_cndmask_b32_e64 v4, 0x7fc0, v4, s0
; %bb.14:
	s_or_b32 exec_lo, exec_lo, s6
	v_or_b32_e32 v2, 0x300, v0
	s_mov_b32 s6, exec_lo
                                        ; implicit-def: $vgpr5
	s_delay_alu instid0(VALU_DEP_1)
	v_cmpx_gt_i32_e64 s2, v2
	s_cbranch_execz .LBB172_20
; %bb.15:
	v_mul_f32_e32 v2, v6, v12
	s_delay_alu instid0(VALU_DEP_1) | instskip(NEXT) | instid1(VALU_DEP_1)
	v_mul_f32_e32 v2, s3, v2
	v_bfe_u32 v5, v2, 16, 1
	v_cmp_o_f32_e64 s0, v2, v2
	s_delay_alu instid0(VALU_DEP_2) | instskip(NEXT) | instid1(VALU_DEP_1)
	v_add3_u32 v5, v2, v5, 0x7fff
	v_lshrrev_b32_e32 v5, 16, v5
	s_delay_alu instid0(VALU_DEP_1) | instskip(SKIP_2) | instid1(SALU_CYCLE_1)
	v_cndmask_b32_e64 v5, 0x7fc0, v5, s0
	s_or_b32 exec_lo, exec_lo, s6
	s_and_saveexec_b32 s0, vcc_lo
	s_xor_b32 s0, exec_lo, s0
	s_cbranch_execnz .LBB172_21
.LBB172_16:
	s_or_b32 exec_lo, exec_lo, s0
	s_delay_alu instid0(SALU_CYCLE_1)
	s_mov_b32 s0, exec_lo
	v_cmpx_gt_i32_e64 s2, v0
	s_cbranch_execz .LBB172_22
.LBB172_17:
	v_dual_mov_b32 v2, 0 :: v_dual_add_nc_u32 v1, s1, v0
	v_add_nc_u32_e32 v0, 0x100, v0
	s_delay_alu instid0(VALU_DEP_2) | instskip(NEXT) | instid1(VALU_DEP_1)
	v_lshlrev_b64 v[1:2], 1, v[1:2]
	v_add_co_u32 v1, vcc_lo, s4, v1
	s_delay_alu instid0(VALU_DEP_2) | instskip(SKIP_2) | instid1(SALU_CYCLE_1)
	v_add_co_ci_u32_e32 v2, vcc_lo, s5, v2, vcc_lo
	global_store_b16 v[1:2], v8, off
	s_or_b32 exec_lo, exec_lo, s0
	s_mov_b32 s0, exec_lo
	v_cmpx_gt_i32_e64 s2, v0
	s_cbranch_execnz .LBB172_23
.LBB172_18:
	s_or_b32 exec_lo, exec_lo, s0
	s_delay_alu instid0(SALU_CYCLE_1)
	s_mov_b32 s0, exec_lo
	v_cmpx_gt_i32_e64 s2, v0
	s_cbranch_execz .LBB172_24
.LBB172_19:
	v_dual_mov_b32 v1, 0 :: v_dual_add_nc_u32 v0, s1, v0
	s_delay_alu instid0(VALU_DEP_1) | instskip(NEXT) | instid1(VALU_DEP_1)
	v_lshlrev_b64 v[0:1], 1, v[0:1]
	v_add_co_u32 v0, vcc_lo, s4, v0
	s_delay_alu instid0(VALU_DEP_2)
	v_add_co_ci_u32_e32 v1, vcc_lo, s5, v1, vcc_lo
	global_store_b16 v[0:1], v5, off
	s_nop 0
	s_sendmsg sendmsg(MSG_DEALLOC_VGPRS)
	s_endpgm
.LBB172_20:
	s_or_b32 exec_lo, exec_lo, s6
	s_and_saveexec_b32 s0, vcc_lo
	s_delay_alu instid0(SALU_CYCLE_1)
	s_xor_b32 s0, exec_lo, s0
	s_cbranch_execz .LBB172_16
.LBB172_21:
	v_mov_b32_e32 v2, 0
	s_delay_alu instid0(VALU_DEP_1) | instskip(NEXT) | instid1(VALU_DEP_1)
	v_lshlrev_b64 v[0:1], 1, v[1:2]
	v_add_co_u32 v6, vcc_lo, s4, v0
	s_delay_alu instid0(VALU_DEP_2) | instskip(SKIP_3) | instid1(SALU_CYCLE_1)
	v_add_co_ci_u32_e32 v7, vcc_lo, s5, v1, vcc_lo
	v_mov_b32_e32 v0, v3
	global_store_b16 v[6:7], v11, off
	s_or_b32 exec_lo, exec_lo, s0
	s_mov_b32 s0, exec_lo
	v_cmpx_gt_i32_e64 s2, v0
	s_cbranch_execnz .LBB172_17
.LBB172_22:
	s_or_b32 exec_lo, exec_lo, s0
	s_delay_alu instid0(SALU_CYCLE_1)
	s_mov_b32 s0, exec_lo
	v_cmpx_gt_i32_e64 s2, v0
	s_cbranch_execz .LBB172_18
.LBB172_23:
	v_dual_mov_b32 v2, 0 :: v_dual_add_nc_u32 v1, s1, v0
	v_add_nc_u32_e32 v0, 0x100, v0
	s_delay_alu instid0(VALU_DEP_2) | instskip(NEXT) | instid1(VALU_DEP_1)
	v_lshlrev_b64 v[1:2], 1, v[1:2]
	v_add_co_u32 v1, vcc_lo, s4, v1
	s_delay_alu instid0(VALU_DEP_2) | instskip(SKIP_2) | instid1(SALU_CYCLE_1)
	v_add_co_ci_u32_e32 v2, vcc_lo, s5, v2, vcc_lo
	global_store_b16 v[1:2], v4, off
	s_or_b32 exec_lo, exec_lo, s0
	s_mov_b32 s0, exec_lo
	v_cmpx_gt_i32_e64 s2, v0
	s_cbranch_execnz .LBB172_19
.LBB172_24:
	s_nop 0
	s_sendmsg sendmsg(MSG_DEALLOC_VGPRS)
	s_endpgm
	.section	.rodata,"a",@progbits
	.p2align	6, 0x0
	.amdhsa_kernel _ZN2at6native27unrolled_elementwise_kernelIZNS0_12_GLOBAL__N_119masked_scale_kernelIhN3c108BFloat16EfEEvRNS_6TensorERKS6_S9_T1_EUlS5_hE_St5arrayIPcLm3EELi4E23TrivialOffsetCalculatorILi2EjESF_ILi1EjENS0_6memory15LoadWithoutCastENSI_16StoreWithoutCastEEEviT_T0_T2_T3_T4_T5_
		.amdhsa_group_segment_fixed_size 0
		.amdhsa_private_segment_fixed_size 0
		.amdhsa_kernarg_size 36
		.amdhsa_user_sgpr_count 15
		.amdhsa_user_sgpr_dispatch_ptr 0
		.amdhsa_user_sgpr_queue_ptr 0
		.amdhsa_user_sgpr_kernarg_segment_ptr 1
		.amdhsa_user_sgpr_dispatch_id 0
		.amdhsa_user_sgpr_private_segment_size 0
		.amdhsa_wavefront_size32 1
		.amdhsa_uses_dynamic_stack 0
		.amdhsa_enable_private_segment 0
		.amdhsa_system_sgpr_workgroup_id_x 1
		.amdhsa_system_sgpr_workgroup_id_y 0
		.amdhsa_system_sgpr_workgroup_id_z 0
		.amdhsa_system_sgpr_workgroup_info 0
		.amdhsa_system_vgpr_workitem_id 0
		.amdhsa_next_free_vgpr 14
		.amdhsa_next_free_sgpr 16
		.amdhsa_reserve_vcc 1
		.amdhsa_float_round_mode_32 0
		.amdhsa_float_round_mode_16_64 0
		.amdhsa_float_denorm_mode_32 3
		.amdhsa_float_denorm_mode_16_64 3
		.amdhsa_dx10_clamp 1
		.amdhsa_ieee_mode 1
		.amdhsa_fp16_overflow 0
		.amdhsa_workgroup_processor_mode 1
		.amdhsa_memory_ordered 1
		.amdhsa_forward_progress 0
		.amdhsa_shared_vgpr_count 0
		.amdhsa_exception_fp_ieee_invalid_op 0
		.amdhsa_exception_fp_denorm_src 0
		.amdhsa_exception_fp_ieee_div_zero 0
		.amdhsa_exception_fp_ieee_overflow 0
		.amdhsa_exception_fp_ieee_underflow 0
		.amdhsa_exception_fp_ieee_inexact 0
		.amdhsa_exception_int_div_zero 0
	.end_amdhsa_kernel
	.section	.text._ZN2at6native27unrolled_elementwise_kernelIZNS0_12_GLOBAL__N_119masked_scale_kernelIhN3c108BFloat16EfEEvRNS_6TensorERKS6_S9_T1_EUlS5_hE_St5arrayIPcLm3EELi4E23TrivialOffsetCalculatorILi2EjESF_ILi1EjENS0_6memory15LoadWithoutCastENSI_16StoreWithoutCastEEEviT_T0_T2_T3_T4_T5_,"axG",@progbits,_ZN2at6native27unrolled_elementwise_kernelIZNS0_12_GLOBAL__N_119masked_scale_kernelIhN3c108BFloat16EfEEvRNS_6TensorERKS6_S9_T1_EUlS5_hE_St5arrayIPcLm3EELi4E23TrivialOffsetCalculatorILi2EjESF_ILi1EjENS0_6memory15LoadWithoutCastENSI_16StoreWithoutCastEEEviT_T0_T2_T3_T4_T5_,comdat
.Lfunc_end172:
	.size	_ZN2at6native27unrolled_elementwise_kernelIZNS0_12_GLOBAL__N_119masked_scale_kernelIhN3c108BFloat16EfEEvRNS_6TensorERKS6_S9_T1_EUlS5_hE_St5arrayIPcLm3EELi4E23TrivialOffsetCalculatorILi2EjESF_ILi1EjENS0_6memory15LoadWithoutCastENSI_16StoreWithoutCastEEEviT_T0_T2_T3_T4_T5_, .Lfunc_end172-_ZN2at6native27unrolled_elementwise_kernelIZNS0_12_GLOBAL__N_119masked_scale_kernelIhN3c108BFloat16EfEEvRNS_6TensorERKS6_S9_T1_EUlS5_hE_St5arrayIPcLm3EELi4E23TrivialOffsetCalculatorILi2EjESF_ILi1EjENS0_6memory15LoadWithoutCastENSI_16StoreWithoutCastEEEviT_T0_T2_T3_T4_T5_
                                        ; -- End function
	.section	.AMDGPU.csdata,"",@progbits
; Kernel info:
; codeLenInByte = 1212
; NumSgprs: 18
; NumVgprs: 14
; ScratchSize: 0
; MemoryBound: 0
; FloatMode: 240
; IeeeMode: 1
; LDSByteSize: 0 bytes/workgroup (compile time only)
; SGPRBlocks: 2
; VGPRBlocks: 1
; NumSGPRsForWavesPerEU: 18
; NumVGPRsForWavesPerEU: 14
; Occupancy: 16
; WaveLimiterHint : 0
; COMPUTE_PGM_RSRC2:SCRATCH_EN: 0
; COMPUTE_PGM_RSRC2:USER_SGPR: 15
; COMPUTE_PGM_RSRC2:TRAP_HANDLER: 0
; COMPUTE_PGM_RSRC2:TGID_X_EN: 1
; COMPUTE_PGM_RSRC2:TGID_Y_EN: 0
; COMPUTE_PGM_RSRC2:TGID_Z_EN: 0
; COMPUTE_PGM_RSRC2:TIDIG_COMP_CNT: 0
	.section	.text._ZN2at6native32elementwise_kernel_manual_unrollILi128ELi8EZNS0_22gpu_kernel_impl_nocastIZNS0_12_GLOBAL__N_119masked_scale_kernelIhN3c108BFloat16EfEEvRNS_6TensorERKS7_SA_T1_EUlS6_hE_EEvRNS_18TensorIteratorBaseERKT_EUlibE_EEviSB_,"axG",@progbits,_ZN2at6native32elementwise_kernel_manual_unrollILi128ELi8EZNS0_22gpu_kernel_impl_nocastIZNS0_12_GLOBAL__N_119masked_scale_kernelIhN3c108BFloat16EfEEvRNS_6TensorERKS7_SA_T1_EUlS6_hE_EEvRNS_18TensorIteratorBaseERKT_EUlibE_EEviSB_,comdat
	.globl	_ZN2at6native32elementwise_kernel_manual_unrollILi128ELi8EZNS0_22gpu_kernel_impl_nocastIZNS0_12_GLOBAL__N_119masked_scale_kernelIhN3c108BFloat16EfEEvRNS_6TensorERKS7_SA_T1_EUlS6_hE_EEvRNS_18TensorIteratorBaseERKT_EUlibE_EEviSB_ ; -- Begin function _ZN2at6native32elementwise_kernel_manual_unrollILi128ELi8EZNS0_22gpu_kernel_impl_nocastIZNS0_12_GLOBAL__N_119masked_scale_kernelIhN3c108BFloat16EfEEvRNS_6TensorERKS7_SA_T1_EUlS6_hE_EEvRNS_18TensorIteratorBaseERKT_EUlibE_EEviSB_
	.p2align	8
	.type	_ZN2at6native32elementwise_kernel_manual_unrollILi128ELi8EZNS0_22gpu_kernel_impl_nocastIZNS0_12_GLOBAL__N_119masked_scale_kernelIhN3c108BFloat16EfEEvRNS_6TensorERKS7_SA_T1_EUlS6_hE_EEvRNS_18TensorIteratorBaseERKT_EUlibE_EEviSB_,@function
_ZN2at6native32elementwise_kernel_manual_unrollILi128ELi8EZNS0_22gpu_kernel_impl_nocastIZNS0_12_GLOBAL__N_119masked_scale_kernelIhN3c108BFloat16EfEEvRNS_6TensorERKS7_SA_T1_EUlS6_hE_EEvRNS_18TensorIteratorBaseERKT_EUlibE_EEviSB_: ; @_ZN2at6native32elementwise_kernel_manual_unrollILi128ELi8EZNS0_22gpu_kernel_impl_nocastIZNS0_12_GLOBAL__N_119masked_scale_kernelIhN3c108BFloat16EfEEvRNS_6TensorERKS7_SA_T1_EUlS6_hE_EEvRNS_18TensorIteratorBaseERKT_EUlibE_EEviSB_
; %bb.0:
	s_clause 0x1
	s_load_b32 s22, s[0:1], 0x8
	s_load_b32 s29, s[0:1], 0x0
	v_lshl_or_b32 v18, s15, 10, v0
	s_or_b32 s0, s0, 8
	s_mov_b32 s2, exec_lo
	s_delay_alu instid0(VALU_DEP_1) | instskip(SKIP_2) | instid1(SALU_CYCLE_1)
	v_or_b32_e32 v24, 0x380, v18
	s_waitcnt lgkmcnt(0)
	s_add_i32 s23, s22, -1
	s_cmp_gt_u32 s23, 1
	s_cselect_b32 s24, -1, 0
	v_cmpx_le_i32_e64 s29, v24
	s_xor_b32 s25, exec_lo, s2
	s_cbranch_execz .LBB173_8
; %bb.1:
	s_clause 0x6
	s_load_b128 s[12:15], s[0:1], 0x4
	s_load_b64 s[18:19], s[0:1], 0x14
	s_load_b128 s[8:11], s[0:1], 0xc4
	s_load_b64 s[16:17], s[0:1], 0xd4
	s_load_b64 s[2:3], s[0:1], 0x198
	s_load_b128 s[4:7], s[0:1], 0x188
	s_load_b32 s26, s[0:1], 0x1a0
	s_cmp_lg_u32 s22, 0
	s_mov_b32 s31, exec_lo
	s_cselect_b32 s30, -1, 0
	s_min_u32 s28, s23, 15
	s_cmp_gt_u32 s22, 1
	s_cselect_b32 s27, -1, 0
	v_cmpx_gt_i32_e64 s29, v18
	s_cbranch_execz .LBB173_15
; %bb.2:
	s_and_not1_b32 vcc_lo, exec_lo, s24
	s_cbranch_vccnz .LBB173_97
; %bb.3:
	v_dual_mov_b32 v0, 0 :: v_dual_mov_b32 v1, 0
	v_mov_b32_e32 v2, 0
	s_and_not1_b32 vcc_lo, exec_lo, s30
	s_mov_b32 s33, 0
	s_cbranch_vccnz .LBB173_98
; %bb.4:
	s_add_i32 s20, s28, 1
	v_dual_mov_b32 v1, 0 :: v_dual_mov_b32 v2, 0
	v_dual_mov_b32 v0, 0 :: v_dual_mov_b32 v3, v18
	s_and_b32 s34, s20, 30
	s_add_u32 s20, s0, 0xffffffec
	s_addc_u32 s21, s1, -1
	s_set_inst_prefetch_distance 0x1
	.p2align	6
.LBB173_5:                              ; =>This Inner Loop Header: Depth=1
	s_clause 0x2
	s_load_b128 s[36:39], s[20:21], 0x18
	s_load_b64 s[44:45], s[20:21], 0x28
	s_load_b128 s[40:43], s[20:21], 0xd8
	s_waitcnt lgkmcnt(0)
	v_mul_hi_u32 v4, s37, v3
	s_delay_alu instid0(VALU_DEP_1) | instskip(NEXT) | instid1(VALU_DEP_1)
	v_add_nc_u32_e32 v4, v3, v4
	v_lshrrev_b32_e32 v4, s38, v4
	s_delay_alu instid0(VALU_DEP_1)
	v_mul_hi_u32 v5, s44, v4
	v_mul_lo_u32 v6, v4, s36
	s_load_b64 s[36:37], s[20:21], 0xe8
	s_add_u32 s20, s20, 24
	s_addc_u32 s21, s21, 0
	s_add_i32 s34, s34, -2
	s_delay_alu instid0(SALU_CYCLE_1) | instskip(NEXT) | instid1(VALU_DEP_2)
	s_cmp_lg_u32 s34, 0
	v_add_nc_u32_e32 v5, v4, v5
	s_delay_alu instid0(VALU_DEP_2) | instskip(NEXT) | instid1(VALU_DEP_2)
	v_sub_nc_u32_e32 v6, v3, v6
	v_lshrrev_b32_e32 v3, s45, v5
	s_delay_alu instid0(VALU_DEP_2) | instskip(NEXT) | instid1(VALU_DEP_2)
	v_mul_lo_u32 v7, v6, s40
	v_mul_lo_u32 v5, v3, s39
	s_delay_alu instid0(VALU_DEP_1) | instskip(SKIP_2) | instid1(VALU_DEP_3)
	v_sub_nc_u32_e32 v4, v4, v5
	v_mul_lo_u32 v5, v6, s41
	v_mul_lo_u32 v6, v6, s42
	;; [unrolled: 1-line block ×3, first 2 shown]
	s_waitcnt lgkmcnt(0)
	v_mul_lo_u32 v9, v4, s36
	v_mul_lo_u32 v4, v4, s37
	s_delay_alu instid0(VALU_DEP_3) | instskip(NEXT) | instid1(VALU_DEP_3)
	v_add3_u32 v0, v7, v0, v8
	v_add3_u32 v2, v5, v2, v9
	s_delay_alu instid0(VALU_DEP_3)
	v_add3_u32 v1, v6, v1, v4
	s_cbranch_scc1 .LBB173_5
; %bb.6:
	s_set_inst_prefetch_distance 0x2
	s_bitcmp1_b32 s28, 0
	s_cselect_b32 s34, -1, 0
	s_delay_alu instid0(SALU_CYCLE_1)
	s_and_b32 vcc_lo, exec_lo, s34
	s_cbranch_vccnz .LBB173_98
; %bb.7:
	s_clause 0x3
	s_load_b64 s[34:35], s[20:21], 0x18
	s_load_b32 s38, s[20:21], 0x20
	s_load_b64 s[36:37], s[20:21], 0xd8
	s_load_b32 s20, s[20:21], 0xe0
	s_waitcnt lgkmcnt(0)
	v_mul_hi_u32 v4, s35, v3
	s_delay_alu instid0(VALU_DEP_1) | instskip(NEXT) | instid1(VALU_DEP_1)
	v_add_nc_u32_e32 v4, v3, v4
	v_lshrrev_b32_e32 v4, s38, v4
	s_delay_alu instid0(VALU_DEP_1) | instskip(NEXT) | instid1(VALU_DEP_1)
	v_mul_lo_u32 v4, v4, s34
	v_sub_nc_u32_e32 v7, v3, v4
	s_delay_alu instid0(VALU_DEP_1) | instskip(NEXT) | instid1(VALU_DEP_1)
	v_mad_u64_u32 v[3:4], null, v7, s36, v[0:1]
	v_mad_u64_u32 v[4:5], null, v7, s37, v[2:3]
	;; [unrolled: 1-line block ×3, first 2 shown]
	v_mov_b32_e32 v0, v3
	s_delay_alu instid0(VALU_DEP_2)
	v_dual_mov_b32 v2, v4 :: v_dual_mov_b32 v1, v5
	s_branch .LBB173_98
.LBB173_8:
	s_and_not1_saveexec_b32 s2, s25
	s_cbranch_execz .LBB173_164
.LBB173_9:
	v_cndmask_b32_e64 v21, 0, 1, s24
	s_and_not1_b32 vcc_lo, exec_lo, s24
	s_cbranch_vccnz .LBB173_22
; %bb.10:
	v_dual_mov_b32 v0, 0 :: v_dual_mov_b32 v1, 0
	v_mov_b32_e32 v2, 0
	s_cmp_lg_u32 s22, 0
	s_mov_b32 s4, 0
	s_cbranch_scc0 .LBB173_23
; %bb.11:
	s_min_u32 s5, s23, 15
	v_dual_mov_b32 v1, 0 :: v_dual_mov_b32 v2, 0
	s_add_i32 s2, s5, 1
	v_dual_mov_b32 v0, 0 :: v_dual_mov_b32 v3, v18
	s_and_b32 s6, s2, 30
	s_add_u32 s2, s0, 0xffffffec
	s_addc_u32 s3, s1, -1
	s_set_inst_prefetch_distance 0x1
	.p2align	6
.LBB173_12:                             ; =>This Inner Loop Header: Depth=1
	s_clause 0x2
	s_load_b128 s[8:11], s[2:3], 0x18
	s_load_b64 s[16:17], s[2:3], 0x28
	s_load_b128 s[12:15], s[2:3], 0xd8
	s_waitcnt lgkmcnt(0)
	v_mul_hi_u32 v4, s9, v3
	s_delay_alu instid0(VALU_DEP_1) | instskip(NEXT) | instid1(VALU_DEP_1)
	v_add_nc_u32_e32 v4, v3, v4
	v_lshrrev_b32_e32 v4, s10, v4
	s_delay_alu instid0(VALU_DEP_1)
	v_mul_hi_u32 v5, s16, v4
	v_mul_lo_u32 v6, v4, s8
	s_load_b64 s[8:9], s[2:3], 0xe8
	s_add_u32 s2, s2, 24
	s_addc_u32 s3, s3, 0
	s_add_i32 s6, s6, -2
	s_delay_alu instid0(SALU_CYCLE_1) | instskip(NEXT) | instid1(VALU_DEP_2)
	s_cmp_lg_u32 s6, 0
	v_add_nc_u32_e32 v5, v4, v5
	s_delay_alu instid0(VALU_DEP_2) | instskip(NEXT) | instid1(VALU_DEP_2)
	v_sub_nc_u32_e32 v6, v3, v6
	v_lshrrev_b32_e32 v3, s17, v5
	s_delay_alu instid0(VALU_DEP_2) | instskip(NEXT) | instid1(VALU_DEP_2)
	v_mul_lo_u32 v7, v6, s12
	v_mul_lo_u32 v5, v3, s11
	s_delay_alu instid0(VALU_DEP_1) | instskip(SKIP_2) | instid1(VALU_DEP_3)
	v_sub_nc_u32_e32 v4, v4, v5
	v_mul_lo_u32 v5, v6, s13
	v_mul_lo_u32 v6, v6, s14
	v_mul_lo_u32 v8, v4, s15
	s_waitcnt lgkmcnt(0)
	v_mul_lo_u32 v9, v4, s8
	v_mul_lo_u32 v4, v4, s9
	s_delay_alu instid0(VALU_DEP_3) | instskip(NEXT) | instid1(VALU_DEP_3)
	v_add3_u32 v0, v7, v0, v8
	v_add3_u32 v2, v5, v2, v9
	s_delay_alu instid0(VALU_DEP_3)
	v_add3_u32 v1, v6, v1, v4
	s_cbranch_scc1 .LBB173_12
; %bb.13:
	s_set_inst_prefetch_distance 0x2
	s_bitcmp1_b32 s5, 0
	s_cselect_b32 s5, -1, 0
	s_delay_alu instid0(SALU_CYCLE_1)
	s_and_b32 vcc_lo, exec_lo, s5
	s_cbranch_vccnz .LBB173_23
; %bb.14:
	s_clause 0x3
	s_load_b64 s[6:7], s[2:3], 0x18
	s_load_b32 s5, s[2:3], 0x20
	s_load_b64 s[8:9], s[2:3], 0xd8
	s_load_b32 s2, s[2:3], 0xe0
	s_waitcnt lgkmcnt(0)
	v_mul_hi_u32 v4, s7, v3
	s_delay_alu instid0(VALU_DEP_1) | instskip(NEXT) | instid1(VALU_DEP_1)
	v_add_nc_u32_e32 v4, v3, v4
	v_lshrrev_b32_e32 v4, s5, v4
	s_delay_alu instid0(VALU_DEP_1) | instskip(NEXT) | instid1(VALU_DEP_1)
	v_mul_lo_u32 v4, v4, s6
	v_sub_nc_u32_e32 v7, v3, v4
	s_delay_alu instid0(VALU_DEP_1) | instskip(NEXT) | instid1(VALU_DEP_1)
	v_mad_u64_u32 v[3:4], null, v7, s8, v[0:1]
	v_mad_u64_u32 v[4:5], null, v7, s9, v[2:3]
	;; [unrolled: 1-line block ×3, first 2 shown]
	v_mov_b32_e32 v0, v3
	s_delay_alu instid0(VALU_DEP_2)
	v_dual_mov_b32 v2, v4 :: v_dual_mov_b32 v1, v5
	s_branch .LBB173_23
.LBB173_15:
	s_or_b32 exec_lo, exec_lo, s31
	s_delay_alu instid0(SALU_CYCLE_1)
	s_mov_b32 s31, exec_lo
	v_cmpx_gt_i32_e64 s29, v18
	s_cbranch_execz .LBB173_102
.LBB173_16:
	s_and_not1_b32 vcc_lo, exec_lo, s24
	s_cbranch_vccnz .LBB173_109
; %bb.17:
	v_dual_mov_b32 v0, 0 :: v_dual_mov_b32 v1, 0
	v_mov_b32_e32 v2, 0
	s_and_not1_b32 vcc_lo, exec_lo, s30
	s_mov_b32 s33, 0
	s_cbranch_vccnz .LBB173_110
; %bb.18:
	s_add_i32 s20, s28, 1
	v_dual_mov_b32 v1, 0 :: v_dual_mov_b32 v2, 0
	v_dual_mov_b32 v0, 0 :: v_dual_mov_b32 v3, v18
	s_and_b32 s34, s20, 30
	s_add_u32 s20, s0, 0xffffffec
	s_addc_u32 s21, s1, -1
	s_set_inst_prefetch_distance 0x1
	.p2align	6
.LBB173_19:                             ; =>This Inner Loop Header: Depth=1
	s_clause 0x2
	s_load_b128 s[36:39], s[20:21], 0x18
	s_load_b64 s[44:45], s[20:21], 0x28
	s_load_b128 s[40:43], s[20:21], 0xd8
	s_waitcnt lgkmcnt(0)
	v_mul_hi_u32 v4, s37, v3
	s_delay_alu instid0(VALU_DEP_1) | instskip(NEXT) | instid1(VALU_DEP_1)
	v_add_nc_u32_e32 v4, v3, v4
	v_lshrrev_b32_e32 v4, s38, v4
	s_delay_alu instid0(VALU_DEP_1)
	v_mul_hi_u32 v5, s44, v4
	v_mul_lo_u32 v6, v4, s36
	s_load_b64 s[36:37], s[20:21], 0xe8
	s_add_u32 s20, s20, 24
	s_addc_u32 s21, s21, 0
	s_add_i32 s34, s34, -2
	s_delay_alu instid0(SALU_CYCLE_1) | instskip(NEXT) | instid1(VALU_DEP_2)
	s_cmp_eq_u32 s34, 0
	v_add_nc_u32_e32 v5, v4, v5
	s_delay_alu instid0(VALU_DEP_2) | instskip(NEXT) | instid1(VALU_DEP_2)
	v_sub_nc_u32_e32 v6, v3, v6
	v_lshrrev_b32_e32 v3, s45, v5
	s_delay_alu instid0(VALU_DEP_2) | instskip(NEXT) | instid1(VALU_DEP_2)
	v_mul_lo_u32 v7, v6, s40
	v_mul_lo_u32 v5, v3, s39
	s_delay_alu instid0(VALU_DEP_1) | instskip(SKIP_2) | instid1(VALU_DEP_3)
	v_sub_nc_u32_e32 v4, v4, v5
	v_mul_lo_u32 v5, v6, s41
	v_mul_lo_u32 v6, v6, s42
	;; [unrolled: 1-line block ×3, first 2 shown]
	s_waitcnt lgkmcnt(0)
	v_mul_lo_u32 v9, v4, s36
	v_mul_lo_u32 v4, v4, s37
	s_delay_alu instid0(VALU_DEP_3) | instskip(NEXT) | instid1(VALU_DEP_3)
	v_add3_u32 v0, v7, v0, v8
	v_add3_u32 v2, v5, v2, v9
	s_delay_alu instid0(VALU_DEP_3)
	v_add3_u32 v1, v6, v1, v4
	s_cbranch_scc0 .LBB173_19
; %bb.20:
	s_set_inst_prefetch_distance 0x2
	s_bitcmp1_b32 s28, 0
	s_cselect_b32 s34, -1, 0
	s_delay_alu instid0(SALU_CYCLE_1)
	s_and_b32 vcc_lo, exec_lo, s34
	s_cbranch_vccnz .LBB173_110
; %bb.21:
	s_clause 0x3
	s_load_b64 s[34:35], s[20:21], 0x18
	s_load_b32 s38, s[20:21], 0x20
	s_load_b64 s[36:37], s[20:21], 0xd8
	s_load_b32 s20, s[20:21], 0xe0
	s_waitcnt lgkmcnt(0)
	v_mul_hi_u32 v4, s35, v3
	s_delay_alu instid0(VALU_DEP_1) | instskip(NEXT) | instid1(VALU_DEP_1)
	v_add_nc_u32_e32 v4, v3, v4
	v_lshrrev_b32_e32 v4, s38, v4
	s_delay_alu instid0(VALU_DEP_1) | instskip(NEXT) | instid1(VALU_DEP_1)
	v_mul_lo_u32 v4, v4, s34
	v_sub_nc_u32_e32 v7, v3, v4
	s_delay_alu instid0(VALU_DEP_1) | instskip(NEXT) | instid1(VALU_DEP_1)
	v_mad_u64_u32 v[3:4], null, v7, s36, v[0:1]
	v_mad_u64_u32 v[4:5], null, v7, s37, v[2:3]
	v_mad_u64_u32 v[5:6], null, v7, s20, v[1:2]
	v_mov_b32_e32 v0, v3
	s_delay_alu instid0(VALU_DEP_2)
	v_dual_mov_b32 v2, v4 :: v_dual_mov_b32 v1, v5
	s_branch .LBB173_110
.LBB173_22:
	s_mov_b32 s4, -1
                                        ; implicit-def: $vgpr0
                                        ; implicit-def: $vgpr2
                                        ; implicit-def: $vgpr1
.LBB173_23:
	s_delay_alu instid0(SALU_CYCLE_1)
	s_and_not1_b32 vcc_lo, exec_lo, s4
	s_cbranch_vccnz .LBB173_26
; %bb.24:
	s_clause 0x1
	s_load_b128 s[4:7], s[0:1], 0x4
	s_load_b128 s[8:11], s[0:1], 0xc4
	s_cmp_lt_u32 s22, 2
	s_waitcnt lgkmcnt(0)
	v_mul_hi_u32 v0, s5, v18
	s_delay_alu instid0(VALU_DEP_1) | instskip(NEXT) | instid1(VALU_DEP_1)
	v_add_nc_u32_e32 v0, v18, v0
	v_lshrrev_b32_e32 v3, s6, v0
	s_delay_alu instid0(VALU_DEP_1) | instskip(NEXT) | instid1(VALU_DEP_1)
	v_mul_lo_u32 v0, v3, s4
	v_sub_nc_u32_e32 v1, v18, v0
	s_delay_alu instid0(VALU_DEP_1)
	v_mul_lo_u32 v0, v1, s8
	v_mul_lo_u32 v2, v1, s9
	;; [unrolled: 1-line block ×3, first 2 shown]
	s_cbranch_scc1 .LBB173_26
; %bb.25:
	s_clause 0x1
	s_load_b128 s[4:7], s[0:1], 0x10
	s_load_b128 s[8:11], s[0:1], 0xd0
	s_waitcnt lgkmcnt(0)
	v_mul_hi_u32 v4, s5, v3
	s_delay_alu instid0(VALU_DEP_1) | instskip(NEXT) | instid1(VALU_DEP_1)
	v_add_nc_u32_e32 v4, v3, v4
	v_lshrrev_b32_e32 v4, s6, v4
	s_delay_alu instid0(VALU_DEP_1) | instskip(NEXT) | instid1(VALU_DEP_1)
	v_mul_lo_u32 v4, v4, s4
	v_sub_nc_u32_e32 v7, v3, v4
	s_delay_alu instid0(VALU_DEP_1) | instskip(NEXT) | instid1(VALU_DEP_1)
	v_mad_u64_u32 v[3:4], null, v7, s8, v[0:1]
	v_mad_u64_u32 v[4:5], null, v7, s9, v[2:3]
	;; [unrolled: 1-line block ×3, first 2 shown]
	v_mov_b32_e32 v0, v3
	s_delay_alu instid0(VALU_DEP_2)
	v_dual_mov_b32 v2, v4 :: v_dual_mov_b32 v1, v5
.LBB173_26:
	v_cmp_ne_u32_e32 vcc_lo, 1, v21
	v_add_nc_u32_e32 v6, 0x80, v18
	s_cbranch_vccnz .LBB173_32
; %bb.27:
	v_dual_mov_b32 v3, 0 :: v_dual_mov_b32 v4, 0
	v_mov_b32_e32 v5, 0
	s_cmp_lg_u32 s22, 0
	s_mov_b32 s4, 0
	s_cbranch_scc0 .LBB173_33
; %bb.28:
	s_min_u32 s5, s23, 15
	v_dual_mov_b32 v4, 0 :: v_dual_mov_b32 v5, 0
	s_add_i32 s2, s5, 1
	v_mov_b32_e32 v3, 0
	v_mov_b32_e32 v7, v6
	s_and_b32 s6, s2, 30
	s_add_u32 s2, s0, 0xffffffec
	s_addc_u32 s3, s1, -1
	s_set_inst_prefetch_distance 0x1
	.p2align	6
.LBB173_29:                             ; =>This Inner Loop Header: Depth=1
	s_clause 0x2
	s_load_b128 s[8:11], s[2:3], 0x18
	s_load_b64 s[16:17], s[2:3], 0x28
	s_load_b128 s[12:15], s[2:3], 0xd8
	s_waitcnt lgkmcnt(0)
	v_mul_hi_u32 v8, s9, v7
	s_delay_alu instid0(VALU_DEP_1) | instskip(NEXT) | instid1(VALU_DEP_1)
	v_add_nc_u32_e32 v8, v7, v8
	v_lshrrev_b32_e32 v8, s10, v8
	s_delay_alu instid0(VALU_DEP_1)
	v_mul_hi_u32 v9, s16, v8
	v_mul_lo_u32 v10, v8, s8
	s_load_b64 s[8:9], s[2:3], 0xe8
	s_add_u32 s2, s2, 24
	s_addc_u32 s3, s3, 0
	s_add_i32 s6, s6, -2
	s_delay_alu instid0(SALU_CYCLE_1) | instskip(NEXT) | instid1(VALU_DEP_2)
	s_cmp_lg_u32 s6, 0
	v_add_nc_u32_e32 v9, v8, v9
	s_delay_alu instid0(VALU_DEP_2) | instskip(NEXT) | instid1(VALU_DEP_2)
	v_sub_nc_u32_e32 v10, v7, v10
	v_lshrrev_b32_e32 v7, s17, v9
	s_delay_alu instid0(VALU_DEP_2) | instskip(NEXT) | instid1(VALU_DEP_2)
	v_mul_lo_u32 v11, v10, s12
	v_mul_lo_u32 v9, v7, s11
	s_delay_alu instid0(VALU_DEP_1) | instskip(SKIP_2) | instid1(VALU_DEP_3)
	v_sub_nc_u32_e32 v8, v8, v9
	v_mul_lo_u32 v9, v10, s13
	v_mul_lo_u32 v10, v10, s14
	;; [unrolled: 1-line block ×3, first 2 shown]
	s_waitcnt lgkmcnt(0)
	v_mul_lo_u32 v13, v8, s8
	v_mul_lo_u32 v8, v8, s9
	s_delay_alu instid0(VALU_DEP_3) | instskip(NEXT) | instid1(VALU_DEP_3)
	v_add3_u32 v3, v11, v3, v12
	v_add3_u32 v5, v9, v5, v13
	s_delay_alu instid0(VALU_DEP_3)
	v_add3_u32 v4, v10, v4, v8
	s_cbranch_scc1 .LBB173_29
; %bb.30:
	s_set_inst_prefetch_distance 0x2
	s_bitcmp1_b32 s5, 0
	s_cselect_b32 s5, -1, 0
	s_delay_alu instid0(SALU_CYCLE_1)
	s_and_b32 vcc_lo, exec_lo, s5
	s_cbranch_vccnz .LBB173_33
; %bb.31:
	s_clause 0x3
	s_load_b64 s[6:7], s[2:3], 0x18
	s_load_b32 s5, s[2:3], 0x20
	s_load_b64 s[8:9], s[2:3], 0xd8
	s_load_b32 s2, s[2:3], 0xe0
	s_waitcnt lgkmcnt(0)
	v_mul_hi_u32 v8, s7, v7
	s_delay_alu instid0(VALU_DEP_1) | instskip(NEXT) | instid1(VALU_DEP_1)
	v_add_nc_u32_e32 v8, v7, v8
	v_lshrrev_b32_e32 v8, s5, v8
	s_delay_alu instid0(VALU_DEP_1) | instskip(NEXT) | instid1(VALU_DEP_1)
	v_mul_lo_u32 v8, v8, s6
	v_sub_nc_u32_e32 v11, v7, v8
	s_delay_alu instid0(VALU_DEP_1) | instskip(SKIP_2) | instid1(VALU_DEP_3)
	v_mad_u64_u32 v[7:8], null, v11, s8, v[3:4]
	v_mad_u64_u32 v[8:9], null, v11, s9, v[5:6]
	;; [unrolled: 1-line block ×3, first 2 shown]
	v_mov_b32_e32 v3, v7
	s_delay_alu instid0(VALU_DEP_2)
	v_dual_mov_b32 v5, v8 :: v_dual_mov_b32 v4, v9
	s_branch .LBB173_33
.LBB173_32:
	s_mov_b32 s4, -1
                                        ; implicit-def: $vgpr3
                                        ; implicit-def: $vgpr5
                                        ; implicit-def: $vgpr4
.LBB173_33:
	s_delay_alu instid0(SALU_CYCLE_1)
	s_and_not1_b32 vcc_lo, exec_lo, s4
	s_cbranch_vccnz .LBB173_36
; %bb.34:
	s_clause 0x1
	s_load_b128 s[4:7], s[0:1], 0x4
	s_load_b128 s[8:11], s[0:1], 0xc4
	s_cmp_lt_u32 s22, 2
	s_waitcnt lgkmcnt(0)
	v_mul_hi_u32 v3, s5, v6
	s_delay_alu instid0(VALU_DEP_1) | instskip(NEXT) | instid1(VALU_DEP_1)
	v_add_nc_u32_e32 v3, v6, v3
	v_lshrrev_b32_e32 v7, s6, v3
	s_delay_alu instid0(VALU_DEP_1) | instskip(NEXT) | instid1(VALU_DEP_1)
	v_mul_lo_u32 v3, v7, s4
	v_sub_nc_u32_e32 v4, v6, v3
	s_delay_alu instid0(VALU_DEP_1)
	v_mul_lo_u32 v3, v4, s8
	v_mul_lo_u32 v5, v4, s9
	;; [unrolled: 1-line block ×3, first 2 shown]
	s_cbranch_scc1 .LBB173_36
; %bb.35:
	s_clause 0x1
	s_load_b128 s[4:7], s[0:1], 0x10
	s_load_b128 s[8:11], s[0:1], 0xd0
	s_waitcnt lgkmcnt(0)
	v_mul_hi_u32 v6, s5, v7
	s_delay_alu instid0(VALU_DEP_1) | instskip(NEXT) | instid1(VALU_DEP_1)
	v_add_nc_u32_e32 v6, v7, v6
	v_lshrrev_b32_e32 v6, s6, v6
	s_delay_alu instid0(VALU_DEP_1) | instskip(NEXT) | instid1(VALU_DEP_1)
	v_mul_lo_u32 v6, v6, s4
	v_sub_nc_u32_e32 v10, v7, v6
	s_delay_alu instid0(VALU_DEP_1) | instskip(NEXT) | instid1(VALU_DEP_1)
	v_mad_u64_u32 v[6:7], null, v10, s8, v[3:4]
	v_mad_u64_u32 v[7:8], null, v10, s9, v[5:6]
	;; [unrolled: 1-line block ×3, first 2 shown]
	v_mov_b32_e32 v3, v6
	s_delay_alu instid0(VALU_DEP_2)
	v_dual_mov_b32 v5, v7 :: v_dual_mov_b32 v4, v8
.LBB173_36:
	v_cmp_ne_u32_e32 vcc_lo, 1, v21
	v_add_nc_u32_e32 v9, 0x100, v18
	s_cbranch_vccnz .LBB173_42
; %bb.37:
	v_dual_mov_b32 v6, 0 :: v_dual_mov_b32 v7, 0
	v_mov_b32_e32 v8, 0
	s_cmp_lg_u32 s22, 0
	s_mov_b32 s4, 0
	s_cbranch_scc0 .LBB173_43
; %bb.38:
	s_min_u32 s5, s23, 15
	v_dual_mov_b32 v7, 0 :: v_dual_mov_b32 v8, 0
	s_add_i32 s2, s5, 1
	v_mov_b32_e32 v6, 0
	v_mov_b32_e32 v10, v9
	s_and_b32 s6, s2, 30
	s_add_u32 s2, s0, 0xffffffec
	s_addc_u32 s3, s1, -1
	s_set_inst_prefetch_distance 0x1
	.p2align	6
.LBB173_39:                             ; =>This Inner Loop Header: Depth=1
	s_clause 0x2
	s_load_b128 s[8:11], s[2:3], 0x18
	s_load_b64 s[16:17], s[2:3], 0x28
	s_load_b128 s[12:15], s[2:3], 0xd8
	s_waitcnt lgkmcnt(0)
	v_mul_hi_u32 v11, s9, v10
	s_delay_alu instid0(VALU_DEP_1) | instskip(NEXT) | instid1(VALU_DEP_1)
	v_add_nc_u32_e32 v11, v10, v11
	v_lshrrev_b32_e32 v11, s10, v11
	s_delay_alu instid0(VALU_DEP_1)
	v_mul_hi_u32 v12, s16, v11
	v_mul_lo_u32 v13, v11, s8
	s_load_b64 s[8:9], s[2:3], 0xe8
	s_add_u32 s2, s2, 24
	s_addc_u32 s3, s3, 0
	s_add_i32 s6, s6, -2
	s_delay_alu instid0(SALU_CYCLE_1) | instskip(NEXT) | instid1(VALU_DEP_2)
	s_cmp_lg_u32 s6, 0
	v_add_nc_u32_e32 v12, v11, v12
	s_delay_alu instid0(VALU_DEP_2) | instskip(NEXT) | instid1(VALU_DEP_2)
	v_sub_nc_u32_e32 v13, v10, v13
	v_lshrrev_b32_e32 v10, s17, v12
	s_delay_alu instid0(VALU_DEP_2) | instskip(NEXT) | instid1(VALU_DEP_2)
	v_mul_lo_u32 v14, v13, s12
	v_mul_lo_u32 v12, v10, s11
	s_delay_alu instid0(VALU_DEP_1) | instskip(SKIP_2) | instid1(VALU_DEP_3)
	v_sub_nc_u32_e32 v11, v11, v12
	v_mul_lo_u32 v12, v13, s13
	v_mul_lo_u32 v13, v13, s14
	;; [unrolled: 1-line block ×3, first 2 shown]
	s_waitcnt lgkmcnt(0)
	v_mul_lo_u32 v16, v11, s8
	v_mul_lo_u32 v11, v11, s9
	s_delay_alu instid0(VALU_DEP_3) | instskip(NEXT) | instid1(VALU_DEP_3)
	v_add3_u32 v6, v14, v6, v15
	v_add3_u32 v8, v12, v8, v16
	s_delay_alu instid0(VALU_DEP_3)
	v_add3_u32 v7, v13, v7, v11
	s_cbranch_scc1 .LBB173_39
; %bb.40:
	s_set_inst_prefetch_distance 0x2
	s_bitcmp1_b32 s5, 0
	s_cselect_b32 s5, -1, 0
	s_delay_alu instid0(SALU_CYCLE_1)
	s_and_b32 vcc_lo, exec_lo, s5
	s_cbranch_vccnz .LBB173_43
; %bb.41:
	s_clause 0x3
	s_load_b64 s[6:7], s[2:3], 0x18
	s_load_b32 s5, s[2:3], 0x20
	s_load_b64 s[8:9], s[2:3], 0xd8
	s_load_b32 s2, s[2:3], 0xe0
	s_waitcnt lgkmcnt(0)
	v_mul_hi_u32 v11, s7, v10
	s_delay_alu instid0(VALU_DEP_1) | instskip(NEXT) | instid1(VALU_DEP_1)
	v_add_nc_u32_e32 v11, v10, v11
	v_lshrrev_b32_e32 v11, s5, v11
	s_delay_alu instid0(VALU_DEP_1) | instskip(NEXT) | instid1(VALU_DEP_1)
	v_mul_lo_u32 v11, v11, s6
	v_sub_nc_u32_e32 v14, v10, v11
	s_delay_alu instid0(VALU_DEP_1) | instskip(SKIP_2) | instid1(VALU_DEP_3)
	v_mad_u64_u32 v[10:11], null, v14, s8, v[6:7]
	v_mad_u64_u32 v[11:12], null, v14, s9, v[8:9]
	;; [unrolled: 1-line block ×3, first 2 shown]
	v_mov_b32_e32 v6, v10
	s_delay_alu instid0(VALU_DEP_2)
	v_dual_mov_b32 v8, v11 :: v_dual_mov_b32 v7, v12
	s_branch .LBB173_43
.LBB173_42:
	s_mov_b32 s4, -1
                                        ; implicit-def: $vgpr6
                                        ; implicit-def: $vgpr8
                                        ; implicit-def: $vgpr7
.LBB173_43:
	s_delay_alu instid0(SALU_CYCLE_1)
	s_and_not1_b32 vcc_lo, exec_lo, s4
	s_cbranch_vccnz .LBB173_46
; %bb.44:
	s_clause 0x1
	s_load_b128 s[4:7], s[0:1], 0x4
	s_load_b128 s[8:11], s[0:1], 0xc4
	s_cmp_lt_u32 s22, 2
	s_waitcnt lgkmcnt(0)
	v_mul_hi_u32 v6, s5, v9
	s_delay_alu instid0(VALU_DEP_1) | instskip(NEXT) | instid1(VALU_DEP_1)
	v_add_nc_u32_e32 v6, v9, v6
	v_lshrrev_b32_e32 v10, s6, v6
	s_delay_alu instid0(VALU_DEP_1) | instskip(NEXT) | instid1(VALU_DEP_1)
	v_mul_lo_u32 v6, v10, s4
	v_sub_nc_u32_e32 v7, v9, v6
	s_delay_alu instid0(VALU_DEP_1)
	v_mul_lo_u32 v6, v7, s8
	v_mul_lo_u32 v8, v7, s9
	;; [unrolled: 1-line block ×3, first 2 shown]
	s_cbranch_scc1 .LBB173_46
; %bb.45:
	s_clause 0x1
	s_load_b128 s[4:7], s[0:1], 0x10
	s_load_b128 s[8:11], s[0:1], 0xd0
	s_waitcnt lgkmcnt(0)
	v_mul_hi_u32 v9, s5, v10
	s_delay_alu instid0(VALU_DEP_1) | instskip(NEXT) | instid1(VALU_DEP_1)
	v_add_nc_u32_e32 v9, v10, v9
	v_lshrrev_b32_e32 v9, s6, v9
	s_delay_alu instid0(VALU_DEP_1) | instskip(NEXT) | instid1(VALU_DEP_1)
	v_mul_lo_u32 v9, v9, s4
	v_sub_nc_u32_e32 v13, v10, v9
	s_delay_alu instid0(VALU_DEP_1) | instskip(NEXT) | instid1(VALU_DEP_1)
	v_mad_u64_u32 v[9:10], null, v13, s8, v[6:7]
	v_mad_u64_u32 v[10:11], null, v13, s9, v[8:9]
	;; [unrolled: 1-line block ×3, first 2 shown]
	v_mov_b32_e32 v6, v9
	s_delay_alu instid0(VALU_DEP_2)
	v_dual_mov_b32 v8, v10 :: v_dual_mov_b32 v7, v11
.LBB173_46:
	v_cmp_ne_u32_e32 vcc_lo, 1, v21
	v_add_nc_u32_e32 v12, 0x180, v18
	s_cbranch_vccnz .LBB173_52
; %bb.47:
	v_dual_mov_b32 v9, 0 :: v_dual_mov_b32 v10, 0
	v_mov_b32_e32 v11, 0
	s_cmp_lg_u32 s22, 0
	s_mov_b32 s4, 0
	s_cbranch_scc0 .LBB173_53
; %bb.48:
	s_min_u32 s5, s23, 15
	v_dual_mov_b32 v10, 0 :: v_dual_mov_b32 v11, 0
	s_add_i32 s2, s5, 1
	v_mov_b32_e32 v9, 0
	v_mov_b32_e32 v13, v12
	s_and_b32 s6, s2, 30
	s_add_u32 s2, s0, 0xffffffec
	s_addc_u32 s3, s1, -1
	s_set_inst_prefetch_distance 0x1
	.p2align	6
.LBB173_49:                             ; =>This Inner Loop Header: Depth=1
	s_clause 0x2
	s_load_b128 s[8:11], s[2:3], 0x18
	s_load_b64 s[16:17], s[2:3], 0x28
	s_load_b128 s[12:15], s[2:3], 0xd8
	s_waitcnt lgkmcnt(0)
	v_mul_hi_u32 v14, s9, v13
	s_delay_alu instid0(VALU_DEP_1) | instskip(NEXT) | instid1(VALU_DEP_1)
	v_add_nc_u32_e32 v14, v13, v14
	v_lshrrev_b32_e32 v14, s10, v14
	s_delay_alu instid0(VALU_DEP_1)
	v_mul_hi_u32 v15, s16, v14
	v_mul_lo_u32 v16, v14, s8
	s_load_b64 s[8:9], s[2:3], 0xe8
	s_add_u32 s2, s2, 24
	s_addc_u32 s3, s3, 0
	s_add_i32 s6, s6, -2
	s_delay_alu instid0(SALU_CYCLE_1) | instskip(NEXT) | instid1(VALU_DEP_2)
	s_cmp_lg_u32 s6, 0
	v_add_nc_u32_e32 v15, v14, v15
	s_delay_alu instid0(VALU_DEP_2) | instskip(NEXT) | instid1(VALU_DEP_2)
	v_sub_nc_u32_e32 v16, v13, v16
	v_lshrrev_b32_e32 v13, s17, v15
	s_delay_alu instid0(VALU_DEP_2) | instskip(NEXT) | instid1(VALU_DEP_2)
	v_mul_lo_u32 v17, v16, s12
	v_mul_lo_u32 v15, v13, s11
	s_delay_alu instid0(VALU_DEP_1) | instskip(SKIP_2) | instid1(VALU_DEP_3)
	v_sub_nc_u32_e32 v14, v14, v15
	v_mul_lo_u32 v15, v16, s13
	v_mul_lo_u32 v16, v16, s14
	;; [unrolled: 1-line block ×3, first 2 shown]
	s_waitcnt lgkmcnt(0)
	v_mul_lo_u32 v20, v14, s8
	v_mul_lo_u32 v14, v14, s9
	s_delay_alu instid0(VALU_DEP_3) | instskip(NEXT) | instid1(VALU_DEP_3)
	v_add3_u32 v9, v17, v9, v19
	v_add3_u32 v11, v15, v11, v20
	s_delay_alu instid0(VALU_DEP_3)
	v_add3_u32 v10, v16, v10, v14
	s_cbranch_scc1 .LBB173_49
; %bb.50:
	s_set_inst_prefetch_distance 0x2
	s_bitcmp1_b32 s5, 0
	s_cselect_b32 s5, -1, 0
	s_delay_alu instid0(SALU_CYCLE_1)
	s_and_b32 vcc_lo, exec_lo, s5
	s_cbranch_vccnz .LBB173_53
; %bb.51:
	s_clause 0x3
	s_load_b64 s[6:7], s[2:3], 0x18
	s_load_b32 s5, s[2:3], 0x20
	s_load_b64 s[8:9], s[2:3], 0xd8
	s_load_b32 s2, s[2:3], 0xe0
	s_waitcnt lgkmcnt(0)
	v_mul_hi_u32 v14, s7, v13
	s_delay_alu instid0(VALU_DEP_1) | instskip(NEXT) | instid1(VALU_DEP_1)
	v_add_nc_u32_e32 v14, v13, v14
	v_lshrrev_b32_e32 v14, s5, v14
	s_delay_alu instid0(VALU_DEP_1) | instskip(NEXT) | instid1(VALU_DEP_1)
	v_mul_lo_u32 v14, v14, s6
	v_sub_nc_u32_e32 v17, v13, v14
	s_delay_alu instid0(VALU_DEP_1) | instskip(SKIP_2) | instid1(VALU_DEP_3)
	v_mad_u64_u32 v[13:14], null, v17, s8, v[9:10]
	v_mad_u64_u32 v[14:15], null, v17, s9, v[11:12]
	v_mad_u64_u32 v[15:16], null, v17, s2, v[10:11]
	v_mov_b32_e32 v9, v13
	s_delay_alu instid0(VALU_DEP_2)
	v_dual_mov_b32 v11, v14 :: v_dual_mov_b32 v10, v15
	s_branch .LBB173_53
.LBB173_52:
	s_mov_b32 s4, -1
                                        ; implicit-def: $vgpr9
                                        ; implicit-def: $vgpr11
                                        ; implicit-def: $vgpr10
.LBB173_53:
	s_delay_alu instid0(SALU_CYCLE_1)
	s_and_not1_b32 vcc_lo, exec_lo, s4
	s_cbranch_vccnz .LBB173_56
; %bb.54:
	s_clause 0x1
	s_load_b128 s[4:7], s[0:1], 0x4
	s_load_b128 s[8:11], s[0:1], 0xc4
	s_cmp_lt_u32 s22, 2
	s_waitcnt lgkmcnt(0)
	v_mul_hi_u32 v9, s5, v12
	s_delay_alu instid0(VALU_DEP_1) | instskip(NEXT) | instid1(VALU_DEP_1)
	v_add_nc_u32_e32 v9, v12, v9
	v_lshrrev_b32_e32 v13, s6, v9
	s_delay_alu instid0(VALU_DEP_1) | instskip(NEXT) | instid1(VALU_DEP_1)
	v_mul_lo_u32 v9, v13, s4
	v_sub_nc_u32_e32 v10, v12, v9
	s_delay_alu instid0(VALU_DEP_1)
	v_mul_lo_u32 v9, v10, s8
	v_mul_lo_u32 v11, v10, s9
	;; [unrolled: 1-line block ×3, first 2 shown]
	s_cbranch_scc1 .LBB173_56
; %bb.55:
	s_clause 0x1
	s_load_b128 s[4:7], s[0:1], 0x10
	s_load_b128 s[8:11], s[0:1], 0xd0
	s_waitcnt lgkmcnt(0)
	v_mul_hi_u32 v12, s5, v13
	s_delay_alu instid0(VALU_DEP_1) | instskip(NEXT) | instid1(VALU_DEP_1)
	v_add_nc_u32_e32 v12, v13, v12
	v_lshrrev_b32_e32 v12, s6, v12
	s_delay_alu instid0(VALU_DEP_1) | instskip(NEXT) | instid1(VALU_DEP_1)
	v_mul_lo_u32 v12, v12, s4
	v_sub_nc_u32_e32 v16, v13, v12
	s_delay_alu instid0(VALU_DEP_1) | instskip(NEXT) | instid1(VALU_DEP_1)
	v_mad_u64_u32 v[12:13], null, v16, s8, v[9:10]
	v_mad_u64_u32 v[13:14], null, v16, s9, v[11:12]
	;; [unrolled: 1-line block ×3, first 2 shown]
	v_mov_b32_e32 v9, v12
	s_delay_alu instid0(VALU_DEP_2)
	v_dual_mov_b32 v11, v13 :: v_dual_mov_b32 v10, v14
.LBB173_56:
	v_cmp_ne_u32_e32 vcc_lo, 1, v21
	v_add_nc_u32_e32 v15, 0x200, v18
	s_cbranch_vccnz .LBB173_62
; %bb.57:
	v_dual_mov_b32 v12, 0 :: v_dual_mov_b32 v13, 0
	v_mov_b32_e32 v14, 0
	s_cmp_lg_u32 s22, 0
	s_mov_b32 s4, 0
	s_cbranch_scc0 .LBB173_63
; %bb.58:
	s_min_u32 s5, s23, 15
	v_dual_mov_b32 v13, 0 :: v_dual_mov_b32 v14, 0
	s_add_i32 s2, s5, 1
	v_mov_b32_e32 v12, 0
	v_mov_b32_e32 v16, v15
	s_and_b32 s6, s2, 30
	s_add_u32 s2, s0, 0xffffffec
	s_addc_u32 s3, s1, -1
	s_set_inst_prefetch_distance 0x1
	.p2align	6
.LBB173_59:                             ; =>This Inner Loop Header: Depth=1
	s_clause 0x2
	s_load_b128 s[8:11], s[2:3], 0x18
	s_load_b64 s[16:17], s[2:3], 0x28
	s_load_b128 s[12:15], s[2:3], 0xd8
	s_waitcnt lgkmcnt(0)
	v_mul_hi_u32 v17, s9, v16
	s_delay_alu instid0(VALU_DEP_1) | instskip(NEXT) | instid1(VALU_DEP_1)
	v_add_nc_u32_e32 v17, v16, v17
	v_lshrrev_b32_e32 v17, s10, v17
	s_delay_alu instid0(VALU_DEP_1)
	v_mul_hi_u32 v19, s16, v17
	v_mul_lo_u32 v20, v17, s8
	s_load_b64 s[8:9], s[2:3], 0xe8
	s_add_u32 s2, s2, 24
	s_addc_u32 s3, s3, 0
	s_add_i32 s6, s6, -2
	s_delay_alu instid0(SALU_CYCLE_1) | instskip(NEXT) | instid1(VALU_DEP_2)
	s_cmp_lg_u32 s6, 0
	v_add_nc_u32_e32 v19, v17, v19
	s_delay_alu instid0(VALU_DEP_2) | instskip(NEXT) | instid1(VALU_DEP_2)
	v_sub_nc_u32_e32 v20, v16, v20
	v_lshrrev_b32_e32 v16, s17, v19
	s_delay_alu instid0(VALU_DEP_2) | instskip(NEXT) | instid1(VALU_DEP_2)
	v_mul_lo_u32 v22, v20, s12
	v_mul_lo_u32 v19, v16, s11
	s_delay_alu instid0(VALU_DEP_1) | instskip(SKIP_2) | instid1(VALU_DEP_3)
	v_sub_nc_u32_e32 v17, v17, v19
	v_mul_lo_u32 v19, v20, s13
	v_mul_lo_u32 v20, v20, s14
	;; [unrolled: 1-line block ×3, first 2 shown]
	s_waitcnt lgkmcnt(0)
	v_mul_lo_u32 v25, v17, s8
	v_mul_lo_u32 v17, v17, s9
	s_delay_alu instid0(VALU_DEP_3) | instskip(NEXT) | instid1(VALU_DEP_3)
	v_add3_u32 v12, v22, v12, v23
	v_add3_u32 v14, v19, v14, v25
	s_delay_alu instid0(VALU_DEP_3)
	v_add3_u32 v13, v20, v13, v17
	s_cbranch_scc1 .LBB173_59
; %bb.60:
	s_set_inst_prefetch_distance 0x2
	s_bitcmp1_b32 s5, 0
	s_cselect_b32 s5, -1, 0
	s_delay_alu instid0(SALU_CYCLE_1)
	s_and_b32 vcc_lo, exec_lo, s5
	s_cbranch_vccnz .LBB173_63
; %bb.61:
	s_clause 0x3
	s_load_b64 s[6:7], s[2:3], 0x18
	s_load_b32 s5, s[2:3], 0x20
	s_load_b64 s[8:9], s[2:3], 0xd8
	s_load_b32 s2, s[2:3], 0xe0
	s_waitcnt lgkmcnt(0)
	v_mul_hi_u32 v17, s7, v16
	s_delay_alu instid0(VALU_DEP_1) | instskip(NEXT) | instid1(VALU_DEP_1)
	v_add_nc_u32_e32 v17, v16, v17
	v_lshrrev_b32_e32 v17, s5, v17
	s_delay_alu instid0(VALU_DEP_1) | instskip(NEXT) | instid1(VALU_DEP_1)
	v_mul_lo_u32 v17, v17, s6
	v_sub_nc_u32_e32 v25, v16, v17
	s_delay_alu instid0(VALU_DEP_1) | instskip(SKIP_2) | instid1(VALU_DEP_3)
	v_mad_u64_u32 v[16:17], null, v25, s8, v[12:13]
	v_mad_u64_u32 v[19:20], null, v25, s9, v[14:15]
	;; [unrolled: 1-line block ×3, first 2 shown]
	v_mov_b32_e32 v12, v16
	s_delay_alu instid0(VALU_DEP_2)
	v_dual_mov_b32 v14, v19 :: v_dual_mov_b32 v13, v22
	s_branch .LBB173_63
.LBB173_62:
	s_mov_b32 s4, -1
                                        ; implicit-def: $vgpr12
                                        ; implicit-def: $vgpr14
                                        ; implicit-def: $vgpr13
.LBB173_63:
	s_delay_alu instid0(SALU_CYCLE_1)
	s_and_not1_b32 vcc_lo, exec_lo, s4
	s_cbranch_vccnz .LBB173_66
; %bb.64:
	s_clause 0x1
	s_load_b128 s[4:7], s[0:1], 0x4
	s_load_b128 s[8:11], s[0:1], 0xc4
	s_cmp_lt_u32 s22, 2
	s_waitcnt lgkmcnt(0)
	v_mul_hi_u32 v12, s5, v15
	s_delay_alu instid0(VALU_DEP_1) | instskip(NEXT) | instid1(VALU_DEP_1)
	v_add_nc_u32_e32 v12, v15, v12
	v_lshrrev_b32_e32 v16, s6, v12
	s_delay_alu instid0(VALU_DEP_1) | instskip(NEXT) | instid1(VALU_DEP_1)
	v_mul_lo_u32 v12, v16, s4
	v_sub_nc_u32_e32 v13, v15, v12
	s_delay_alu instid0(VALU_DEP_1)
	v_mul_lo_u32 v12, v13, s8
	v_mul_lo_u32 v14, v13, s9
	;; [unrolled: 1-line block ×3, first 2 shown]
	s_cbranch_scc1 .LBB173_66
; %bb.65:
	s_clause 0x1
	s_load_b128 s[4:7], s[0:1], 0x10
	s_load_b128 s[8:11], s[0:1], 0xd0
	s_waitcnt lgkmcnt(0)
	v_mul_hi_u32 v15, s5, v16
	s_delay_alu instid0(VALU_DEP_1) | instskip(NEXT) | instid1(VALU_DEP_1)
	v_add_nc_u32_e32 v15, v16, v15
	v_lshrrev_b32_e32 v15, s6, v15
	s_delay_alu instid0(VALU_DEP_1) | instskip(NEXT) | instid1(VALU_DEP_1)
	v_mul_lo_u32 v15, v15, s4
	v_sub_nc_u32_e32 v22, v16, v15
	s_delay_alu instid0(VALU_DEP_1) | instskip(SKIP_1) | instid1(VALU_DEP_2)
	v_mad_u64_u32 v[15:16], null, v22, s8, v[12:13]
	v_mad_u64_u32 v[19:20], null, v22, s10, v[13:14]
	;; [unrolled: 1-line block ×3, first 2 shown]
	v_mov_b32_e32 v12, v15
	s_delay_alu instid0(VALU_DEP_2)
	v_dual_mov_b32 v13, v19 :: v_dual_mov_b32 v14, v16
.LBB173_66:
	v_cmp_ne_u32_e32 vcc_lo, 1, v21
	v_add_nc_u32_e32 v19, 0x280, v18
	s_cbranch_vccnz .LBB173_72
; %bb.67:
	v_dual_mov_b32 v15, 0 :: v_dual_mov_b32 v16, 0
	v_mov_b32_e32 v17, 0
	s_cmp_lg_u32 s22, 0
	s_mov_b32 s4, 0
	s_cbranch_scc0 .LBB173_73
; %bb.68:
	s_min_u32 s5, s23, 15
	v_dual_mov_b32 v16, 0 :: v_dual_mov_b32 v17, 0
	s_add_i32 s2, s5, 1
	v_dual_mov_b32 v15, 0 :: v_dual_mov_b32 v20, v19
	s_and_b32 s6, s2, 30
	s_add_u32 s2, s0, 0xffffffec
	s_addc_u32 s3, s1, -1
	s_set_inst_prefetch_distance 0x1
	.p2align	6
.LBB173_69:                             ; =>This Inner Loop Header: Depth=1
	s_clause 0x2
	s_load_b128 s[8:11], s[2:3], 0x18
	s_load_b64 s[16:17], s[2:3], 0x28
	s_load_b128 s[12:15], s[2:3], 0xd8
	s_waitcnt lgkmcnt(0)
	v_mul_hi_u32 v22, s9, v20
	s_delay_alu instid0(VALU_DEP_1) | instskip(NEXT) | instid1(VALU_DEP_1)
	v_add_nc_u32_e32 v22, v20, v22
	v_lshrrev_b32_e32 v22, s10, v22
	s_delay_alu instid0(VALU_DEP_1)
	v_mul_hi_u32 v23, s16, v22
	v_mul_lo_u32 v25, v22, s8
	s_load_b64 s[8:9], s[2:3], 0xe8
	s_add_u32 s2, s2, 24
	s_addc_u32 s3, s3, 0
	s_add_i32 s6, s6, -2
	s_delay_alu instid0(SALU_CYCLE_1) | instskip(NEXT) | instid1(VALU_DEP_2)
	s_cmp_lg_u32 s6, 0
	v_add_nc_u32_e32 v23, v22, v23
	s_delay_alu instid0(VALU_DEP_2) | instskip(NEXT) | instid1(VALU_DEP_2)
	v_sub_nc_u32_e32 v25, v20, v25
	v_lshrrev_b32_e32 v20, s17, v23
	s_delay_alu instid0(VALU_DEP_2) | instskip(NEXT) | instid1(VALU_DEP_2)
	v_mul_lo_u32 v26, v25, s12
	v_mul_lo_u32 v23, v20, s11
	s_delay_alu instid0(VALU_DEP_1) | instskip(SKIP_2) | instid1(VALU_DEP_3)
	v_sub_nc_u32_e32 v22, v22, v23
	v_mul_lo_u32 v23, v25, s13
	v_mul_lo_u32 v25, v25, s14
	;; [unrolled: 1-line block ×3, first 2 shown]
	s_waitcnt lgkmcnt(0)
	v_mul_lo_u32 v28, v22, s8
	v_mul_lo_u32 v22, v22, s9
	s_delay_alu instid0(VALU_DEP_3) | instskip(NEXT) | instid1(VALU_DEP_3)
	v_add3_u32 v15, v26, v15, v27
	v_add3_u32 v17, v23, v17, v28
	s_delay_alu instid0(VALU_DEP_3)
	v_add3_u32 v16, v25, v16, v22
	s_cbranch_scc1 .LBB173_69
; %bb.70:
	s_set_inst_prefetch_distance 0x2
	s_bitcmp1_b32 s5, 0
	s_cselect_b32 s5, -1, 0
	s_delay_alu instid0(SALU_CYCLE_1)
	s_and_b32 vcc_lo, exec_lo, s5
	s_cbranch_vccnz .LBB173_73
; %bb.71:
	s_clause 0x3
	s_load_b64 s[6:7], s[2:3], 0x18
	s_load_b32 s5, s[2:3], 0x20
	s_load_b64 s[8:9], s[2:3], 0xd8
	s_load_b32 s2, s[2:3], 0xe0
	s_waitcnt lgkmcnt(0)
	v_mul_hi_u32 v22, s7, v20
	s_delay_alu instid0(VALU_DEP_1) | instskip(NEXT) | instid1(VALU_DEP_1)
	v_add_nc_u32_e32 v22, v20, v22
	v_lshrrev_b32_e32 v22, s5, v22
	s_delay_alu instid0(VALU_DEP_1) | instskip(NEXT) | instid1(VALU_DEP_1)
	v_mul_lo_u32 v22, v22, s6
	v_sub_nc_u32_e32 v20, v20, v22
	s_delay_alu instid0(VALU_DEP_1) | instskip(SKIP_2) | instid1(VALU_DEP_3)
	v_mad_u64_u32 v[25:26], null, v20, s9, v[17:18]
	v_mad_u64_u32 v[22:23], null, v20, s8, v[15:16]
	v_mad_u64_u32 v[26:27], null, v20, s2, v[16:17]
	v_mov_b32_e32 v17, v25
	s_delay_alu instid0(VALU_DEP_3) | instskip(NEXT) | instid1(VALU_DEP_3)
	v_mov_b32_e32 v15, v22
	v_mov_b32_e32 v16, v26
	s_branch .LBB173_73
.LBB173_72:
	s_mov_b32 s4, -1
                                        ; implicit-def: $vgpr15
                                        ; implicit-def: $vgpr17
                                        ; implicit-def: $vgpr16
.LBB173_73:
	s_delay_alu instid0(SALU_CYCLE_1)
	s_and_not1_b32 vcc_lo, exec_lo, s4
	s_cbranch_vccnz .LBB173_76
; %bb.74:
	s_clause 0x1
	s_load_b128 s[4:7], s[0:1], 0x4
	s_load_b128 s[8:11], s[0:1], 0xc4
	s_cmp_lt_u32 s22, 2
	s_waitcnt lgkmcnt(0)
	v_mul_hi_u32 v15, s5, v19
	s_delay_alu instid0(VALU_DEP_1) | instskip(NEXT) | instid1(VALU_DEP_1)
	v_add_nc_u32_e32 v15, v19, v15
	v_lshrrev_b32_e32 v20, s6, v15
	s_delay_alu instid0(VALU_DEP_1) | instskip(NEXT) | instid1(VALU_DEP_1)
	v_mul_lo_u32 v15, v20, s4
	v_sub_nc_u32_e32 v16, v19, v15
	s_delay_alu instid0(VALU_DEP_1)
	v_mul_lo_u32 v15, v16, s8
	v_mul_lo_u32 v17, v16, s9
	;; [unrolled: 1-line block ×3, first 2 shown]
	s_cbranch_scc1 .LBB173_76
; %bb.75:
	s_clause 0x1
	s_load_b128 s[4:7], s[0:1], 0x10
	s_load_b128 s[8:11], s[0:1], 0xd0
	s_waitcnt lgkmcnt(0)
	v_mul_hi_u32 v19, s5, v20
	s_delay_alu instid0(VALU_DEP_1) | instskip(NEXT) | instid1(VALU_DEP_1)
	v_add_nc_u32_e32 v19, v20, v19
	v_lshrrev_b32_e32 v19, s6, v19
	s_delay_alu instid0(VALU_DEP_1) | instskip(NEXT) | instid1(VALU_DEP_1)
	v_mul_lo_u32 v19, v19, s4
	v_sub_nc_u32_e32 v27, v20, v19
	s_delay_alu instid0(VALU_DEP_1) | instskip(SKIP_2) | instid1(VALU_DEP_3)
	v_mad_u64_u32 v[19:20], null, v27, s8, v[15:16]
	v_mad_u64_u32 v[22:23], null, v27, s9, v[17:18]
	;; [unrolled: 1-line block ×3, first 2 shown]
	v_mov_b32_e32 v15, v19
	s_delay_alu instid0(VALU_DEP_2)
	v_dual_mov_b32 v17, v22 :: v_dual_mov_b32 v16, v25
.LBB173_76:
	v_cmp_ne_u32_e32 vcc_lo, 1, v21
	v_add_nc_u32_e32 v22, 0x300, v18
	s_cbranch_vccnz .LBB173_82
; %bb.77:
	v_dual_mov_b32 v18, 0 :: v_dual_mov_b32 v19, 0
	v_mov_b32_e32 v20, 0
	s_cmp_lg_u32 s22, 0
	s_mov_b32 s4, 0
	s_cbranch_scc0 .LBB173_83
; %bb.78:
	s_min_u32 s5, s23, 15
	v_dual_mov_b32 v19, 0 :: v_dual_mov_b32 v20, 0
	s_add_i32 s2, s5, 1
	v_dual_mov_b32 v18, 0 :: v_dual_mov_b32 v23, v22
	s_and_b32 s6, s2, 30
	s_add_u32 s2, s0, 0xffffffec
	s_addc_u32 s3, s1, -1
	s_set_inst_prefetch_distance 0x1
	.p2align	6
.LBB173_79:                             ; =>This Inner Loop Header: Depth=1
	s_clause 0x2
	s_load_b128 s[8:11], s[2:3], 0x18
	s_load_b64 s[16:17], s[2:3], 0x28
	s_load_b128 s[12:15], s[2:3], 0xd8
	s_waitcnt lgkmcnt(0)
	v_mul_hi_u32 v25, s9, v23
	s_delay_alu instid0(VALU_DEP_1) | instskip(NEXT) | instid1(VALU_DEP_1)
	v_add_nc_u32_e32 v25, v23, v25
	v_lshrrev_b32_e32 v25, s10, v25
	s_delay_alu instid0(VALU_DEP_1)
	v_mul_hi_u32 v26, s16, v25
	v_mul_lo_u32 v27, v25, s8
	s_load_b64 s[8:9], s[2:3], 0xe8
	s_add_u32 s2, s2, 24
	s_addc_u32 s3, s3, 0
	s_add_i32 s6, s6, -2
	s_delay_alu instid0(SALU_CYCLE_1) | instskip(NEXT) | instid1(VALU_DEP_2)
	s_cmp_lg_u32 s6, 0
	v_add_nc_u32_e32 v26, v25, v26
	s_delay_alu instid0(VALU_DEP_2) | instskip(NEXT) | instid1(VALU_DEP_2)
	v_sub_nc_u32_e32 v27, v23, v27
	v_lshrrev_b32_e32 v23, s17, v26
	s_delay_alu instid0(VALU_DEP_2) | instskip(NEXT) | instid1(VALU_DEP_2)
	v_mul_lo_u32 v28, v27, s12
	v_mul_lo_u32 v26, v23, s11
	s_delay_alu instid0(VALU_DEP_1) | instskip(SKIP_2) | instid1(VALU_DEP_3)
	v_sub_nc_u32_e32 v25, v25, v26
	v_mul_lo_u32 v26, v27, s13
	v_mul_lo_u32 v27, v27, s14
	;; [unrolled: 1-line block ×3, first 2 shown]
	s_waitcnt lgkmcnt(0)
	v_mul_lo_u32 v30, v25, s8
	v_mul_lo_u32 v25, v25, s9
	s_delay_alu instid0(VALU_DEP_3) | instskip(NEXT) | instid1(VALU_DEP_3)
	v_add3_u32 v18, v28, v18, v29
	v_add3_u32 v20, v26, v20, v30
	s_delay_alu instid0(VALU_DEP_3)
	v_add3_u32 v19, v27, v19, v25
	s_cbranch_scc1 .LBB173_79
; %bb.80:
	s_set_inst_prefetch_distance 0x2
	s_bitcmp1_b32 s5, 0
	s_cselect_b32 s5, -1, 0
	s_delay_alu instid0(SALU_CYCLE_1)
	s_and_b32 vcc_lo, exec_lo, s5
	s_cbranch_vccnz .LBB173_83
; %bb.81:
	s_clause 0x3
	s_load_b64 s[6:7], s[2:3], 0x18
	s_load_b32 s5, s[2:3], 0x20
	s_load_b64 s[8:9], s[2:3], 0xd8
	s_load_b32 s2, s[2:3], 0xe0
	s_waitcnt lgkmcnt(0)
	v_mul_hi_u32 v25, s7, v23
	s_delay_alu instid0(VALU_DEP_1) | instskip(NEXT) | instid1(VALU_DEP_1)
	v_add_nc_u32_e32 v25, v23, v25
	v_lshrrev_b32_e32 v25, s5, v25
	s_delay_alu instid0(VALU_DEP_1) | instskip(NEXT) | instid1(VALU_DEP_1)
	v_mul_lo_u32 v25, v25, s6
	v_sub_nc_u32_e32 v23, v23, v25
	s_delay_alu instid0(VALU_DEP_1) | instskip(SKIP_2) | instid1(VALU_DEP_3)
	v_mad_u64_u32 v[25:26], null, v23, s8, v[18:19]
	v_mad_u64_u32 v[26:27], null, v23, s9, v[20:21]
	;; [unrolled: 1-line block ×3, first 2 shown]
	v_mov_b32_e32 v18, v25
	s_delay_alu instid0(VALU_DEP_2)
	v_dual_mov_b32 v20, v26 :: v_dual_mov_b32 v19, v27
	s_branch .LBB173_83
.LBB173_82:
	s_mov_b32 s4, -1
                                        ; implicit-def: $vgpr18
                                        ; implicit-def: $vgpr20
                                        ; implicit-def: $vgpr19
.LBB173_83:
	s_delay_alu instid0(SALU_CYCLE_1)
	s_and_not1_b32 vcc_lo, exec_lo, s4
	s_cbranch_vccnz .LBB173_86
; %bb.84:
	s_clause 0x1
	s_load_b128 s[4:7], s[0:1], 0x4
	s_load_b128 s[8:11], s[0:1], 0xc4
	s_cmp_lt_u32 s22, 2
	s_waitcnt lgkmcnt(0)
	v_mul_hi_u32 v18, s5, v22
	s_delay_alu instid0(VALU_DEP_1) | instskip(NEXT) | instid1(VALU_DEP_1)
	v_add_nc_u32_e32 v18, v22, v18
	v_lshrrev_b32_e32 v23, s6, v18
	s_delay_alu instid0(VALU_DEP_1) | instskip(NEXT) | instid1(VALU_DEP_1)
	v_mul_lo_u32 v18, v23, s4
	v_sub_nc_u32_e32 v19, v22, v18
	s_delay_alu instid0(VALU_DEP_1)
	v_mul_lo_u32 v18, v19, s8
	v_mul_lo_u32 v20, v19, s9
	;; [unrolled: 1-line block ×3, first 2 shown]
	s_cbranch_scc1 .LBB173_86
; %bb.85:
	s_clause 0x1
	s_load_b128 s[4:7], s[0:1], 0x10
	s_load_b128 s[8:11], s[0:1], 0xd0
	s_waitcnt lgkmcnt(0)
	v_mul_hi_u32 v22, s5, v23
	s_delay_alu instid0(VALU_DEP_1) | instskip(NEXT) | instid1(VALU_DEP_1)
	v_add_nc_u32_e32 v22, v23, v22
	v_lshrrev_b32_e32 v22, s6, v22
	s_delay_alu instid0(VALU_DEP_1) | instskip(NEXT) | instid1(VALU_DEP_1)
	v_mul_lo_u32 v22, v22, s4
	v_sub_nc_u32_e32 v28, v23, v22
	s_delay_alu instid0(VALU_DEP_1) | instskip(SKIP_2) | instid1(VALU_DEP_3)
	v_mad_u64_u32 v[25:26], null, v28, s9, v[20:21]
	v_mad_u64_u32 v[22:23], null, v28, s8, v[18:19]
	v_mad_u64_u32 v[26:27], null, v28, s10, v[19:20]
	v_mov_b32_e32 v20, v25
	s_delay_alu instid0(VALU_DEP_3) | instskip(NEXT) | instid1(VALU_DEP_3)
	v_mov_b32_e32 v18, v22
	v_mov_b32_e32 v19, v26
.LBB173_86:
	v_cmp_ne_u32_e32 vcc_lo, 1, v21
	s_cbranch_vccnz .LBB173_92
; %bb.87:
	v_dual_mov_b32 v21, 0 :: v_dual_mov_b32 v22, 0
	v_mov_b32_e32 v23, 0
	s_cmp_lg_u32 s22, 0
	s_mov_b32 s4, 0
	s_cbranch_scc0 .LBB173_93
; %bb.88:
	s_min_u32 s5, s23, 15
	v_dual_mov_b32 v22, 0 :: v_dual_mov_b32 v23, 0
	s_add_i32 s2, s5, 1
	v_mov_b32_e32 v21, 0
	v_mov_b32_e32 v25, v24
	s_and_b32 s6, s2, 30
	s_add_u32 s2, s0, 0xffffffec
	s_addc_u32 s3, s1, -1
	s_set_inst_prefetch_distance 0x1
	.p2align	6
.LBB173_89:                             ; =>This Inner Loop Header: Depth=1
	s_clause 0x2
	s_load_b128 s[8:11], s[2:3], 0x18
	s_load_b64 s[16:17], s[2:3], 0x28
	s_load_b128 s[12:15], s[2:3], 0xd8
	s_waitcnt lgkmcnt(0)
	v_mul_hi_u32 v26, s9, v25
	s_delay_alu instid0(VALU_DEP_1) | instskip(NEXT) | instid1(VALU_DEP_1)
	v_add_nc_u32_e32 v26, v25, v26
	v_lshrrev_b32_e32 v26, s10, v26
	s_delay_alu instid0(VALU_DEP_1)
	v_mul_hi_u32 v27, s16, v26
	v_mul_lo_u32 v28, v26, s8
	s_load_b64 s[8:9], s[2:3], 0xe8
	s_add_u32 s2, s2, 24
	s_addc_u32 s3, s3, 0
	s_add_i32 s6, s6, -2
	s_delay_alu instid0(SALU_CYCLE_1) | instskip(NEXT) | instid1(VALU_DEP_2)
	s_cmp_lg_u32 s6, 0
	v_add_nc_u32_e32 v27, v26, v27
	s_delay_alu instid0(VALU_DEP_2) | instskip(NEXT) | instid1(VALU_DEP_2)
	v_sub_nc_u32_e32 v28, v25, v28
	v_lshrrev_b32_e32 v25, s17, v27
	s_delay_alu instid0(VALU_DEP_2) | instskip(NEXT) | instid1(VALU_DEP_2)
	v_mul_lo_u32 v29, v28, s12
	v_mul_lo_u32 v27, v25, s11
	s_delay_alu instid0(VALU_DEP_1) | instskip(SKIP_2) | instid1(VALU_DEP_3)
	v_sub_nc_u32_e32 v26, v26, v27
	v_mul_lo_u32 v27, v28, s13
	v_mul_lo_u32 v28, v28, s14
	;; [unrolled: 1-line block ×3, first 2 shown]
	s_waitcnt lgkmcnt(0)
	v_mul_lo_u32 v31, v26, s8
	v_mul_lo_u32 v26, v26, s9
	s_delay_alu instid0(VALU_DEP_3) | instskip(NEXT) | instid1(VALU_DEP_3)
	v_add3_u32 v21, v29, v21, v30
	v_add3_u32 v23, v27, v23, v31
	s_delay_alu instid0(VALU_DEP_3)
	v_add3_u32 v22, v28, v22, v26
	s_cbranch_scc1 .LBB173_89
; %bb.90:
	s_set_inst_prefetch_distance 0x2
	s_bitcmp1_b32 s5, 0
	s_cselect_b32 s5, -1, 0
	s_delay_alu instid0(SALU_CYCLE_1)
	s_and_b32 vcc_lo, exec_lo, s5
	s_cbranch_vccnz .LBB173_93
; %bb.91:
	s_clause 0x3
	s_load_b64 s[6:7], s[2:3], 0x18
	s_load_b32 s5, s[2:3], 0x20
	s_load_b64 s[8:9], s[2:3], 0xd8
	s_load_b32 s2, s[2:3], 0xe0
	s_waitcnt lgkmcnt(0)
	v_mul_hi_u32 v26, s7, v25
	s_delay_alu instid0(VALU_DEP_1) | instskip(NEXT) | instid1(VALU_DEP_1)
	v_add_nc_u32_e32 v26, v25, v26
	v_lshrrev_b32_e32 v26, s5, v26
	s_delay_alu instid0(VALU_DEP_1) | instskip(NEXT) | instid1(VALU_DEP_1)
	v_mul_lo_u32 v26, v26, s6
	v_sub_nc_u32_e32 v29, v25, v26
	s_delay_alu instid0(VALU_DEP_1) | instskip(SKIP_2) | instid1(VALU_DEP_3)
	v_mad_u64_u32 v[25:26], null, v29, s8, v[21:22]
	v_mad_u64_u32 v[26:27], null, v29, s9, v[23:24]
	;; [unrolled: 1-line block ×3, first 2 shown]
	v_mov_b32_e32 v21, v25
	s_delay_alu instid0(VALU_DEP_2)
	v_dual_mov_b32 v23, v26 :: v_dual_mov_b32 v22, v27
	s_branch .LBB173_93
.LBB173_92:
	s_mov_b32 s4, -1
                                        ; implicit-def: $vgpr21
                                        ; implicit-def: $vgpr23
                                        ; implicit-def: $vgpr22
.LBB173_93:
	s_delay_alu instid0(SALU_CYCLE_1)
	s_and_not1_b32 vcc_lo, exec_lo, s4
	s_cbranch_vccnz .LBB173_96
; %bb.94:
	s_clause 0x1
	s_load_b128 s[4:7], s[0:1], 0x4
	s_load_b128 s[8:11], s[0:1], 0xc4
	s_cmp_lt_u32 s22, 2
	s_waitcnt lgkmcnt(0)
	v_mul_hi_u32 v21, s5, v24
	s_delay_alu instid0(VALU_DEP_1) | instskip(NEXT) | instid1(VALU_DEP_1)
	v_add_nc_u32_e32 v21, v24, v21
	v_lshrrev_b32_e32 v25, s6, v21
	s_delay_alu instid0(VALU_DEP_1) | instskip(NEXT) | instid1(VALU_DEP_1)
	v_mul_lo_u32 v21, v25, s4
	v_sub_nc_u32_e32 v22, v24, v21
	s_delay_alu instid0(VALU_DEP_1)
	v_mul_lo_u32 v21, v22, s8
	v_mul_lo_u32 v23, v22, s9
	;; [unrolled: 1-line block ×3, first 2 shown]
	s_cbranch_scc1 .LBB173_96
; %bb.95:
	s_clause 0x1
	s_load_b128 s[4:7], s[0:1], 0x10
	s_load_b128 s[8:11], s[0:1], 0xd0
	s_waitcnt lgkmcnt(0)
	v_mul_hi_u32 v24, s5, v25
	s_delay_alu instid0(VALU_DEP_1) | instskip(NEXT) | instid1(VALU_DEP_1)
	v_add_nc_u32_e32 v24, v25, v24
	v_lshrrev_b32_e32 v24, s6, v24
	s_delay_alu instid0(VALU_DEP_1) | instskip(NEXT) | instid1(VALU_DEP_1)
	v_mul_lo_u32 v24, v24, s4
	v_sub_nc_u32_e32 v28, v25, v24
	s_delay_alu instid0(VALU_DEP_1) | instskip(NEXT) | instid1(VALU_DEP_1)
	v_mad_u64_u32 v[24:25], null, v28, s8, v[21:22]
	v_mad_u64_u32 v[25:26], null, v28, s9, v[23:24]
	;; [unrolled: 1-line block ×3, first 2 shown]
	v_mov_b32_e32 v21, v24
	s_delay_alu instid0(VALU_DEP_2)
	v_dual_mov_b32 v23, v25 :: v_dual_mov_b32 v22, v26
.LBB173_96:
	s_clause 0x2
	s_load_b64 s[2:3], s[0:1], 0x198
	s_load_b128 s[4:7], s[0:1], 0x188
	s_load_b32 s0, s[0:1], 0x1a0
	s_waitcnt lgkmcnt(0)
	global_load_u8 v1, v1, s[2:3]
	global_load_u16 v2, v2, s[6:7]
	global_load_u8 v4, v4, s[2:3]
	global_load_u16 v5, v5, s[6:7]
	;; [unrolled: 2-line block ×8, first 2 shown]
	s_waitcnt vmcnt(15)
	v_cvt_f32_ubyte0_e32 v1, v1
	s_waitcnt vmcnt(13)
	v_cvt_f32_ubyte0_e32 v4, v4
	s_waitcnt vmcnt(11)
	v_cvt_f32_ubyte0_e32 v7, v7
	s_waitcnt vmcnt(9)
	v_cvt_f32_ubyte0_e32 v10, v10
	s_waitcnt vmcnt(8)
	v_lshlrev_b32_e32 v11, 16, v11
	v_lshlrev_b32_e32 v2, 16, v2
	;; [unrolled: 1-line block ×3, first 2 shown]
	s_waitcnt vmcnt(7)
	v_cvt_f32_ubyte0_e32 v13, v13
	s_waitcnt vmcnt(5)
	v_cvt_f32_ubyte0_e32 v16, v16
	;; [unrolled: 2-line block ×3, first 2 shown]
	v_mul_f32_e32 v1, v1, v2
	v_lshlrev_b32_e32 v5, 16, v5
	s_waitcnt vmcnt(1)
	v_cvt_f32_ubyte0_e32 v22, v22
	s_waitcnt vmcnt(0)
	v_lshlrev_b32_e32 v23, 16, v23
	v_lshlrev_b32_e32 v14, 16, v14
	v_mul_f32_e32 v2, v4, v5
	v_dual_mul_f32 v1, s0, v1 :: v_dual_mul_f32 v4, v7, v8
	v_mul_f32_e32 v5, v10, v11
	s_delay_alu instid0(VALU_DEP_3) | instskip(SKIP_1) | instid1(VALU_DEP_4)
	v_dual_mul_f32 v11, v22, v23 :: v_dual_mul_f32 v2, s0, v2
	v_dual_mul_f32 v7, v13, v14 :: v_dual_lshlrev_b32 v20, 16, v20
	v_bfe_u32 v13, v1, 16, 1
	v_dual_mul_f32 v4, s0, v4 :: v_dual_lshlrev_b32 v17, 16, v17
	v_mul_f32_e32 v5, s0, v5
	v_bfe_u32 v14, v2, 16, 1
	s_delay_alu instid0(VALU_DEP_4)
	v_add3_u32 v13, v1, v13, 0x7fff
	v_mul_f32_e32 v10, v19, v20
	v_mul_f32_e32 v8, v16, v17
	v_bfe_u32 v16, v4, 16, 1
	v_add3_u32 v14, v2, v14, 0x7fff
	v_lshrrev_b32_e32 v13, 16, v13
	v_cmp_o_f32_e32 vcc_lo, v1, v1
	v_dual_mul_f32 v7, s0, v7 :: v_dual_mul_f32 v8, s0, v8
	v_bfe_u32 v17, v5, 16, 1
	v_add3_u32 v16, v4, v16, 0x7fff
	v_lshrrev_b32_e32 v14, 16, v14
	v_cndmask_b32_e32 v1, 0x7fc0, v13, vcc_lo
	v_cmp_o_f32_e32 vcc_lo, v2, v2
	v_bfe_u32 v19, v7, 16, 1
	v_add3_u32 v17, v5, v17, 0x7fff
	v_lshrrev_b32_e32 v16, 16, v16
	v_dual_mul_f32 v10, s0, v10 :: v_dual_mul_f32 v11, s0, v11
	v_cndmask_b32_e32 v2, 0x7fc0, v14, vcc_lo
	v_cmp_o_f32_e32 vcc_lo, v4, v4
	v_bfe_u32 v20, v8, 16, 1
	v_add3_u32 v19, v7, v19, 0x7fff
	v_lshrrev_b32_e32 v17, 16, v17
	v_bfe_u32 v22, v10, 16, 1
	v_cndmask_b32_e32 v4, 0x7fc0, v16, vcc_lo
	v_cmp_o_f32_e32 vcc_lo, v5, v5
	v_add3_u32 v20, v8, v20, 0x7fff
	v_lshrrev_b32_e32 v19, 16, v19
	v_bfe_u32 v23, v11, 16, 1
	v_add3_u32 v22, v10, v22, 0x7fff
	v_cndmask_b32_e32 v5, 0x7fc0, v17, vcc_lo
	v_cmp_o_f32_e32 vcc_lo, v7, v7
	v_lshrrev_b32_e32 v20, 16, v20
	v_add3_u32 v23, v11, v23, 0x7fff
	v_lshrrev_b32_e32 v22, 16, v22
	v_cndmask_b32_e32 v7, 0x7fc0, v19, vcc_lo
	v_cmp_o_f32_e32 vcc_lo, v8, v8
	s_delay_alu instid0(VALU_DEP_4)
	v_lshrrev_b32_e32 v23, 16, v23
	v_cndmask_b32_e32 v8, 0x7fc0, v20, vcc_lo
	v_cmp_o_f32_e32 vcc_lo, v10, v10
	v_cndmask_b32_e32 v10, 0x7fc0, v22, vcc_lo
	v_cmp_o_f32_e32 vcc_lo, v11, v11
	v_cndmask_b32_e32 v11, 0x7fc0, v23, vcc_lo
	s_clause 0x7
	global_store_b16 v0, v1, s[4:5]
	global_store_b16 v3, v2, s[4:5]
	global_store_b16 v6, v4, s[4:5]
	global_store_b16 v9, v5, s[4:5]
	global_store_b16 v12, v7, s[4:5]
	global_store_b16 v15, v8, s[4:5]
	global_store_b16 v18, v10, s[4:5]
	global_store_b16 v21, v11, s[4:5]
	s_nop 0
	s_sendmsg sendmsg(MSG_DEALLOC_VGPRS)
	s_endpgm
.LBB173_97:
	s_mov_b32 s33, -1
                                        ; implicit-def: $vgpr0
                                        ; implicit-def: $vgpr2
                                        ; implicit-def: $vgpr1
.LBB173_98:
	s_delay_alu instid0(SALU_CYCLE_1)
	s_and_not1_b32 vcc_lo, exec_lo, s33
	s_cbranch_vccnz .LBB173_101
; %bb.99:
	s_waitcnt lgkmcnt(0)
	v_mul_hi_u32 v0, s13, v18
	s_and_not1_b32 vcc_lo, exec_lo, s27
	s_delay_alu instid0(VALU_DEP_1) | instskip(NEXT) | instid1(VALU_DEP_1)
	v_add_nc_u32_e32 v0, v18, v0
	v_lshrrev_b32_e32 v3, s14, v0
	s_delay_alu instid0(VALU_DEP_1) | instskip(NEXT) | instid1(VALU_DEP_1)
	v_mul_lo_u32 v0, v3, s12
	v_sub_nc_u32_e32 v1, v18, v0
	s_delay_alu instid0(VALU_DEP_1)
	v_mul_lo_u32 v0, v1, s8
	v_mul_lo_u32 v2, v1, s9
	;; [unrolled: 1-line block ×3, first 2 shown]
	s_cbranch_vccnz .LBB173_101
; %bb.100:
	v_mul_hi_u32 v4, s18, v3
	s_delay_alu instid0(VALU_DEP_1) | instskip(NEXT) | instid1(VALU_DEP_1)
	v_add_nc_u32_e32 v4, v3, v4
	v_lshrrev_b32_e32 v4, s19, v4
	s_delay_alu instid0(VALU_DEP_1) | instskip(NEXT) | instid1(VALU_DEP_1)
	v_mul_lo_u32 v4, v4, s15
	v_sub_nc_u32_e32 v7, v3, v4
	s_delay_alu instid0(VALU_DEP_1) | instskip(NEXT) | instid1(VALU_DEP_1)
	v_mad_u64_u32 v[3:4], null, v7, s11, v[0:1]
	v_mad_u64_u32 v[4:5], null, v7, s16, v[2:3]
	v_mad_u64_u32 v[5:6], null, v7, s17, v[1:2]
	v_mov_b32_e32 v0, v3
	s_delay_alu instid0(VALU_DEP_2)
	v_dual_mov_b32 v2, v4 :: v_dual_mov_b32 v1, v5
.LBB173_101:
	s_waitcnt lgkmcnt(0)
	global_load_u8 v1, v1, s[2:3]
	global_load_u16 v2, v2, s[6:7]
	v_add_nc_u32_e32 v18, 0x80, v18
	s_waitcnt vmcnt(1)
	v_cvt_f32_ubyte0_e32 v1, v1
	s_waitcnt vmcnt(0)
	v_lshlrev_b32_e32 v2, 16, v2
	s_delay_alu instid0(VALU_DEP_1) | instskip(NEXT) | instid1(VALU_DEP_1)
	v_mul_f32_e32 v1, v1, v2
	v_mul_f32_e32 v1, s26, v1
	s_delay_alu instid0(VALU_DEP_1) | instskip(SKIP_1) | instid1(VALU_DEP_2)
	v_bfe_u32 v2, v1, 16, 1
	v_cmp_o_f32_e32 vcc_lo, v1, v1
	v_add3_u32 v2, v1, v2, 0x7fff
	s_delay_alu instid0(VALU_DEP_1) | instskip(NEXT) | instid1(VALU_DEP_1)
	v_lshrrev_b32_e32 v2, 16, v2
	v_cndmask_b32_e32 v1, 0x7fc0, v2, vcc_lo
	global_store_b16 v0, v1, s[4:5]
	s_or_b32 exec_lo, exec_lo, s31
	s_delay_alu instid0(SALU_CYCLE_1)
	s_mov_b32 s31, exec_lo
	v_cmpx_gt_i32_e64 s29, v18
	s_cbranch_execnz .LBB173_16
.LBB173_102:
	s_or_b32 exec_lo, exec_lo, s31
	s_delay_alu instid0(SALU_CYCLE_1)
	s_mov_b32 s31, exec_lo
	v_cmpx_gt_i32_e64 s29, v18
	s_cbranch_execz .LBB173_114
.LBB173_103:
	s_and_not1_b32 vcc_lo, exec_lo, s24
	s_cbranch_vccnz .LBB173_121
; %bb.104:
	v_dual_mov_b32 v0, 0 :: v_dual_mov_b32 v1, 0
	v_mov_b32_e32 v2, 0
	s_and_not1_b32 vcc_lo, exec_lo, s30
	s_mov_b32 s33, 0
	s_cbranch_vccnz .LBB173_122
; %bb.105:
	s_add_i32 s20, s28, 1
	v_dual_mov_b32 v1, 0 :: v_dual_mov_b32 v2, 0
	v_dual_mov_b32 v0, 0 :: v_dual_mov_b32 v3, v18
	s_and_b32 s34, s20, 30
	s_add_u32 s20, s0, 0xffffffec
	s_addc_u32 s21, s1, -1
	s_set_inst_prefetch_distance 0x1
	.p2align	6
.LBB173_106:                            ; =>This Inner Loop Header: Depth=1
	s_clause 0x2
	s_load_b128 s[36:39], s[20:21], 0x18
	s_load_b64 s[44:45], s[20:21], 0x28
	s_load_b128 s[40:43], s[20:21], 0xd8
	s_waitcnt lgkmcnt(0)
	v_mul_hi_u32 v4, s37, v3
	s_delay_alu instid0(VALU_DEP_1) | instskip(NEXT) | instid1(VALU_DEP_1)
	v_add_nc_u32_e32 v4, v3, v4
	v_lshrrev_b32_e32 v4, s38, v4
	s_delay_alu instid0(VALU_DEP_1)
	v_mul_hi_u32 v5, s44, v4
	v_mul_lo_u32 v6, v4, s36
	s_load_b64 s[36:37], s[20:21], 0xe8
	s_add_u32 s20, s20, 24
	s_addc_u32 s21, s21, 0
	s_add_i32 s34, s34, -2
	s_delay_alu instid0(SALU_CYCLE_1) | instskip(NEXT) | instid1(VALU_DEP_2)
	s_cmp_eq_u32 s34, 0
	v_add_nc_u32_e32 v5, v4, v5
	s_delay_alu instid0(VALU_DEP_2) | instskip(NEXT) | instid1(VALU_DEP_2)
	v_sub_nc_u32_e32 v6, v3, v6
	v_lshrrev_b32_e32 v3, s45, v5
	s_delay_alu instid0(VALU_DEP_2) | instskip(NEXT) | instid1(VALU_DEP_2)
	v_mul_lo_u32 v7, v6, s40
	v_mul_lo_u32 v5, v3, s39
	s_delay_alu instid0(VALU_DEP_1) | instskip(SKIP_2) | instid1(VALU_DEP_3)
	v_sub_nc_u32_e32 v4, v4, v5
	v_mul_lo_u32 v5, v6, s41
	v_mul_lo_u32 v6, v6, s42
	;; [unrolled: 1-line block ×3, first 2 shown]
	s_waitcnt lgkmcnt(0)
	v_mul_lo_u32 v9, v4, s36
	v_mul_lo_u32 v4, v4, s37
	s_delay_alu instid0(VALU_DEP_3) | instskip(NEXT) | instid1(VALU_DEP_3)
	v_add3_u32 v0, v7, v0, v8
	v_add3_u32 v2, v5, v2, v9
	s_delay_alu instid0(VALU_DEP_3)
	v_add3_u32 v1, v6, v1, v4
	s_cbranch_scc0 .LBB173_106
; %bb.107:
	s_set_inst_prefetch_distance 0x2
	s_bitcmp1_b32 s28, 0
	s_cselect_b32 s34, -1, 0
	s_delay_alu instid0(SALU_CYCLE_1)
	s_and_b32 vcc_lo, exec_lo, s34
	s_cbranch_vccnz .LBB173_122
; %bb.108:
	s_clause 0x3
	s_load_b64 s[34:35], s[20:21], 0x18
	s_load_b32 s38, s[20:21], 0x20
	s_load_b64 s[36:37], s[20:21], 0xd8
	s_load_b32 s20, s[20:21], 0xe0
	s_waitcnt lgkmcnt(0)
	v_mul_hi_u32 v4, s35, v3
	s_delay_alu instid0(VALU_DEP_1) | instskip(NEXT) | instid1(VALU_DEP_1)
	v_add_nc_u32_e32 v4, v3, v4
	v_lshrrev_b32_e32 v4, s38, v4
	s_delay_alu instid0(VALU_DEP_1) | instskip(NEXT) | instid1(VALU_DEP_1)
	v_mul_lo_u32 v4, v4, s34
	v_sub_nc_u32_e32 v7, v3, v4
	s_delay_alu instid0(VALU_DEP_1) | instskip(NEXT) | instid1(VALU_DEP_1)
	v_mad_u64_u32 v[3:4], null, v7, s36, v[0:1]
	v_mad_u64_u32 v[4:5], null, v7, s37, v[2:3]
	;; [unrolled: 1-line block ×3, first 2 shown]
	v_mov_b32_e32 v0, v3
	s_delay_alu instid0(VALU_DEP_2)
	v_dual_mov_b32 v2, v4 :: v_dual_mov_b32 v1, v5
	s_branch .LBB173_122
.LBB173_109:
	s_mov_b32 s33, -1
                                        ; implicit-def: $vgpr0
                                        ; implicit-def: $vgpr2
                                        ; implicit-def: $vgpr1
.LBB173_110:
	s_delay_alu instid0(SALU_CYCLE_1)
	s_and_not1_b32 vcc_lo, exec_lo, s33
	s_cbranch_vccnz .LBB173_113
; %bb.111:
	s_waitcnt lgkmcnt(0)
	v_mul_hi_u32 v0, s13, v18
	s_and_not1_b32 vcc_lo, exec_lo, s27
	s_delay_alu instid0(VALU_DEP_1) | instskip(NEXT) | instid1(VALU_DEP_1)
	v_add_nc_u32_e32 v0, v18, v0
	v_lshrrev_b32_e32 v3, s14, v0
	s_delay_alu instid0(VALU_DEP_1) | instskip(NEXT) | instid1(VALU_DEP_1)
	v_mul_lo_u32 v0, v3, s12
	v_sub_nc_u32_e32 v1, v18, v0
	s_delay_alu instid0(VALU_DEP_1)
	v_mul_lo_u32 v0, v1, s8
	v_mul_lo_u32 v2, v1, s9
	v_mul_lo_u32 v1, v1, s10
	s_cbranch_vccnz .LBB173_113
; %bb.112:
	v_mul_hi_u32 v4, s18, v3
	s_delay_alu instid0(VALU_DEP_1) | instskip(NEXT) | instid1(VALU_DEP_1)
	v_add_nc_u32_e32 v4, v3, v4
	v_lshrrev_b32_e32 v4, s19, v4
	s_delay_alu instid0(VALU_DEP_1) | instskip(NEXT) | instid1(VALU_DEP_1)
	v_mul_lo_u32 v4, v4, s15
	v_sub_nc_u32_e32 v7, v3, v4
	s_delay_alu instid0(VALU_DEP_1) | instskip(NEXT) | instid1(VALU_DEP_1)
	v_mad_u64_u32 v[3:4], null, v7, s11, v[0:1]
	v_mad_u64_u32 v[4:5], null, v7, s16, v[2:3]
	;; [unrolled: 1-line block ×3, first 2 shown]
	v_mov_b32_e32 v0, v3
	s_delay_alu instid0(VALU_DEP_2)
	v_dual_mov_b32 v2, v4 :: v_dual_mov_b32 v1, v5
.LBB173_113:
	s_waitcnt lgkmcnt(0)
	global_load_u8 v1, v1, s[2:3]
	global_load_u16 v2, v2, s[6:7]
	v_add_nc_u32_e32 v18, 0x80, v18
	s_waitcnt vmcnt(1)
	v_cvt_f32_ubyte0_e32 v1, v1
	s_waitcnt vmcnt(0)
	v_lshlrev_b32_e32 v2, 16, v2
	s_delay_alu instid0(VALU_DEP_1) | instskip(NEXT) | instid1(VALU_DEP_1)
	v_mul_f32_e32 v1, v1, v2
	v_mul_f32_e32 v1, s26, v1
	s_delay_alu instid0(VALU_DEP_1) | instskip(SKIP_1) | instid1(VALU_DEP_2)
	v_bfe_u32 v2, v1, 16, 1
	v_cmp_o_f32_e32 vcc_lo, v1, v1
	v_add3_u32 v2, v1, v2, 0x7fff
	s_delay_alu instid0(VALU_DEP_1) | instskip(NEXT) | instid1(VALU_DEP_1)
	v_lshrrev_b32_e32 v2, 16, v2
	v_cndmask_b32_e32 v1, 0x7fc0, v2, vcc_lo
	global_store_b16 v0, v1, s[4:5]
	s_or_b32 exec_lo, exec_lo, s31
	s_delay_alu instid0(SALU_CYCLE_1)
	s_mov_b32 s31, exec_lo
	v_cmpx_gt_i32_e64 s29, v18
	s_cbranch_execnz .LBB173_103
.LBB173_114:
	s_or_b32 exec_lo, exec_lo, s31
	s_delay_alu instid0(SALU_CYCLE_1)
	s_mov_b32 s31, exec_lo
	v_cmpx_gt_i32_e64 s29, v18
	s_cbranch_execz .LBB173_126
.LBB173_115:
	s_and_not1_b32 vcc_lo, exec_lo, s24
	s_cbranch_vccnz .LBB173_133
; %bb.116:
	v_dual_mov_b32 v0, 0 :: v_dual_mov_b32 v1, 0
	v_mov_b32_e32 v2, 0
	s_and_not1_b32 vcc_lo, exec_lo, s30
	s_mov_b32 s33, 0
	s_cbranch_vccnz .LBB173_134
; %bb.117:
	s_add_i32 s20, s28, 1
	v_dual_mov_b32 v1, 0 :: v_dual_mov_b32 v2, 0
	v_dual_mov_b32 v0, 0 :: v_dual_mov_b32 v3, v18
	s_and_b32 s34, s20, 30
	s_add_u32 s20, s0, 0xffffffec
	s_addc_u32 s21, s1, -1
	s_set_inst_prefetch_distance 0x1
	.p2align	6
.LBB173_118:                            ; =>This Inner Loop Header: Depth=1
	s_clause 0x2
	s_load_b128 s[36:39], s[20:21], 0x18
	s_load_b64 s[44:45], s[20:21], 0x28
	s_load_b128 s[40:43], s[20:21], 0xd8
	s_waitcnt lgkmcnt(0)
	v_mul_hi_u32 v4, s37, v3
	s_delay_alu instid0(VALU_DEP_1) | instskip(NEXT) | instid1(VALU_DEP_1)
	v_add_nc_u32_e32 v4, v3, v4
	v_lshrrev_b32_e32 v4, s38, v4
	s_delay_alu instid0(VALU_DEP_1)
	v_mul_hi_u32 v5, s44, v4
	v_mul_lo_u32 v6, v4, s36
	s_load_b64 s[36:37], s[20:21], 0xe8
	s_add_u32 s20, s20, 24
	s_addc_u32 s21, s21, 0
	s_add_i32 s34, s34, -2
	s_delay_alu instid0(SALU_CYCLE_1) | instskip(NEXT) | instid1(VALU_DEP_2)
	s_cmp_eq_u32 s34, 0
	v_add_nc_u32_e32 v5, v4, v5
	s_delay_alu instid0(VALU_DEP_2) | instskip(NEXT) | instid1(VALU_DEP_2)
	v_sub_nc_u32_e32 v6, v3, v6
	v_lshrrev_b32_e32 v3, s45, v5
	s_delay_alu instid0(VALU_DEP_2) | instskip(NEXT) | instid1(VALU_DEP_2)
	v_mul_lo_u32 v7, v6, s40
	v_mul_lo_u32 v5, v3, s39
	s_delay_alu instid0(VALU_DEP_1) | instskip(SKIP_2) | instid1(VALU_DEP_3)
	v_sub_nc_u32_e32 v4, v4, v5
	v_mul_lo_u32 v5, v6, s41
	v_mul_lo_u32 v6, v6, s42
	;; [unrolled: 1-line block ×3, first 2 shown]
	s_waitcnt lgkmcnt(0)
	v_mul_lo_u32 v9, v4, s36
	v_mul_lo_u32 v4, v4, s37
	s_delay_alu instid0(VALU_DEP_3) | instskip(NEXT) | instid1(VALU_DEP_3)
	v_add3_u32 v0, v7, v0, v8
	v_add3_u32 v2, v5, v2, v9
	s_delay_alu instid0(VALU_DEP_3)
	v_add3_u32 v1, v6, v1, v4
	s_cbranch_scc0 .LBB173_118
; %bb.119:
	s_set_inst_prefetch_distance 0x2
	s_bitcmp1_b32 s28, 0
	s_cselect_b32 s34, -1, 0
	s_delay_alu instid0(SALU_CYCLE_1)
	s_and_b32 vcc_lo, exec_lo, s34
	s_cbranch_vccnz .LBB173_134
; %bb.120:
	s_clause 0x3
	s_load_b64 s[34:35], s[20:21], 0x18
	s_load_b32 s38, s[20:21], 0x20
	s_load_b64 s[36:37], s[20:21], 0xd8
	s_load_b32 s20, s[20:21], 0xe0
	s_waitcnt lgkmcnt(0)
	v_mul_hi_u32 v4, s35, v3
	s_delay_alu instid0(VALU_DEP_1) | instskip(NEXT) | instid1(VALU_DEP_1)
	v_add_nc_u32_e32 v4, v3, v4
	v_lshrrev_b32_e32 v4, s38, v4
	s_delay_alu instid0(VALU_DEP_1) | instskip(NEXT) | instid1(VALU_DEP_1)
	v_mul_lo_u32 v4, v4, s34
	v_sub_nc_u32_e32 v7, v3, v4
	s_delay_alu instid0(VALU_DEP_1) | instskip(NEXT) | instid1(VALU_DEP_1)
	v_mad_u64_u32 v[3:4], null, v7, s36, v[0:1]
	v_mad_u64_u32 v[4:5], null, v7, s37, v[2:3]
	;; [unrolled: 1-line block ×3, first 2 shown]
	v_mov_b32_e32 v0, v3
	s_delay_alu instid0(VALU_DEP_2)
	v_dual_mov_b32 v2, v4 :: v_dual_mov_b32 v1, v5
	s_branch .LBB173_134
.LBB173_121:
	s_mov_b32 s33, -1
                                        ; implicit-def: $vgpr0
                                        ; implicit-def: $vgpr2
                                        ; implicit-def: $vgpr1
.LBB173_122:
	s_delay_alu instid0(SALU_CYCLE_1)
	s_and_not1_b32 vcc_lo, exec_lo, s33
	s_cbranch_vccnz .LBB173_125
; %bb.123:
	s_waitcnt lgkmcnt(0)
	v_mul_hi_u32 v0, s13, v18
	s_and_not1_b32 vcc_lo, exec_lo, s27
	s_delay_alu instid0(VALU_DEP_1) | instskip(NEXT) | instid1(VALU_DEP_1)
	v_add_nc_u32_e32 v0, v18, v0
	v_lshrrev_b32_e32 v3, s14, v0
	s_delay_alu instid0(VALU_DEP_1) | instskip(NEXT) | instid1(VALU_DEP_1)
	v_mul_lo_u32 v0, v3, s12
	v_sub_nc_u32_e32 v1, v18, v0
	s_delay_alu instid0(VALU_DEP_1)
	v_mul_lo_u32 v0, v1, s8
	v_mul_lo_u32 v2, v1, s9
	;; [unrolled: 1-line block ×3, first 2 shown]
	s_cbranch_vccnz .LBB173_125
; %bb.124:
	v_mul_hi_u32 v4, s18, v3
	s_delay_alu instid0(VALU_DEP_1) | instskip(NEXT) | instid1(VALU_DEP_1)
	v_add_nc_u32_e32 v4, v3, v4
	v_lshrrev_b32_e32 v4, s19, v4
	s_delay_alu instid0(VALU_DEP_1) | instskip(NEXT) | instid1(VALU_DEP_1)
	v_mul_lo_u32 v4, v4, s15
	v_sub_nc_u32_e32 v7, v3, v4
	s_delay_alu instid0(VALU_DEP_1) | instskip(NEXT) | instid1(VALU_DEP_1)
	v_mad_u64_u32 v[3:4], null, v7, s11, v[0:1]
	v_mad_u64_u32 v[4:5], null, v7, s16, v[2:3]
	v_mad_u64_u32 v[5:6], null, v7, s17, v[1:2]
	v_mov_b32_e32 v0, v3
	s_delay_alu instid0(VALU_DEP_2)
	v_dual_mov_b32 v2, v4 :: v_dual_mov_b32 v1, v5
.LBB173_125:
	s_waitcnt lgkmcnt(0)
	global_load_u8 v1, v1, s[2:3]
	global_load_u16 v2, v2, s[6:7]
	v_add_nc_u32_e32 v18, 0x80, v18
	s_waitcnt vmcnt(1)
	v_cvt_f32_ubyte0_e32 v1, v1
	s_waitcnt vmcnt(0)
	v_lshlrev_b32_e32 v2, 16, v2
	s_delay_alu instid0(VALU_DEP_1) | instskip(NEXT) | instid1(VALU_DEP_1)
	v_mul_f32_e32 v1, v1, v2
	v_mul_f32_e32 v1, s26, v1
	s_delay_alu instid0(VALU_DEP_1) | instskip(SKIP_1) | instid1(VALU_DEP_2)
	v_bfe_u32 v2, v1, 16, 1
	v_cmp_o_f32_e32 vcc_lo, v1, v1
	v_add3_u32 v2, v1, v2, 0x7fff
	s_delay_alu instid0(VALU_DEP_1) | instskip(NEXT) | instid1(VALU_DEP_1)
	v_lshrrev_b32_e32 v2, 16, v2
	v_cndmask_b32_e32 v1, 0x7fc0, v2, vcc_lo
	global_store_b16 v0, v1, s[4:5]
	s_or_b32 exec_lo, exec_lo, s31
	s_delay_alu instid0(SALU_CYCLE_1)
	s_mov_b32 s31, exec_lo
	v_cmpx_gt_i32_e64 s29, v18
	s_cbranch_execnz .LBB173_115
.LBB173_126:
	s_or_b32 exec_lo, exec_lo, s31
	s_delay_alu instid0(SALU_CYCLE_1)
	s_mov_b32 s31, exec_lo
	v_cmpx_gt_i32_e64 s29, v18
	s_cbranch_execz .LBB173_138
.LBB173_127:
	s_and_not1_b32 vcc_lo, exec_lo, s24
	s_cbranch_vccnz .LBB173_145
; %bb.128:
	v_dual_mov_b32 v0, 0 :: v_dual_mov_b32 v1, 0
	v_mov_b32_e32 v2, 0
	s_and_not1_b32 vcc_lo, exec_lo, s30
	s_mov_b32 s33, 0
	s_cbranch_vccnz .LBB173_146
; %bb.129:
	s_add_i32 s20, s28, 1
	v_dual_mov_b32 v1, 0 :: v_dual_mov_b32 v2, 0
	v_dual_mov_b32 v0, 0 :: v_dual_mov_b32 v3, v18
	s_and_b32 s34, s20, 30
	s_add_u32 s20, s0, 0xffffffec
	s_addc_u32 s21, s1, -1
	s_set_inst_prefetch_distance 0x1
	.p2align	6
.LBB173_130:                            ; =>This Inner Loop Header: Depth=1
	s_clause 0x2
	s_load_b128 s[36:39], s[20:21], 0x18
	s_load_b64 s[44:45], s[20:21], 0x28
	s_load_b128 s[40:43], s[20:21], 0xd8
	s_waitcnt lgkmcnt(0)
	v_mul_hi_u32 v4, s37, v3
	s_delay_alu instid0(VALU_DEP_1) | instskip(NEXT) | instid1(VALU_DEP_1)
	v_add_nc_u32_e32 v4, v3, v4
	v_lshrrev_b32_e32 v4, s38, v4
	s_delay_alu instid0(VALU_DEP_1)
	v_mul_hi_u32 v5, s44, v4
	v_mul_lo_u32 v6, v4, s36
	s_load_b64 s[36:37], s[20:21], 0xe8
	s_add_u32 s20, s20, 24
	s_addc_u32 s21, s21, 0
	s_add_i32 s34, s34, -2
	s_delay_alu instid0(SALU_CYCLE_1) | instskip(NEXT) | instid1(VALU_DEP_2)
	s_cmp_eq_u32 s34, 0
	v_add_nc_u32_e32 v5, v4, v5
	s_delay_alu instid0(VALU_DEP_2) | instskip(NEXT) | instid1(VALU_DEP_2)
	v_sub_nc_u32_e32 v6, v3, v6
	v_lshrrev_b32_e32 v3, s45, v5
	s_delay_alu instid0(VALU_DEP_2) | instskip(NEXT) | instid1(VALU_DEP_2)
	v_mul_lo_u32 v7, v6, s40
	v_mul_lo_u32 v5, v3, s39
	s_delay_alu instid0(VALU_DEP_1) | instskip(SKIP_2) | instid1(VALU_DEP_3)
	v_sub_nc_u32_e32 v4, v4, v5
	v_mul_lo_u32 v5, v6, s41
	v_mul_lo_u32 v6, v6, s42
	v_mul_lo_u32 v8, v4, s43
	s_waitcnt lgkmcnt(0)
	v_mul_lo_u32 v9, v4, s36
	v_mul_lo_u32 v4, v4, s37
	s_delay_alu instid0(VALU_DEP_3) | instskip(NEXT) | instid1(VALU_DEP_3)
	v_add3_u32 v0, v7, v0, v8
	v_add3_u32 v2, v5, v2, v9
	s_delay_alu instid0(VALU_DEP_3)
	v_add3_u32 v1, v6, v1, v4
	s_cbranch_scc0 .LBB173_130
; %bb.131:
	s_set_inst_prefetch_distance 0x2
	s_bitcmp1_b32 s28, 0
	s_cselect_b32 s34, -1, 0
	s_delay_alu instid0(SALU_CYCLE_1)
	s_and_b32 vcc_lo, exec_lo, s34
	s_cbranch_vccnz .LBB173_146
; %bb.132:
	s_clause 0x3
	s_load_b64 s[34:35], s[20:21], 0x18
	s_load_b32 s38, s[20:21], 0x20
	s_load_b64 s[36:37], s[20:21], 0xd8
	s_load_b32 s20, s[20:21], 0xe0
	s_waitcnt lgkmcnt(0)
	v_mul_hi_u32 v4, s35, v3
	s_delay_alu instid0(VALU_DEP_1) | instskip(NEXT) | instid1(VALU_DEP_1)
	v_add_nc_u32_e32 v4, v3, v4
	v_lshrrev_b32_e32 v4, s38, v4
	s_delay_alu instid0(VALU_DEP_1) | instskip(NEXT) | instid1(VALU_DEP_1)
	v_mul_lo_u32 v4, v4, s34
	v_sub_nc_u32_e32 v7, v3, v4
	s_delay_alu instid0(VALU_DEP_1) | instskip(NEXT) | instid1(VALU_DEP_1)
	v_mad_u64_u32 v[3:4], null, v7, s36, v[0:1]
	v_mad_u64_u32 v[4:5], null, v7, s37, v[2:3]
	;; [unrolled: 1-line block ×3, first 2 shown]
	v_mov_b32_e32 v0, v3
	s_delay_alu instid0(VALU_DEP_2)
	v_dual_mov_b32 v2, v4 :: v_dual_mov_b32 v1, v5
	s_branch .LBB173_146
.LBB173_133:
	s_mov_b32 s33, -1
                                        ; implicit-def: $vgpr0
                                        ; implicit-def: $vgpr2
                                        ; implicit-def: $vgpr1
.LBB173_134:
	s_delay_alu instid0(SALU_CYCLE_1)
	s_and_not1_b32 vcc_lo, exec_lo, s33
	s_cbranch_vccnz .LBB173_137
; %bb.135:
	s_waitcnt lgkmcnt(0)
	v_mul_hi_u32 v0, s13, v18
	s_and_not1_b32 vcc_lo, exec_lo, s27
	s_delay_alu instid0(VALU_DEP_1) | instskip(NEXT) | instid1(VALU_DEP_1)
	v_add_nc_u32_e32 v0, v18, v0
	v_lshrrev_b32_e32 v3, s14, v0
	s_delay_alu instid0(VALU_DEP_1) | instskip(NEXT) | instid1(VALU_DEP_1)
	v_mul_lo_u32 v0, v3, s12
	v_sub_nc_u32_e32 v1, v18, v0
	s_delay_alu instid0(VALU_DEP_1)
	v_mul_lo_u32 v0, v1, s8
	v_mul_lo_u32 v2, v1, s9
	;; [unrolled: 1-line block ×3, first 2 shown]
	s_cbranch_vccnz .LBB173_137
; %bb.136:
	v_mul_hi_u32 v4, s18, v3
	s_delay_alu instid0(VALU_DEP_1) | instskip(NEXT) | instid1(VALU_DEP_1)
	v_add_nc_u32_e32 v4, v3, v4
	v_lshrrev_b32_e32 v4, s19, v4
	s_delay_alu instid0(VALU_DEP_1) | instskip(NEXT) | instid1(VALU_DEP_1)
	v_mul_lo_u32 v4, v4, s15
	v_sub_nc_u32_e32 v7, v3, v4
	s_delay_alu instid0(VALU_DEP_1) | instskip(NEXT) | instid1(VALU_DEP_1)
	v_mad_u64_u32 v[3:4], null, v7, s11, v[0:1]
	v_mad_u64_u32 v[4:5], null, v7, s16, v[2:3]
	;; [unrolled: 1-line block ×3, first 2 shown]
	v_mov_b32_e32 v0, v3
	s_delay_alu instid0(VALU_DEP_2)
	v_dual_mov_b32 v2, v4 :: v_dual_mov_b32 v1, v5
.LBB173_137:
	s_waitcnt lgkmcnt(0)
	global_load_u8 v1, v1, s[2:3]
	global_load_u16 v2, v2, s[6:7]
	v_add_nc_u32_e32 v18, 0x80, v18
	s_waitcnt vmcnt(1)
	v_cvt_f32_ubyte0_e32 v1, v1
	s_waitcnt vmcnt(0)
	v_lshlrev_b32_e32 v2, 16, v2
	s_delay_alu instid0(VALU_DEP_1) | instskip(NEXT) | instid1(VALU_DEP_1)
	v_mul_f32_e32 v1, v1, v2
	v_mul_f32_e32 v1, s26, v1
	s_delay_alu instid0(VALU_DEP_1) | instskip(SKIP_1) | instid1(VALU_DEP_2)
	v_bfe_u32 v2, v1, 16, 1
	v_cmp_o_f32_e32 vcc_lo, v1, v1
	v_add3_u32 v2, v1, v2, 0x7fff
	s_delay_alu instid0(VALU_DEP_1) | instskip(NEXT) | instid1(VALU_DEP_1)
	v_lshrrev_b32_e32 v2, 16, v2
	v_cndmask_b32_e32 v1, 0x7fc0, v2, vcc_lo
	global_store_b16 v0, v1, s[4:5]
	s_or_b32 exec_lo, exec_lo, s31
	s_delay_alu instid0(SALU_CYCLE_1)
	s_mov_b32 s31, exec_lo
	v_cmpx_gt_i32_e64 s29, v18
	s_cbranch_execnz .LBB173_127
.LBB173_138:
	s_or_b32 exec_lo, exec_lo, s31
	s_delay_alu instid0(SALU_CYCLE_1)
	s_mov_b32 s31, exec_lo
	v_cmpx_gt_i32_e64 s29, v18
	s_cbranch_execz .LBB173_150
.LBB173_139:
	s_and_not1_b32 vcc_lo, exec_lo, s24
	s_cbranch_vccnz .LBB173_157
; %bb.140:
	v_dual_mov_b32 v0, 0 :: v_dual_mov_b32 v1, 0
	v_mov_b32_e32 v2, 0
	s_and_not1_b32 vcc_lo, exec_lo, s30
	s_mov_b32 s33, 0
	s_cbranch_vccnz .LBB173_158
; %bb.141:
	s_add_i32 s20, s28, 1
	v_dual_mov_b32 v1, 0 :: v_dual_mov_b32 v2, 0
	v_dual_mov_b32 v0, 0 :: v_dual_mov_b32 v3, v18
	s_and_b32 s34, s20, 30
	s_add_u32 s20, s0, 0xffffffec
	s_addc_u32 s21, s1, -1
	s_set_inst_prefetch_distance 0x1
	.p2align	6
.LBB173_142:                            ; =>This Inner Loop Header: Depth=1
	s_clause 0x2
	s_load_b128 s[36:39], s[20:21], 0x18
	s_load_b64 s[44:45], s[20:21], 0x28
	s_load_b128 s[40:43], s[20:21], 0xd8
	s_waitcnt lgkmcnt(0)
	v_mul_hi_u32 v4, s37, v3
	s_delay_alu instid0(VALU_DEP_1) | instskip(NEXT) | instid1(VALU_DEP_1)
	v_add_nc_u32_e32 v4, v3, v4
	v_lshrrev_b32_e32 v4, s38, v4
	s_delay_alu instid0(VALU_DEP_1)
	v_mul_hi_u32 v5, s44, v4
	v_mul_lo_u32 v6, v4, s36
	s_load_b64 s[36:37], s[20:21], 0xe8
	s_add_u32 s20, s20, 24
	s_addc_u32 s21, s21, 0
	s_add_i32 s34, s34, -2
	s_delay_alu instid0(SALU_CYCLE_1) | instskip(NEXT) | instid1(VALU_DEP_2)
	s_cmp_eq_u32 s34, 0
	v_add_nc_u32_e32 v5, v4, v5
	s_delay_alu instid0(VALU_DEP_2) | instskip(NEXT) | instid1(VALU_DEP_2)
	v_sub_nc_u32_e32 v6, v3, v6
	v_lshrrev_b32_e32 v3, s45, v5
	s_delay_alu instid0(VALU_DEP_2) | instskip(NEXT) | instid1(VALU_DEP_2)
	v_mul_lo_u32 v7, v6, s40
	v_mul_lo_u32 v5, v3, s39
	s_delay_alu instid0(VALU_DEP_1) | instskip(SKIP_2) | instid1(VALU_DEP_3)
	v_sub_nc_u32_e32 v4, v4, v5
	v_mul_lo_u32 v5, v6, s41
	v_mul_lo_u32 v6, v6, s42
	;; [unrolled: 1-line block ×3, first 2 shown]
	s_waitcnt lgkmcnt(0)
	v_mul_lo_u32 v9, v4, s36
	v_mul_lo_u32 v4, v4, s37
	s_delay_alu instid0(VALU_DEP_3) | instskip(NEXT) | instid1(VALU_DEP_3)
	v_add3_u32 v0, v7, v0, v8
	v_add3_u32 v2, v5, v2, v9
	s_delay_alu instid0(VALU_DEP_3)
	v_add3_u32 v1, v6, v1, v4
	s_cbranch_scc0 .LBB173_142
; %bb.143:
	s_set_inst_prefetch_distance 0x2
	s_bitcmp1_b32 s28, 0
	s_cselect_b32 s34, -1, 0
	s_delay_alu instid0(SALU_CYCLE_1)
	s_and_b32 vcc_lo, exec_lo, s34
	s_cbranch_vccnz .LBB173_158
; %bb.144:
	s_clause 0x3
	s_load_b64 s[34:35], s[20:21], 0x18
	s_load_b32 s38, s[20:21], 0x20
	s_load_b64 s[36:37], s[20:21], 0xd8
	s_load_b32 s20, s[20:21], 0xe0
	s_waitcnt lgkmcnt(0)
	v_mul_hi_u32 v4, s35, v3
	s_delay_alu instid0(VALU_DEP_1) | instskip(NEXT) | instid1(VALU_DEP_1)
	v_add_nc_u32_e32 v4, v3, v4
	v_lshrrev_b32_e32 v4, s38, v4
	s_delay_alu instid0(VALU_DEP_1) | instskip(NEXT) | instid1(VALU_DEP_1)
	v_mul_lo_u32 v4, v4, s34
	v_sub_nc_u32_e32 v7, v3, v4
	s_delay_alu instid0(VALU_DEP_1) | instskip(NEXT) | instid1(VALU_DEP_1)
	v_mad_u64_u32 v[3:4], null, v7, s36, v[0:1]
	v_mad_u64_u32 v[4:5], null, v7, s37, v[2:3]
	;; [unrolled: 1-line block ×3, first 2 shown]
	v_mov_b32_e32 v0, v3
	s_delay_alu instid0(VALU_DEP_2)
	v_dual_mov_b32 v2, v4 :: v_dual_mov_b32 v1, v5
	s_branch .LBB173_158
.LBB173_145:
	s_mov_b32 s33, -1
                                        ; implicit-def: $vgpr0
                                        ; implicit-def: $vgpr2
                                        ; implicit-def: $vgpr1
.LBB173_146:
	s_delay_alu instid0(SALU_CYCLE_1)
	s_and_not1_b32 vcc_lo, exec_lo, s33
	s_cbranch_vccnz .LBB173_149
; %bb.147:
	s_waitcnt lgkmcnt(0)
	v_mul_hi_u32 v0, s13, v18
	s_and_not1_b32 vcc_lo, exec_lo, s27
	s_delay_alu instid0(VALU_DEP_1) | instskip(NEXT) | instid1(VALU_DEP_1)
	v_add_nc_u32_e32 v0, v18, v0
	v_lshrrev_b32_e32 v3, s14, v0
	s_delay_alu instid0(VALU_DEP_1) | instskip(NEXT) | instid1(VALU_DEP_1)
	v_mul_lo_u32 v0, v3, s12
	v_sub_nc_u32_e32 v1, v18, v0
	s_delay_alu instid0(VALU_DEP_1)
	v_mul_lo_u32 v0, v1, s8
	v_mul_lo_u32 v2, v1, s9
	;; [unrolled: 1-line block ×3, first 2 shown]
	s_cbranch_vccnz .LBB173_149
; %bb.148:
	v_mul_hi_u32 v4, s18, v3
	s_delay_alu instid0(VALU_DEP_1) | instskip(NEXT) | instid1(VALU_DEP_1)
	v_add_nc_u32_e32 v4, v3, v4
	v_lshrrev_b32_e32 v4, s19, v4
	s_delay_alu instid0(VALU_DEP_1) | instskip(NEXT) | instid1(VALU_DEP_1)
	v_mul_lo_u32 v4, v4, s15
	v_sub_nc_u32_e32 v7, v3, v4
	s_delay_alu instid0(VALU_DEP_1) | instskip(NEXT) | instid1(VALU_DEP_1)
	v_mad_u64_u32 v[3:4], null, v7, s11, v[0:1]
	v_mad_u64_u32 v[4:5], null, v7, s16, v[2:3]
	;; [unrolled: 1-line block ×3, first 2 shown]
	v_mov_b32_e32 v0, v3
	s_delay_alu instid0(VALU_DEP_2)
	v_dual_mov_b32 v2, v4 :: v_dual_mov_b32 v1, v5
.LBB173_149:
	s_waitcnt lgkmcnt(0)
	global_load_u8 v1, v1, s[2:3]
	global_load_u16 v2, v2, s[6:7]
	v_add_nc_u32_e32 v18, 0x80, v18
	s_waitcnt vmcnt(1)
	v_cvt_f32_ubyte0_e32 v1, v1
	s_waitcnt vmcnt(0)
	v_lshlrev_b32_e32 v2, 16, v2
	s_delay_alu instid0(VALU_DEP_1) | instskip(NEXT) | instid1(VALU_DEP_1)
	v_mul_f32_e32 v1, v1, v2
	v_mul_f32_e32 v1, s26, v1
	s_delay_alu instid0(VALU_DEP_1) | instskip(SKIP_1) | instid1(VALU_DEP_2)
	v_bfe_u32 v2, v1, 16, 1
	v_cmp_o_f32_e32 vcc_lo, v1, v1
	v_add3_u32 v2, v1, v2, 0x7fff
	s_delay_alu instid0(VALU_DEP_1) | instskip(NEXT) | instid1(VALU_DEP_1)
	v_lshrrev_b32_e32 v2, 16, v2
	v_cndmask_b32_e32 v1, 0x7fc0, v2, vcc_lo
	global_store_b16 v0, v1, s[4:5]
	s_or_b32 exec_lo, exec_lo, s31
	s_delay_alu instid0(SALU_CYCLE_1)
	s_mov_b32 s31, exec_lo
	v_cmpx_gt_i32_e64 s29, v18
	s_cbranch_execnz .LBB173_139
.LBB173_150:
	s_or_b32 exec_lo, exec_lo, s31
	s_delay_alu instid0(SALU_CYCLE_1)
	s_mov_b32 s31, exec_lo
	v_cmpx_gt_i32_e64 s29, v18
	s_cbranch_execz .LBB173_162
.LBB173_151:
	s_and_not1_b32 vcc_lo, exec_lo, s24
	s_cbranch_vccnz .LBB173_165
; %bb.152:
	v_dual_mov_b32 v0, 0 :: v_dual_mov_b32 v1, 0
	v_mov_b32_e32 v2, 0
	s_and_not1_b32 vcc_lo, exec_lo, s30
	s_mov_b32 s33, 0
	s_cbranch_vccnz .LBB173_166
; %bb.153:
	s_add_i32 s20, s28, 1
	v_dual_mov_b32 v1, 0 :: v_dual_mov_b32 v2, 0
	v_dual_mov_b32 v0, 0 :: v_dual_mov_b32 v3, v18
	s_and_b32 s34, s20, 30
	s_add_u32 s20, s0, 0xffffffec
	s_addc_u32 s21, s1, -1
	s_set_inst_prefetch_distance 0x1
	.p2align	6
.LBB173_154:                            ; =>This Inner Loop Header: Depth=1
	s_clause 0x2
	s_load_b128 s[36:39], s[20:21], 0x18
	s_load_b64 s[44:45], s[20:21], 0x28
	s_load_b128 s[40:43], s[20:21], 0xd8
	s_waitcnt lgkmcnt(0)
	v_mul_hi_u32 v4, s37, v3
	s_delay_alu instid0(VALU_DEP_1) | instskip(NEXT) | instid1(VALU_DEP_1)
	v_add_nc_u32_e32 v4, v3, v4
	v_lshrrev_b32_e32 v4, s38, v4
	s_delay_alu instid0(VALU_DEP_1)
	v_mul_hi_u32 v5, s44, v4
	v_mul_lo_u32 v6, v4, s36
	s_load_b64 s[36:37], s[20:21], 0xe8
	s_add_u32 s20, s20, 24
	s_addc_u32 s21, s21, 0
	s_add_i32 s34, s34, -2
	s_delay_alu instid0(SALU_CYCLE_1) | instskip(NEXT) | instid1(VALU_DEP_2)
	s_cmp_eq_u32 s34, 0
	v_add_nc_u32_e32 v5, v4, v5
	s_delay_alu instid0(VALU_DEP_2) | instskip(NEXT) | instid1(VALU_DEP_2)
	v_sub_nc_u32_e32 v6, v3, v6
	v_lshrrev_b32_e32 v3, s45, v5
	s_delay_alu instid0(VALU_DEP_2) | instskip(NEXT) | instid1(VALU_DEP_2)
	v_mul_lo_u32 v7, v6, s40
	v_mul_lo_u32 v5, v3, s39
	s_delay_alu instid0(VALU_DEP_1) | instskip(SKIP_2) | instid1(VALU_DEP_3)
	v_sub_nc_u32_e32 v4, v4, v5
	v_mul_lo_u32 v5, v6, s41
	v_mul_lo_u32 v6, v6, s42
	;; [unrolled: 1-line block ×3, first 2 shown]
	s_waitcnt lgkmcnt(0)
	v_mul_lo_u32 v9, v4, s36
	v_mul_lo_u32 v4, v4, s37
	s_delay_alu instid0(VALU_DEP_3) | instskip(NEXT) | instid1(VALU_DEP_3)
	v_add3_u32 v0, v7, v0, v8
	v_add3_u32 v2, v5, v2, v9
	s_delay_alu instid0(VALU_DEP_3)
	v_add3_u32 v1, v6, v1, v4
	s_cbranch_scc0 .LBB173_154
; %bb.155:
	s_set_inst_prefetch_distance 0x2
	s_bitcmp1_b32 s28, 0
	s_cselect_b32 s34, -1, 0
	s_delay_alu instid0(SALU_CYCLE_1)
	s_and_b32 vcc_lo, exec_lo, s34
	s_cbranch_vccnz .LBB173_166
; %bb.156:
	s_clause 0x3
	s_load_b64 s[34:35], s[20:21], 0x18
	s_load_b32 s38, s[20:21], 0x20
	s_load_b64 s[36:37], s[20:21], 0xd8
	s_load_b32 s20, s[20:21], 0xe0
	s_waitcnt lgkmcnt(0)
	v_mul_hi_u32 v4, s35, v3
	s_delay_alu instid0(VALU_DEP_1) | instskip(NEXT) | instid1(VALU_DEP_1)
	v_add_nc_u32_e32 v4, v3, v4
	v_lshrrev_b32_e32 v4, s38, v4
	s_delay_alu instid0(VALU_DEP_1) | instskip(NEXT) | instid1(VALU_DEP_1)
	v_mul_lo_u32 v4, v4, s34
	v_sub_nc_u32_e32 v7, v3, v4
	s_delay_alu instid0(VALU_DEP_1) | instskip(NEXT) | instid1(VALU_DEP_1)
	v_mad_u64_u32 v[3:4], null, v7, s36, v[0:1]
	v_mad_u64_u32 v[4:5], null, v7, s37, v[2:3]
	v_mad_u64_u32 v[5:6], null, v7, s20, v[1:2]
	v_mov_b32_e32 v0, v3
	s_delay_alu instid0(VALU_DEP_2)
	v_dual_mov_b32 v2, v4 :: v_dual_mov_b32 v1, v5
	s_branch .LBB173_166
.LBB173_157:
	s_mov_b32 s33, -1
                                        ; implicit-def: $vgpr0
                                        ; implicit-def: $vgpr2
                                        ; implicit-def: $vgpr1
.LBB173_158:
	s_delay_alu instid0(SALU_CYCLE_1)
	s_and_not1_b32 vcc_lo, exec_lo, s33
	s_cbranch_vccnz .LBB173_161
; %bb.159:
	s_waitcnt lgkmcnt(0)
	v_mul_hi_u32 v0, s13, v18
	s_and_not1_b32 vcc_lo, exec_lo, s27
	s_delay_alu instid0(VALU_DEP_1) | instskip(NEXT) | instid1(VALU_DEP_1)
	v_add_nc_u32_e32 v0, v18, v0
	v_lshrrev_b32_e32 v3, s14, v0
	s_delay_alu instid0(VALU_DEP_1) | instskip(NEXT) | instid1(VALU_DEP_1)
	v_mul_lo_u32 v0, v3, s12
	v_sub_nc_u32_e32 v1, v18, v0
	s_delay_alu instid0(VALU_DEP_1)
	v_mul_lo_u32 v0, v1, s8
	v_mul_lo_u32 v2, v1, s9
	;; [unrolled: 1-line block ×3, first 2 shown]
	s_cbranch_vccnz .LBB173_161
; %bb.160:
	v_mul_hi_u32 v4, s18, v3
	s_delay_alu instid0(VALU_DEP_1) | instskip(NEXT) | instid1(VALU_DEP_1)
	v_add_nc_u32_e32 v4, v3, v4
	v_lshrrev_b32_e32 v4, s19, v4
	s_delay_alu instid0(VALU_DEP_1) | instskip(NEXT) | instid1(VALU_DEP_1)
	v_mul_lo_u32 v4, v4, s15
	v_sub_nc_u32_e32 v7, v3, v4
	s_delay_alu instid0(VALU_DEP_1) | instskip(NEXT) | instid1(VALU_DEP_1)
	v_mad_u64_u32 v[3:4], null, v7, s11, v[0:1]
	v_mad_u64_u32 v[4:5], null, v7, s16, v[2:3]
	;; [unrolled: 1-line block ×3, first 2 shown]
	v_mov_b32_e32 v0, v3
	s_delay_alu instid0(VALU_DEP_2)
	v_dual_mov_b32 v2, v4 :: v_dual_mov_b32 v1, v5
.LBB173_161:
	s_waitcnt lgkmcnt(0)
	global_load_u8 v1, v1, s[2:3]
	global_load_u16 v2, v2, s[6:7]
	v_add_nc_u32_e32 v18, 0x80, v18
	s_waitcnt vmcnt(1)
	v_cvt_f32_ubyte0_e32 v1, v1
	s_waitcnt vmcnt(0)
	v_lshlrev_b32_e32 v2, 16, v2
	s_delay_alu instid0(VALU_DEP_1) | instskip(NEXT) | instid1(VALU_DEP_1)
	v_mul_f32_e32 v1, v1, v2
	v_mul_f32_e32 v1, s26, v1
	s_delay_alu instid0(VALU_DEP_1) | instskip(SKIP_1) | instid1(VALU_DEP_2)
	v_bfe_u32 v2, v1, 16, 1
	v_cmp_o_f32_e32 vcc_lo, v1, v1
	v_add3_u32 v2, v1, v2, 0x7fff
	s_delay_alu instid0(VALU_DEP_1) | instskip(NEXT) | instid1(VALU_DEP_1)
	v_lshrrev_b32_e32 v2, 16, v2
	v_cndmask_b32_e32 v1, 0x7fc0, v2, vcc_lo
	global_store_b16 v0, v1, s[4:5]
	s_or_b32 exec_lo, exec_lo, s31
	s_delay_alu instid0(SALU_CYCLE_1)
	s_mov_b32 s31, exec_lo
	v_cmpx_gt_i32_e64 s29, v18
	s_cbranch_execnz .LBB173_151
.LBB173_162:
	s_or_b32 exec_lo, exec_lo, s31
	v_cmp_gt_i32_e32 vcc_lo, s29, v18
	s_and_saveexec_b32 s29, vcc_lo
	s_cbranch_execnz .LBB173_170
.LBB173_163:
	s_or_b32 exec_lo, exec_lo, s29
                                        ; implicit-def: $vgpr24
                                        ; implicit-def: $vgpr18
	s_waitcnt lgkmcnt(0)
	s_and_not1_saveexec_b32 s2, s25
	s_cbranch_execnz .LBB173_9
.LBB173_164:
	s_nop 0
	s_sendmsg sendmsg(MSG_DEALLOC_VGPRS)
	s_endpgm
.LBB173_165:
	s_mov_b32 s33, -1
                                        ; implicit-def: $vgpr0
                                        ; implicit-def: $vgpr2
                                        ; implicit-def: $vgpr1
.LBB173_166:
	s_delay_alu instid0(SALU_CYCLE_1)
	s_and_not1_b32 vcc_lo, exec_lo, s33
	s_cbranch_vccnz .LBB173_169
; %bb.167:
	s_waitcnt lgkmcnt(0)
	v_mul_hi_u32 v0, s13, v18
	s_and_not1_b32 vcc_lo, exec_lo, s27
	s_delay_alu instid0(VALU_DEP_1) | instskip(NEXT) | instid1(VALU_DEP_1)
	v_add_nc_u32_e32 v0, v18, v0
	v_lshrrev_b32_e32 v3, s14, v0
	s_delay_alu instid0(VALU_DEP_1) | instskip(NEXT) | instid1(VALU_DEP_1)
	v_mul_lo_u32 v0, v3, s12
	v_sub_nc_u32_e32 v1, v18, v0
	s_delay_alu instid0(VALU_DEP_1)
	v_mul_lo_u32 v0, v1, s8
	v_mul_lo_u32 v2, v1, s9
	;; [unrolled: 1-line block ×3, first 2 shown]
	s_cbranch_vccnz .LBB173_169
; %bb.168:
	v_mul_hi_u32 v4, s18, v3
	s_delay_alu instid0(VALU_DEP_1) | instskip(NEXT) | instid1(VALU_DEP_1)
	v_add_nc_u32_e32 v4, v3, v4
	v_lshrrev_b32_e32 v4, s19, v4
	s_delay_alu instid0(VALU_DEP_1) | instskip(NEXT) | instid1(VALU_DEP_1)
	v_mul_lo_u32 v4, v4, s15
	v_sub_nc_u32_e32 v7, v3, v4
	s_delay_alu instid0(VALU_DEP_1) | instskip(NEXT) | instid1(VALU_DEP_1)
	v_mad_u64_u32 v[3:4], null, v7, s11, v[0:1]
	v_mad_u64_u32 v[4:5], null, v7, s16, v[2:3]
	;; [unrolled: 1-line block ×3, first 2 shown]
	v_mov_b32_e32 v0, v3
	s_delay_alu instid0(VALU_DEP_2)
	v_dual_mov_b32 v2, v4 :: v_dual_mov_b32 v1, v5
.LBB173_169:
	s_waitcnt lgkmcnt(0)
	global_load_u8 v1, v1, s[2:3]
	global_load_u16 v2, v2, s[6:7]
	v_add_nc_u32_e32 v18, 0x80, v18
	s_waitcnt vmcnt(1)
	v_cvt_f32_ubyte0_e32 v1, v1
	s_waitcnt vmcnt(0)
	v_lshlrev_b32_e32 v2, 16, v2
	s_delay_alu instid0(VALU_DEP_1) | instskip(NEXT) | instid1(VALU_DEP_1)
	v_mul_f32_e32 v1, v1, v2
	v_mul_f32_e32 v1, s26, v1
	s_delay_alu instid0(VALU_DEP_1) | instskip(SKIP_1) | instid1(VALU_DEP_2)
	v_bfe_u32 v2, v1, 16, 1
	v_cmp_o_f32_e32 vcc_lo, v1, v1
	v_add3_u32 v2, v1, v2, 0x7fff
	s_delay_alu instid0(VALU_DEP_1) | instskip(NEXT) | instid1(VALU_DEP_1)
	v_lshrrev_b32_e32 v2, 16, v2
	v_cndmask_b32_e32 v1, 0x7fc0, v2, vcc_lo
	global_store_b16 v0, v1, s[4:5]
	s_or_b32 exec_lo, exec_lo, s31
	v_cmp_gt_i32_e32 vcc_lo, s29, v18
	s_and_saveexec_b32 s29, vcc_lo
	s_cbranch_execz .LBB173_163
.LBB173_170:
	s_and_not1_b32 vcc_lo, exec_lo, s24
	s_cbranch_vccnz .LBB173_176
; %bb.171:
	v_dual_mov_b32 v0, 0 :: v_dual_mov_b32 v1, 0
	v_mov_b32_e32 v2, 0
	s_and_not1_b32 vcc_lo, exec_lo, s30
	s_mov_b32 s30, 0
	s_cbranch_vccnz .LBB173_177
; %bb.172:
	s_add_i32 s20, s28, 1
	v_dual_mov_b32 v1, 0 :: v_dual_mov_b32 v2, 0
	v_dual_mov_b32 v0, 0 :: v_dual_mov_b32 v3, v18
	s_and_b32 s31, s20, 30
	s_add_u32 s20, s0, 0xffffffec
	s_addc_u32 s21, s1, -1
	s_set_inst_prefetch_distance 0x1
	.p2align	6
.LBB173_173:                            ; =>This Inner Loop Header: Depth=1
	s_clause 0x2
	s_load_b128 s[36:39], s[20:21], 0x18
	s_load_b64 s[34:35], s[20:21], 0x28
	s_load_b128 s[40:43], s[20:21], 0xd8
	s_waitcnt lgkmcnt(0)
	v_mul_hi_u32 v4, s37, v3
	s_delay_alu instid0(VALU_DEP_1) | instskip(NEXT) | instid1(VALU_DEP_1)
	v_add_nc_u32_e32 v4, v3, v4
	v_lshrrev_b32_e32 v4, s38, v4
	s_delay_alu instid0(VALU_DEP_1)
	v_mul_hi_u32 v5, s34, v4
	v_mul_lo_u32 v6, v4, s36
	s_load_b64 s[36:37], s[20:21], 0xe8
	s_add_u32 s20, s20, 24
	s_addc_u32 s21, s21, 0
	s_add_i32 s31, s31, -2
	s_delay_alu instid0(SALU_CYCLE_1) | instskip(NEXT) | instid1(VALU_DEP_2)
	s_cmp_eq_u32 s31, 0
	v_add_nc_u32_e32 v5, v4, v5
	s_delay_alu instid0(VALU_DEP_2) | instskip(NEXT) | instid1(VALU_DEP_2)
	v_sub_nc_u32_e32 v6, v3, v6
	v_lshrrev_b32_e32 v3, s35, v5
	s_delay_alu instid0(VALU_DEP_2) | instskip(NEXT) | instid1(VALU_DEP_2)
	v_mul_lo_u32 v7, v6, s40
	v_mul_lo_u32 v5, v3, s39
	s_delay_alu instid0(VALU_DEP_1) | instskip(SKIP_2) | instid1(VALU_DEP_3)
	v_sub_nc_u32_e32 v4, v4, v5
	v_mul_lo_u32 v5, v6, s41
	v_mul_lo_u32 v6, v6, s42
	;; [unrolled: 1-line block ×3, first 2 shown]
	s_waitcnt lgkmcnt(0)
	v_mul_lo_u32 v9, v4, s36
	v_mul_lo_u32 v4, v4, s37
	s_delay_alu instid0(VALU_DEP_3) | instskip(NEXT) | instid1(VALU_DEP_3)
	v_add3_u32 v0, v7, v0, v8
	v_add3_u32 v2, v5, v2, v9
	s_delay_alu instid0(VALU_DEP_3)
	v_add3_u32 v1, v6, v1, v4
	s_cbranch_scc0 .LBB173_173
; %bb.174:
	s_set_inst_prefetch_distance 0x2
	s_bitcmp1_b32 s28, 0
	s_cselect_b32 s28, -1, 0
	s_delay_alu instid0(SALU_CYCLE_1)
	s_and_b32 vcc_lo, exec_lo, s28
	s_cbranch_vccnz .LBB173_177
; %bb.175:
	s_clause 0x3
	s_load_b64 s[34:35], s[20:21], 0x18
	s_load_b32 s28, s[20:21], 0x20
	s_load_b64 s[36:37], s[20:21], 0xd8
	s_load_b32 s20, s[20:21], 0xe0
	s_waitcnt lgkmcnt(0)
	v_mul_hi_u32 v4, s35, v3
	s_delay_alu instid0(VALU_DEP_1) | instskip(NEXT) | instid1(VALU_DEP_1)
	v_add_nc_u32_e32 v4, v3, v4
	v_lshrrev_b32_e32 v4, s28, v4
	s_delay_alu instid0(VALU_DEP_1) | instskip(NEXT) | instid1(VALU_DEP_1)
	v_mul_lo_u32 v4, v4, s34
	v_sub_nc_u32_e32 v7, v3, v4
	s_delay_alu instid0(VALU_DEP_1) | instskip(NEXT) | instid1(VALU_DEP_1)
	v_mad_u64_u32 v[3:4], null, v7, s36, v[0:1]
	v_mad_u64_u32 v[4:5], null, v7, s37, v[2:3]
	;; [unrolled: 1-line block ×3, first 2 shown]
	v_mov_b32_e32 v0, v3
	s_delay_alu instid0(VALU_DEP_2)
	v_dual_mov_b32 v2, v4 :: v_dual_mov_b32 v1, v5
	s_branch .LBB173_177
.LBB173_176:
	s_mov_b32 s30, -1
                                        ; implicit-def: $vgpr0
                                        ; implicit-def: $vgpr2
                                        ; implicit-def: $vgpr1
.LBB173_177:
	s_delay_alu instid0(SALU_CYCLE_1)
	s_and_not1_b32 vcc_lo, exec_lo, s30
	s_cbranch_vccnz .LBB173_180
; %bb.178:
	s_waitcnt lgkmcnt(0)
	v_mul_hi_u32 v0, s13, v18
	s_and_not1_b32 vcc_lo, exec_lo, s27
	s_delay_alu instid0(VALU_DEP_1) | instskip(NEXT) | instid1(VALU_DEP_1)
	v_add_nc_u32_e32 v0, v18, v0
	v_lshrrev_b32_e32 v3, s14, v0
	s_delay_alu instid0(VALU_DEP_1) | instskip(NEXT) | instid1(VALU_DEP_1)
	v_mul_lo_u32 v0, v3, s12
	v_sub_nc_u32_e32 v1, v18, v0
	s_delay_alu instid0(VALU_DEP_1)
	v_mul_lo_u32 v0, v1, s8
	v_mul_lo_u32 v2, v1, s9
	;; [unrolled: 1-line block ×3, first 2 shown]
	s_cbranch_vccnz .LBB173_180
; %bb.179:
	v_mul_hi_u32 v4, s18, v3
	s_delay_alu instid0(VALU_DEP_1) | instskip(NEXT) | instid1(VALU_DEP_1)
	v_add_nc_u32_e32 v4, v3, v4
	v_lshrrev_b32_e32 v4, s19, v4
	s_delay_alu instid0(VALU_DEP_1) | instskip(NEXT) | instid1(VALU_DEP_1)
	v_mul_lo_u32 v4, v4, s15
	v_sub_nc_u32_e32 v7, v3, v4
	s_delay_alu instid0(VALU_DEP_1) | instskip(NEXT) | instid1(VALU_DEP_1)
	v_mad_u64_u32 v[3:4], null, v7, s11, v[0:1]
	v_mad_u64_u32 v[4:5], null, v7, s16, v[2:3]
	;; [unrolled: 1-line block ×3, first 2 shown]
	v_mov_b32_e32 v0, v3
	s_delay_alu instid0(VALU_DEP_2)
	v_dual_mov_b32 v2, v4 :: v_dual_mov_b32 v1, v5
.LBB173_180:
	s_waitcnt lgkmcnt(0)
	global_load_u8 v1, v1, s[2:3]
	global_load_u16 v2, v2, s[6:7]
	s_waitcnt vmcnt(1)
	v_cvt_f32_ubyte0_e32 v1, v1
	s_waitcnt vmcnt(0)
	v_lshlrev_b32_e32 v2, 16, v2
	s_delay_alu instid0(VALU_DEP_1) | instskip(NEXT) | instid1(VALU_DEP_1)
	v_mul_f32_e32 v1, v1, v2
	v_mul_f32_e32 v1, s26, v1
	s_delay_alu instid0(VALU_DEP_1) | instskip(SKIP_1) | instid1(VALU_DEP_2)
	v_bfe_u32 v2, v1, 16, 1
	v_cmp_o_f32_e32 vcc_lo, v1, v1
	v_add3_u32 v2, v1, v2, 0x7fff
	s_delay_alu instid0(VALU_DEP_1) | instskip(NEXT) | instid1(VALU_DEP_1)
	v_lshrrev_b32_e32 v2, 16, v2
	v_cndmask_b32_e32 v1, 0x7fc0, v2, vcc_lo
	global_store_b16 v0, v1, s[4:5]
	s_or_b32 exec_lo, exec_lo, s29
                                        ; implicit-def: $vgpr24
                                        ; implicit-def: $vgpr18
	s_and_not1_saveexec_b32 s2, s25
	s_cbranch_execz .LBB173_164
	s_branch .LBB173_9
	.section	.rodata,"a",@progbits
	.p2align	6, 0x0
	.amdhsa_kernel _ZN2at6native32elementwise_kernel_manual_unrollILi128ELi8EZNS0_22gpu_kernel_impl_nocastIZNS0_12_GLOBAL__N_119masked_scale_kernelIhN3c108BFloat16EfEEvRNS_6TensorERKS7_SA_T1_EUlS6_hE_EEvRNS_18TensorIteratorBaseERKT_EUlibE_EEviSB_
		.amdhsa_group_segment_fixed_size 0
		.amdhsa_private_segment_fixed_size 0
		.amdhsa_kernarg_size 432
		.amdhsa_user_sgpr_count 15
		.amdhsa_user_sgpr_dispatch_ptr 0
		.amdhsa_user_sgpr_queue_ptr 0
		.amdhsa_user_sgpr_kernarg_segment_ptr 1
		.amdhsa_user_sgpr_dispatch_id 0
		.amdhsa_user_sgpr_private_segment_size 0
		.amdhsa_wavefront_size32 1
		.amdhsa_uses_dynamic_stack 0
		.amdhsa_enable_private_segment 0
		.amdhsa_system_sgpr_workgroup_id_x 1
		.amdhsa_system_sgpr_workgroup_id_y 0
		.amdhsa_system_sgpr_workgroup_id_z 0
		.amdhsa_system_sgpr_workgroup_info 0
		.amdhsa_system_vgpr_workitem_id 0
		.amdhsa_next_free_vgpr 32
		.amdhsa_next_free_sgpr 46
		.amdhsa_reserve_vcc 1
		.amdhsa_float_round_mode_32 0
		.amdhsa_float_round_mode_16_64 0
		.amdhsa_float_denorm_mode_32 3
		.amdhsa_float_denorm_mode_16_64 3
		.amdhsa_dx10_clamp 1
		.amdhsa_ieee_mode 1
		.amdhsa_fp16_overflow 0
		.amdhsa_workgroup_processor_mode 1
		.amdhsa_memory_ordered 1
		.amdhsa_forward_progress 0
		.amdhsa_shared_vgpr_count 0
		.amdhsa_exception_fp_ieee_invalid_op 0
		.amdhsa_exception_fp_denorm_src 0
		.amdhsa_exception_fp_ieee_div_zero 0
		.amdhsa_exception_fp_ieee_overflow 0
		.amdhsa_exception_fp_ieee_underflow 0
		.amdhsa_exception_fp_ieee_inexact 0
		.amdhsa_exception_int_div_zero 0
	.end_amdhsa_kernel
	.section	.text._ZN2at6native32elementwise_kernel_manual_unrollILi128ELi8EZNS0_22gpu_kernel_impl_nocastIZNS0_12_GLOBAL__N_119masked_scale_kernelIhN3c108BFloat16EfEEvRNS_6TensorERKS7_SA_T1_EUlS6_hE_EEvRNS_18TensorIteratorBaseERKT_EUlibE_EEviSB_,"axG",@progbits,_ZN2at6native32elementwise_kernel_manual_unrollILi128ELi8EZNS0_22gpu_kernel_impl_nocastIZNS0_12_GLOBAL__N_119masked_scale_kernelIhN3c108BFloat16EfEEvRNS_6TensorERKS7_SA_T1_EUlS6_hE_EEvRNS_18TensorIteratorBaseERKT_EUlibE_EEviSB_,comdat
.Lfunc_end173:
	.size	_ZN2at6native32elementwise_kernel_manual_unrollILi128ELi8EZNS0_22gpu_kernel_impl_nocastIZNS0_12_GLOBAL__N_119masked_scale_kernelIhN3c108BFloat16EfEEvRNS_6TensorERKS7_SA_T1_EUlS6_hE_EEvRNS_18TensorIteratorBaseERKT_EUlibE_EEviSB_, .Lfunc_end173-_ZN2at6native32elementwise_kernel_manual_unrollILi128ELi8EZNS0_22gpu_kernel_impl_nocastIZNS0_12_GLOBAL__N_119masked_scale_kernelIhN3c108BFloat16EfEEvRNS_6TensorERKS7_SA_T1_EUlS6_hE_EEvRNS_18TensorIteratorBaseERKT_EUlibE_EEviSB_
                                        ; -- End function
	.section	.AMDGPU.csdata,"",@progbits
; Kernel info:
; codeLenInByte = 12408
; NumSgprs: 48
; NumVgprs: 32
; ScratchSize: 0
; MemoryBound: 0
; FloatMode: 240
; IeeeMode: 1
; LDSByteSize: 0 bytes/workgroup (compile time only)
; SGPRBlocks: 5
; VGPRBlocks: 3
; NumSGPRsForWavesPerEU: 48
; NumVGPRsForWavesPerEU: 32
; Occupancy: 16
; WaveLimiterHint : 1
; COMPUTE_PGM_RSRC2:SCRATCH_EN: 0
; COMPUTE_PGM_RSRC2:USER_SGPR: 15
; COMPUTE_PGM_RSRC2:TRAP_HANDLER: 0
; COMPUTE_PGM_RSRC2:TGID_X_EN: 1
; COMPUTE_PGM_RSRC2:TGID_Y_EN: 0
; COMPUTE_PGM_RSRC2:TGID_Z_EN: 0
; COMPUTE_PGM_RSRC2:TIDIG_COMP_CNT: 0
	.section	.text._ZN2at6native32elementwise_kernel_manual_unrollILi128ELi4EZNS0_15gpu_kernel_implIZNS0_12_GLOBAL__N_119masked_scale_kernelIhN3c108BFloat16EfEEvRNS_6TensorERKS7_SA_T1_EUlS6_hE_EEvRNS_18TensorIteratorBaseERKT_EUlibE_EEviSB_,"axG",@progbits,_ZN2at6native32elementwise_kernel_manual_unrollILi128ELi4EZNS0_15gpu_kernel_implIZNS0_12_GLOBAL__N_119masked_scale_kernelIhN3c108BFloat16EfEEvRNS_6TensorERKS7_SA_T1_EUlS6_hE_EEvRNS_18TensorIteratorBaseERKT_EUlibE_EEviSB_,comdat
	.globl	_ZN2at6native32elementwise_kernel_manual_unrollILi128ELi4EZNS0_15gpu_kernel_implIZNS0_12_GLOBAL__N_119masked_scale_kernelIhN3c108BFloat16EfEEvRNS_6TensorERKS7_SA_T1_EUlS6_hE_EEvRNS_18TensorIteratorBaseERKT_EUlibE_EEviSB_ ; -- Begin function _ZN2at6native32elementwise_kernel_manual_unrollILi128ELi4EZNS0_15gpu_kernel_implIZNS0_12_GLOBAL__N_119masked_scale_kernelIhN3c108BFloat16EfEEvRNS_6TensorERKS7_SA_T1_EUlS6_hE_EEvRNS_18TensorIteratorBaseERKT_EUlibE_EEviSB_
	.p2align	8
	.type	_ZN2at6native32elementwise_kernel_manual_unrollILi128ELi4EZNS0_15gpu_kernel_implIZNS0_12_GLOBAL__N_119masked_scale_kernelIhN3c108BFloat16EfEEvRNS_6TensorERKS7_SA_T1_EUlS6_hE_EEvRNS_18TensorIteratorBaseERKT_EUlibE_EEviSB_,@function
_ZN2at6native32elementwise_kernel_manual_unrollILi128ELi4EZNS0_15gpu_kernel_implIZNS0_12_GLOBAL__N_119masked_scale_kernelIhN3c108BFloat16EfEEvRNS_6TensorERKS7_SA_T1_EUlS6_hE_EEvRNS_18TensorIteratorBaseERKT_EUlibE_EEviSB_: ; @_ZN2at6native32elementwise_kernel_manual_unrollILi128ELi4EZNS0_15gpu_kernel_implIZNS0_12_GLOBAL__N_119masked_scale_kernelIhN3c108BFloat16EfEEvRNS_6TensorERKS7_SA_T1_EUlS6_hE_EEvRNS_18TensorIteratorBaseERKT_EUlibE_EEviSB_
; %bb.0:
	s_clause 0x4
	s_load_b32 s12, s[0:1], 0x30
	s_load_b32 s17, s[0:1], 0x0
	s_load_b128 s[4:7], s[0:1], 0x8
	s_load_b64 s[2:3], s[0:1], 0x18
	s_load_b128 s[8:11], s[0:1], 0x20
	v_lshl_or_b32 v7, s15, 9, v0
	s_mov_b32 s13, 0
	s_mov_b32 s16, 0
	s_mov_b32 s0, exec_lo
	s_delay_alu instid0(VALU_DEP_1) | instskip(SKIP_3) | instid1(VALU_DEP_1)
	v_or_b32_e32 v0, 0x180, v7
	s_waitcnt lgkmcnt(0)
	s_lshr_b32 s14, s12, 8
	s_lshr_b32 s1, s12, 16
	v_cmpx_le_i32_e64 s17, v0
	s_xor_b32 s15, exec_lo, s0
	s_cbranch_execz .LBB174_1536
; %bb.1:
	s_mov_b32 s23, -1
	s_mov_b32 s21, 0
	s_mov_b32 s19, 0
	;; [unrolled: 1-line block ×3, first 2 shown]
	s_mov_b32 s20, exec_lo
	v_cmpx_gt_i32_e64 s17, v7
	s_cbranch_execz .LBB174_378
; %bb.2:
	v_mul_lo_u32 v0, v7, s9
	v_and_b32_e64 v2, 0xff, s14
	s_delay_alu instid0(VALU_DEP_1) | instskip(NEXT) | instid1(VALU_DEP_3)
	v_cmp_gt_i16_e32 vcc_lo, 11, v2
	v_ashrrev_i32_e32 v1, 31, v0
	v_add_co_u32 v0, s0, s6, v0
	s_delay_alu instid0(VALU_DEP_1)
	v_add_co_ci_u32_e64 v1, s0, s7, v1, s0
	s_cbranch_vccnz .LBB174_9
; %bb.3:
	v_cmp_lt_i16_e32 vcc_lo, 25, v2
	s_cbranch_vccz .LBB174_18
; %bb.4:
	v_cmp_lt_i16_e32 vcc_lo, 28, v2
	s_cbranch_vccz .LBB174_28
	;; [unrolled: 3-line block ×4, first 2 shown]
; %bb.7:
	v_cmp_eq_u16_e32 vcc_lo, 46, v2
	s_cbranch_vccz .LBB174_37
; %bb.8:
	global_load_b32 v4, v[0:1], off
	s_mov_b32 s0, -1
	s_branch .LBB174_39
.LBB174_9:
	s_mov_b32 s0, 0
                                        ; implicit-def: $vgpr4
	s_cbranch_execnz .LBB174_105
.LBB174_10:
	s_and_not1_b32 vcc_lo, exec_lo, s0
	s_cbranch_vccnz .LBB174_152
.LBB174_11:
	v_mul_lo_u32 v0, v7, s10
	v_and_b32_e64 v5, 0xff, s1
	s_delay_alu instid0(VALU_DEP_1) | instskip(NEXT) | instid1(VALU_DEP_3)
	v_cmp_gt_i16_e32 vcc_lo, 11, v5
	v_ashrrev_i32_e32 v1, 31, v0
	v_add_co_u32 v0, s0, s2, v0
	s_delay_alu instid0(VALU_DEP_1)
	v_add_co_ci_u32_e64 v1, s0, s3, v1, s0
	s_cbranch_vccnz .LBB174_19
; %bb.12:
	v_cmp_lt_i16_e32 vcc_lo, 25, v5
	s_cbranch_vccz .LBB174_29
; %bb.13:
	v_cmp_lt_i16_e32 vcc_lo, 28, v5
	s_cbranch_vccz .LBB174_32
	;; [unrolled: 3-line block ×4, first 2 shown]
; %bb.16:
	v_cmp_eq_u16_e32 vcc_lo, 46, v5
	s_mov_b32 s16, 0
	s_cbranch_vccz .LBB174_153
; %bb.17:
	global_load_b32 v2, v[0:1], off
	s_mov_b32 s0, -1
	s_mov_b32 s18, 0
	s_waitcnt vmcnt(0)
	v_lshlrev_b32_e32 v2, 16, v2
	s_delay_alu instid0(VALU_DEP_1) | instskip(NEXT) | instid1(VALU_DEP_1)
	v_trunc_f32_e32 v2, v2
	v_mul_f32_e64 v3, 0x2f800000, |v2|
	s_delay_alu instid0(VALU_DEP_1) | instskip(NEXT) | instid1(VALU_DEP_1)
	v_floor_f32_e32 v3, v3
	v_fma_f32 v3, 0xcf800000, v3, |v2|
	v_ashrrev_i32_e32 v2, 31, v2
	s_delay_alu instid0(VALU_DEP_2) | instskip(NEXT) | instid1(VALU_DEP_1)
	v_cvt_u32_f32_e32 v3, v3
	v_xor_b32_e32 v3, v3, v2
	s_delay_alu instid0(VALU_DEP_1)
	v_sub_nc_u32_e32 v2, v3, v2
	s_branch .LBB174_155
.LBB174_18:
	s_mov_b32 s0, 0
                                        ; implicit-def: $vgpr4
	s_cbranch_execnz .LBB174_70
	s_branch .LBB174_104
.LBB174_19:
	s_mov_b32 s18, 0
	s_mov_b32 s0, 0
                                        ; implicit-def: $vgpr2
	s_cbranch_execnz .LBB174_327
.LBB174_20:
	s_and_not1_b32 vcc_lo, exec_lo, s0
	s_cbranch_vccnz .LBB174_375
.LBB174_21:
	s_waitcnt vmcnt(0)
	s_delay_alu instid0(VALU_DEP_1) | instskip(SKIP_2) | instid1(VALU_DEP_2)
	v_cvt_f32_ubyte0_e32 v0, v2
	v_lshlrev_b32_e32 v1, 16, v4
	v_and_b32_e64 v3, 0xff, s12
	v_mul_f32_e32 v0, v1, v0
	v_mul_lo_u32 v1, v7, s8
	s_delay_alu instid0(VALU_DEP_3) | instskip(NEXT) | instid1(VALU_DEP_3)
	v_cmp_gt_i16_e32 vcc_lo, 11, v3
	v_mul_f32_e32 v2, s11, v0
	s_and_b32 vcc_lo, exec_lo, vcc_lo
	s_delay_alu instid0(VALU_DEP_3) | instskip(NEXT) | instid1(VALU_DEP_2)
	v_ashrrev_i32_e32 v4, 31, v1
	v_bfe_u32 v0, v2, 16, 1
	s_delay_alu instid0(VALU_DEP_1) | instskip(NEXT) | instid1(VALU_DEP_1)
	v_add3_u32 v0, v2, v0, 0x7fff
	v_lshrrev_b32_e32 v5, 16, v0
	v_add_co_u32 v0, s0, s4, v1
	s_delay_alu instid0(VALU_DEP_1) | instskip(SKIP_1) | instid1(VALU_DEP_1)
	v_add_co_ci_u32_e64 v1, s0, s5, v4, s0
	v_cmp_o_f32_e64 s0, v2, v2
	v_cndmask_b32_e64 v2, 0x7fc0, v5, s0
	s_cbranch_vccnz .LBB174_30
; %bb.22:
	v_cmp_lt_i16_e32 vcc_lo, 25, v3
	s_cbranch_vccz .LBB174_33
; %bb.23:
	v_cmp_lt_i16_e32 vcc_lo, 28, v3
	s_cbranch_vccz .LBB174_36
	;; [unrolled: 3-line block ×4, first 2 shown]
; %bb.26:
	v_cmp_eq_u16_e32 vcc_lo, 46, v3
	s_mov_b32 s22, 0
	s_mov_b32 s0, -1
	s_mov_b32 s16, 0
	s_cbranch_vccz .LBB174_159
; %bb.27:
	v_and_b32_e32 v4, 0xffff, v2
	s_mov_b32 s16, -1
	s_mov_b32 s0, 0
	global_store_b32 v[0:1], v4, off
	s_branch .LBB174_159
.LBB174_28:
	s_mov_b32 s16, -1
	s_mov_b32 s0, 0
                                        ; implicit-def: $vgpr4
	s_branch .LBB174_51
.LBB174_29:
	s_mov_b32 s16, -1
	s_mov_b32 s18, 0
	s_mov_b32 s0, 0
                                        ; implicit-def: $vgpr2
	s_branch .LBB174_293
.LBB174_30:
	s_mov_b32 s22, -1
	s_mov_b32 s0, 0
	s_mov_b32 s16, 0
	s_branch .LBB174_228
.LBB174_31:
	s_mov_b32 s16, -1
	s_mov_b32 s0, 0
                                        ; implicit-def: $vgpr4
	s_branch .LBB174_46
.LBB174_32:
	s_mov_b32 s16, -1
	s_mov_b32 s18, 0
	s_mov_b32 s0, 0
                                        ; implicit-def: $vgpr2
	s_branch .LBB174_276
.LBB174_33:
	s_mov_b32 s22, -1
	s_mov_b32 s0, 0
	s_mov_b32 s16, 0
	s_branch .LBB174_186
.LBB174_34:
	s_mov_b32 s16, -1
	s_branch .LBB174_38
.LBB174_35:
	s_mov_b32 s16, -1
	s_mov_b32 s18, 0
	s_mov_b32 s0, 0
                                        ; implicit-def: $vgpr2
	s_branch .LBB174_271
.LBB174_36:
	s_mov_b32 s22, -1
	s_mov_b32 s0, 0
	s_mov_b32 s16, 0
	s_branch .LBB174_169
.LBB174_37:
	s_mov_b32 s19, -1
.LBB174_38:
	s_mov_b32 s0, 0
                                        ; implicit-def: $vgpr4
.LBB174_39:
	s_and_b32 vcc_lo, exec_lo, s16
	s_cbranch_vccz .LBB174_45
; %bb.40:
	v_cmp_eq_u16_e32 vcc_lo, 44, v2
	s_cbranch_vccz .LBB174_44
; %bb.41:
	global_load_u8 v3, v[0:1], off
	s_mov_b32 s19, 0
	s_mov_b32 s0, -1
	s_waitcnt vmcnt(0)
	v_lshlrev_b32_e32 v4, 23, v3
	v_cmp_ne_u32_e32 vcc_lo, 0xff, v3
	s_delay_alu instid0(VALU_DEP_2) | instskip(SKIP_1) | instid1(VALU_DEP_2)
	v_cndmask_b32_e32 v4, 0x7f800001, v4, vcc_lo
	v_cmp_ne_u32_e32 vcc_lo, 0, v3
	v_cndmask_b32_e32 v3, 0x400000, v4, vcc_lo
	s_delay_alu instid0(VALU_DEP_1) | instskip(SKIP_1) | instid1(VALU_DEP_2)
	v_add_nc_u32_e32 v4, 0x7fff, v3
	v_cmp_o_f32_e32 vcc_lo, v3, v3
	v_lshrrev_b32_e32 v4, 16, v4
	s_delay_alu instid0(VALU_DEP_1)
	v_cndmask_b32_e32 v4, 0x7fc0, v4, vcc_lo
	s_branch .LBB174_45
.LBB174_42:
	s_mov_b32 s16, -1
	s_mov_b32 s18, 0
	s_branch .LBB174_154
.LBB174_43:
	s_mov_b32 s22, -1
	s_mov_b32 s0, 0
	s_mov_b32 s16, 0
	s_branch .LBB174_165
.LBB174_44:
	s_mov_b32 s19, -1
                                        ; implicit-def: $vgpr4
.LBB174_45:
	s_mov_b32 s16, 0
.LBB174_46:
	s_delay_alu instid0(SALU_CYCLE_1)
	s_and_b32 vcc_lo, exec_lo, s16
	s_cbranch_vccz .LBB174_50
; %bb.47:
	v_cmp_eq_u16_e32 vcc_lo, 29, v2
	s_cbranch_vccz .LBB174_49
; %bb.48:
	global_load_b64 v[3:4], v[0:1], off
	s_mov_b32 s0, -1
	s_mov_b32 s19, 0
	s_mov_b32 s16, 0
	s_waitcnt vmcnt(0)
	v_clz_i32_u32_e32 v5, v4
	s_delay_alu instid0(VALU_DEP_1) | instskip(NEXT) | instid1(VALU_DEP_1)
	v_min_u32_e32 v5, 32, v5
	v_lshlrev_b64 v[3:4], v5, v[3:4]
	s_delay_alu instid0(VALU_DEP_1) | instskip(NEXT) | instid1(VALU_DEP_1)
	v_min_u32_e32 v3, 1, v3
	v_or_b32_e32 v3, v4, v3
	v_sub_nc_u32_e32 v4, 32, v5
	s_delay_alu instid0(VALU_DEP_2) | instskip(NEXT) | instid1(VALU_DEP_1)
	v_cvt_f32_u32_e32 v3, v3
	v_ldexp_f32 v3, v3, v4
	s_delay_alu instid0(VALU_DEP_1) | instskip(NEXT) | instid1(VALU_DEP_1)
	v_bfe_u32 v4, v3, 16, 1
	v_add3_u32 v3, v3, v4, 0x7fff
	s_delay_alu instid0(VALU_DEP_1)
	v_lshrrev_b32_e32 v4, 16, v3
	s_branch .LBB174_51
.LBB174_49:
	s_mov_b32 s19, -1
                                        ; implicit-def: $vgpr4
.LBB174_50:
	s_mov_b32 s16, 0
.LBB174_51:
	s_delay_alu instid0(SALU_CYCLE_1)
	s_and_b32 vcc_lo, exec_lo, s16
	s_cbranch_vccz .LBB174_69
; %bb.52:
	v_cmp_gt_i16_e32 vcc_lo, 27, v2
	s_cbranch_vccnz .LBB174_55
; %bb.53:
	v_cmp_lt_i16_e32 vcc_lo, 27, v2
	s_cbranch_vccz .LBB174_56
; %bb.54:
	global_load_b32 v3, v[0:1], off
	s_mov_b32 s0, 0
	s_waitcnt vmcnt(0)
	v_cvt_f32_u32_e32 v3, v3
	s_delay_alu instid0(VALU_DEP_1) | instskip(NEXT) | instid1(VALU_DEP_1)
	v_bfe_u32 v4, v3, 16, 1
	v_add3_u32 v3, v3, v4, 0x7fff
	s_delay_alu instid0(VALU_DEP_1)
	v_lshrrev_b32_e32 v4, 16, v3
	s_branch .LBB174_57
.LBB174_55:
	s_mov_b32 s0, -1
                                        ; implicit-def: $vgpr4
	s_branch .LBB174_60
.LBB174_56:
	s_mov_b32 s0, -1
                                        ; implicit-def: $vgpr4
.LBB174_57:
	s_delay_alu instid0(SALU_CYCLE_1)
	s_and_not1_b32 vcc_lo, exec_lo, s0
	s_cbranch_vccnz .LBB174_59
; %bb.58:
	global_load_u16 v3, v[0:1], off
	s_waitcnt vmcnt(0)
	v_cvt_f32_u32_e32 v3, v3
	s_delay_alu instid0(VALU_DEP_1) | instskip(NEXT) | instid1(VALU_DEP_1)
	v_bfe_u32 v4, v3, 16, 1
	v_add3_u32 v3, v3, v4, 0x7fff
	s_delay_alu instid0(VALU_DEP_1)
	v_lshrrev_b32_e32 v4, 16, v3
.LBB174_59:
	s_mov_b32 s0, 0
.LBB174_60:
	s_delay_alu instid0(SALU_CYCLE_1)
	s_and_not1_b32 vcc_lo, exec_lo, s0
	s_cbranch_vccnz .LBB174_68
; %bb.61:
	global_load_u8 v3, v[0:1], off
	s_mov_b32 s0, 0
	s_mov_b32 s18, exec_lo
                                        ; implicit-def: $sgpr16
	s_waitcnt vmcnt(0)
	v_cmpx_lt_i16_e32 0x7f, v3
	s_xor_b32 s18, exec_lo, s18
	s_cbranch_execz .LBB174_81
; %bb.62:
	s_mov_b32 s0, -1
	s_mov_b32 s22, exec_lo
                                        ; implicit-def: $sgpr16
	v_cmpx_eq_u16_e32 0x80, v3
; %bb.63:
	s_mov_b32 s16, 0x7f800001
	s_xor_b32 s0, exec_lo, -1
; %bb.64:
	s_or_b32 exec_lo, exec_lo, s22
	s_delay_alu instid0(SALU_CYCLE_1)
	s_and_b32 s0, s0, exec_lo
	s_or_saveexec_b32 s18, s18
	v_mov_b32_e32 v4, s16
	s_xor_b32 exec_lo, exec_lo, s18
	s_cbranch_execnz .LBB174_82
.LBB174_65:
	s_or_b32 exec_lo, exec_lo, s18
	s_and_saveexec_b32 s16, s0
	s_cbranch_execz .LBB174_67
.LBB174_66:
	v_and_b32_e32 v4, 0xffff, v3
	v_lshlrev_b32_e32 v3, 24, v3
	s_delay_alu instid0(VALU_DEP_2) | instskip(NEXT) | instid1(VALU_DEP_2)
	v_and_b32_e32 v5, 7, v4
	v_and_b32_e32 v3, 0x80000000, v3
	s_delay_alu instid0(VALU_DEP_2) | instskip(NEXT) | instid1(VALU_DEP_1)
	v_clz_i32_u32_e32 v6, v5
	v_min_u32_e32 v6, 32, v6
	s_delay_alu instid0(VALU_DEP_1) | instskip(SKIP_1) | instid1(VALU_DEP_2)
	v_subrev_nc_u32_e32 v8, 28, v6
	v_sub_nc_u32_e32 v6, 29, v6
	v_lshlrev_b32_e32 v8, v8, v4
	v_bfe_u32 v4, v4, 3, 4
	s_delay_alu instid0(VALU_DEP_2) | instskip(NEXT) | instid1(VALU_DEP_2)
	v_and_b32_e32 v8, 7, v8
	v_cmp_eq_u32_e32 vcc_lo, 0, v4
	s_delay_alu instid0(VALU_DEP_2) | instskip(NEXT) | instid1(VALU_DEP_1)
	v_dual_cndmask_b32 v4, v4, v6 :: v_dual_cndmask_b32 v5, v5, v8
	v_lshl_add_u32 v4, v4, 23, 0x3b800000
	s_delay_alu instid0(VALU_DEP_2) | instskip(NEXT) | instid1(VALU_DEP_1)
	v_lshlrev_b32_e32 v5, 20, v5
	v_or3_b32 v4, v3, v4, v5
.LBB174_67:
	s_or_b32 exec_lo, exec_lo, s16
	s_delay_alu instid0(VALU_DEP_1) | instskip(SKIP_1) | instid1(VALU_DEP_2)
	v_bfe_u32 v3, v4, 16, 1
	v_cmp_o_f32_e32 vcc_lo, v4, v4
	v_add3_u32 v3, v4, v3, 0x7fff
	s_delay_alu instid0(VALU_DEP_1) | instskip(NEXT) | instid1(VALU_DEP_1)
	v_lshrrev_b32_e32 v3, 16, v3
	v_cndmask_b32_e32 v4, 0x7fc0, v3, vcc_lo
.LBB174_68:
	s_mov_b32 s0, -1
.LBB174_69:
	s_branch .LBB174_104
.LBB174_70:
	v_cmp_lt_i16_e32 vcc_lo, 22, v2
	s_cbranch_vccz .LBB174_80
; %bb.71:
	v_cmp_gt_i16_e32 vcc_lo, 24, v2
	s_cbranch_vccnz .LBB174_83
; %bb.72:
	v_cmp_lt_i16_e32 vcc_lo, 24, v2
	s_cbranch_vccz .LBB174_84
; %bb.73:
	global_load_u8 v3, v[0:1], off
	s_mov_b32 s0, 0
	s_mov_b32 s18, exec_lo
                                        ; implicit-def: $sgpr16
	s_waitcnt vmcnt(0)
	v_cmpx_lt_i16_e32 0x7f, v3
	s_xor_b32 s18, exec_lo, s18
	s_cbranch_execz .LBB174_96
; %bb.74:
	s_mov_b32 s0, -1
	s_mov_b32 s22, exec_lo
                                        ; implicit-def: $sgpr16
	v_cmpx_eq_u16_e32 0x80, v3
; %bb.75:
	s_mov_b32 s16, 0x7f800001
	s_xor_b32 s0, exec_lo, -1
; %bb.76:
	s_or_b32 exec_lo, exec_lo, s22
	s_delay_alu instid0(SALU_CYCLE_1)
	s_and_b32 s0, s0, exec_lo
	s_or_saveexec_b32 s18, s18
	v_mov_b32_e32 v4, s16
	s_xor_b32 exec_lo, exec_lo, s18
	s_cbranch_execnz .LBB174_97
.LBB174_77:
	s_or_b32 exec_lo, exec_lo, s18
	s_and_saveexec_b32 s16, s0
	s_cbranch_execz .LBB174_79
.LBB174_78:
	v_and_b32_e32 v4, 0xffff, v3
	v_lshlrev_b32_e32 v3, 24, v3
	s_delay_alu instid0(VALU_DEP_2) | instskip(NEXT) | instid1(VALU_DEP_2)
	v_and_b32_e32 v5, 3, v4
	v_and_b32_e32 v3, 0x80000000, v3
	s_delay_alu instid0(VALU_DEP_2) | instskip(NEXT) | instid1(VALU_DEP_1)
	v_clz_i32_u32_e32 v6, v5
	v_min_u32_e32 v6, 32, v6
	s_delay_alu instid0(VALU_DEP_1) | instskip(SKIP_1) | instid1(VALU_DEP_2)
	v_subrev_nc_u32_e32 v8, 29, v6
	v_sub_nc_u32_e32 v6, 30, v6
	v_lshlrev_b32_e32 v8, v8, v4
	v_bfe_u32 v4, v4, 2, 5
	s_delay_alu instid0(VALU_DEP_2) | instskip(NEXT) | instid1(VALU_DEP_2)
	v_and_b32_e32 v8, 3, v8
	v_cmp_eq_u32_e32 vcc_lo, 0, v4
	s_delay_alu instid0(VALU_DEP_2) | instskip(NEXT) | instid1(VALU_DEP_1)
	v_dual_cndmask_b32 v4, v4, v6 :: v_dual_cndmask_b32 v5, v5, v8
	v_lshl_add_u32 v4, v4, 23, 0x37800000
	s_delay_alu instid0(VALU_DEP_2) | instskip(NEXT) | instid1(VALU_DEP_1)
	v_lshlrev_b32_e32 v5, 21, v5
	v_or3_b32 v4, v3, v4, v5
.LBB174_79:
	s_or_b32 exec_lo, exec_lo, s16
	s_delay_alu instid0(VALU_DEP_1) | instskip(SKIP_2) | instid1(VALU_DEP_2)
	v_bfe_u32 v3, v4, 16, 1
	v_cmp_o_f32_e32 vcc_lo, v4, v4
	s_mov_b32 s0, 0
	v_add3_u32 v3, v4, v3, 0x7fff
	s_delay_alu instid0(VALU_DEP_1) | instskip(NEXT) | instid1(VALU_DEP_1)
	v_lshrrev_b32_e32 v3, 16, v3
	v_cndmask_b32_e32 v4, 0x7fc0, v3, vcc_lo
	s_branch .LBB174_85
.LBB174_80:
	s_mov_b32 s16, -1
                                        ; implicit-def: $vgpr4
	s_branch .LBB174_91
.LBB174_81:
	s_or_saveexec_b32 s18, s18
	v_mov_b32_e32 v4, s16
	s_xor_b32 exec_lo, exec_lo, s18
	s_cbranch_execz .LBB174_65
.LBB174_82:
	v_cmp_ne_u16_e32 vcc_lo, 0, v3
	v_mov_b32_e32 v4, 0
	s_and_not1_b32 s0, s0, exec_lo
	s_and_b32 s16, vcc_lo, exec_lo
	s_delay_alu instid0(SALU_CYCLE_1)
	s_or_b32 s0, s0, s16
	s_or_b32 exec_lo, exec_lo, s18
	s_and_saveexec_b32 s16, s0
	s_cbranch_execnz .LBB174_66
	s_branch .LBB174_67
.LBB174_83:
	s_mov_b32 s0, -1
                                        ; implicit-def: $vgpr4
	s_branch .LBB174_88
.LBB174_84:
	s_mov_b32 s0, -1
                                        ; implicit-def: $vgpr4
.LBB174_85:
	s_delay_alu instid0(SALU_CYCLE_1)
	s_and_b32 vcc_lo, exec_lo, s0
	s_cbranch_vccz .LBB174_87
; %bb.86:
	global_load_u8 v3, v[0:1], off
	s_waitcnt vmcnt(0)
	v_lshlrev_b32_e32 v3, 24, v3
	s_delay_alu instid0(VALU_DEP_1) | instskip(NEXT) | instid1(VALU_DEP_1)
	v_and_b32_e32 v4, 0x7f000000, v3
	v_clz_i32_u32_e32 v5, v4
	v_add_nc_u32_e32 v8, 0x1000000, v4
	v_cmp_ne_u32_e32 vcc_lo, 0, v4
	s_delay_alu instid0(VALU_DEP_3) | instskip(NEXT) | instid1(VALU_DEP_1)
	v_min_u32_e32 v5, 32, v5
	v_sub_nc_u32_e64 v5, v5, 4 clamp
	s_delay_alu instid0(VALU_DEP_1) | instskip(SKIP_1) | instid1(VALU_DEP_2)
	v_lshlrev_b32_e32 v6, v5, v4
	v_lshlrev_b32_e32 v5, 23, v5
	v_lshrrev_b32_e32 v6, 4, v6
	s_delay_alu instid0(VALU_DEP_1) | instskip(SKIP_1) | instid1(VALU_DEP_2)
	v_sub_nc_u32_e32 v5, v6, v5
	v_ashrrev_i32_e32 v6, 8, v8
	v_add_nc_u32_e32 v5, 0x3c000000, v5
	s_delay_alu instid0(VALU_DEP_1) | instskip(NEXT) | instid1(VALU_DEP_1)
	v_and_or_b32 v5, 0x7f800000, v6, v5
	v_cndmask_b32_e32 v4, 0, v5, vcc_lo
	s_delay_alu instid0(VALU_DEP_1) | instskip(SKIP_1) | instid1(VALU_DEP_2)
	v_and_or_b32 v3, 0x80000000, v3, v4
	v_bfe_u32 v4, v4, 16, 1
	v_cmp_o_f32_e32 vcc_lo, v3, v3
	s_delay_alu instid0(VALU_DEP_2) | instskip(NEXT) | instid1(VALU_DEP_1)
	v_add3_u32 v4, v3, v4, 0x7fff
	v_lshrrev_b32_e32 v4, 16, v4
	s_delay_alu instid0(VALU_DEP_1)
	v_cndmask_b32_e32 v4, 0x7fc0, v4, vcc_lo
.LBB174_87:
	s_mov_b32 s0, 0
.LBB174_88:
	s_delay_alu instid0(SALU_CYCLE_1)
	s_and_not1_b32 vcc_lo, exec_lo, s0
	s_cbranch_vccnz .LBB174_90
; %bb.89:
	global_load_u8 v3, v[0:1], off
	s_waitcnt vmcnt(0)
	v_lshlrev_b32_e32 v4, 25, v3
	v_lshlrev_b16 v3, 8, v3
	s_delay_alu instid0(VALU_DEP_2) | instskip(NEXT) | instid1(VALU_DEP_2)
	v_lshrrev_b32_e32 v5, 4, v4
	v_and_or_b32 v6, 0x7f00, v3, 0.5
	v_bfe_i32 v3, v3, 0, 16
	s_delay_alu instid0(VALU_DEP_3) | instskip(NEXT) | instid1(VALU_DEP_1)
	v_or_b32_e32 v5, 0x70000000, v5
	v_dual_add_f32 v6, -0.5, v6 :: v_dual_mul_f32 v5, 0x7800000, v5
	v_cmp_gt_u32_e32 vcc_lo, 0x8000000, v4
	s_delay_alu instid0(VALU_DEP_2) | instskip(NEXT) | instid1(VALU_DEP_1)
	v_cndmask_b32_e32 v4, v5, v6, vcc_lo
	v_and_or_b32 v3, 0x80000000, v3, v4
	v_bfe_u32 v4, v4, 16, 1
	s_delay_alu instid0(VALU_DEP_2) | instskip(NEXT) | instid1(VALU_DEP_2)
	v_cmp_o_f32_e32 vcc_lo, v3, v3
	v_add3_u32 v4, v3, v4, 0x7fff
	s_delay_alu instid0(VALU_DEP_1) | instskip(NEXT) | instid1(VALU_DEP_1)
	v_lshrrev_b32_e32 v4, 16, v4
	v_cndmask_b32_e32 v4, 0x7fc0, v4, vcc_lo
.LBB174_90:
	s_mov_b32 s16, 0
	s_mov_b32 s0, -1
.LBB174_91:
	s_and_not1_b32 vcc_lo, exec_lo, s16
	s_cbranch_vccnz .LBB174_104
; %bb.92:
	v_cmp_lt_i16_e32 vcc_lo, 14, v2
	s_cbranch_vccz .LBB174_95
; %bb.93:
	v_cmp_eq_u16_e32 vcc_lo, 15, v2
	s_cbranch_vccz .LBB174_98
; %bb.94:
	global_load_u16 v4, v[0:1], off
	s_mov_b32 s0, -1
	s_mov_b32 s19, 0
	s_branch .LBB174_99
.LBB174_95:
	s_mov_b32 s16, -1
                                        ; implicit-def: $vgpr4
	s_branch .LBB174_100
.LBB174_96:
	s_or_saveexec_b32 s18, s18
	v_mov_b32_e32 v4, s16
	s_xor_b32 exec_lo, exec_lo, s18
	s_cbranch_execz .LBB174_77
.LBB174_97:
	v_cmp_ne_u16_e32 vcc_lo, 0, v3
	v_mov_b32_e32 v4, 0
	s_and_not1_b32 s0, s0, exec_lo
	s_and_b32 s16, vcc_lo, exec_lo
	s_delay_alu instid0(SALU_CYCLE_1)
	s_or_b32 s0, s0, s16
	s_or_b32 exec_lo, exec_lo, s18
	s_and_saveexec_b32 s16, s0
	s_cbranch_execnz .LBB174_78
	s_branch .LBB174_79
.LBB174_98:
	s_mov_b32 s19, -1
                                        ; implicit-def: $vgpr4
.LBB174_99:
	s_mov_b32 s16, 0
.LBB174_100:
	s_delay_alu instid0(SALU_CYCLE_1)
	s_and_b32 vcc_lo, exec_lo, s16
	s_cbranch_vccz .LBB174_104
; %bb.101:
	v_cmp_eq_u16_e32 vcc_lo, 11, v2
	s_cbranch_vccz .LBB174_103
; %bb.102:
	global_load_u8 v3, v[0:1], off
	s_mov_b32 s19, 0
	s_mov_b32 s0, -1
	s_waitcnt vmcnt(0)
	v_cmp_ne_u16_e32 vcc_lo, 0, v3
	v_cndmask_b32_e64 v3, 0, 1.0, vcc_lo
	s_delay_alu instid0(VALU_DEP_1)
	v_lshrrev_b32_e32 v4, 16, v3
	s_branch .LBB174_104
.LBB174_103:
	s_mov_b32 s19, -1
                                        ; implicit-def: $vgpr4
.LBB174_104:
	s_branch .LBB174_10
.LBB174_105:
	v_cmp_gt_i16_e32 vcc_lo, 5, v2
	s_cbranch_vccnz .LBB174_110
; %bb.106:
	v_cmp_gt_i16_e32 vcc_lo, 8, v2
	s_cbranch_vccnz .LBB174_111
; %bb.107:
	;; [unrolled: 3-line block ×3, first 2 shown]
	v_cmp_lt_i16_e32 vcc_lo, 9, v2
	s_cbranch_vccz .LBB174_113
; %bb.109:
	global_load_b64 v[3:4], v[0:1], off
	s_mov_b32 s0, 0
	s_waitcnt vmcnt(0)
	v_cvt_f32_f64_e32 v3, v[3:4]
	s_delay_alu instid0(VALU_DEP_1) | instskip(SKIP_1) | instid1(VALU_DEP_2)
	v_bfe_u32 v4, v3, 16, 1
	v_cmp_o_f32_e32 vcc_lo, v3, v3
	v_add3_u32 v4, v3, v4, 0x7fff
	s_delay_alu instid0(VALU_DEP_1) | instskip(NEXT) | instid1(VALU_DEP_1)
	v_lshrrev_b32_e32 v4, 16, v4
	v_cndmask_b32_e32 v4, 0x7fc0, v4, vcc_lo
	s_branch .LBB174_114
.LBB174_110:
                                        ; implicit-def: $vgpr4
	s_branch .LBB174_132
.LBB174_111:
	s_mov_b32 s0, -1
                                        ; implicit-def: $vgpr4
	s_branch .LBB174_120
.LBB174_112:
	s_mov_b32 s0, -1
                                        ; implicit-def: $vgpr4
	s_branch .LBB174_117
.LBB174_113:
	s_mov_b32 s0, -1
                                        ; implicit-def: $vgpr4
.LBB174_114:
	s_delay_alu instid0(SALU_CYCLE_1)
	s_and_not1_b32 vcc_lo, exec_lo, s0
	s_cbranch_vccnz .LBB174_116
; %bb.115:
	global_load_b32 v3, v[0:1], off
	s_waitcnt vmcnt(0)
	v_bfe_u32 v4, v3, 16, 1
	v_cmp_o_f32_e32 vcc_lo, v3, v3
	s_delay_alu instid0(VALU_DEP_2) | instskip(NEXT) | instid1(VALU_DEP_1)
	v_add3_u32 v4, v3, v4, 0x7fff
	v_lshrrev_b32_e32 v4, 16, v4
	s_delay_alu instid0(VALU_DEP_1)
	v_cndmask_b32_e32 v4, 0x7fc0, v4, vcc_lo
.LBB174_116:
	s_mov_b32 s0, 0
.LBB174_117:
	s_delay_alu instid0(SALU_CYCLE_1)
	s_and_not1_b32 vcc_lo, exec_lo, s0
	s_cbranch_vccnz .LBB174_119
; %bb.118:
	global_load_b32 v3, v[0:1], off
	s_waitcnt vmcnt(0)
	v_cvt_f32_f16_e32 v4, v3
	v_cmp_o_f16_e32 vcc_lo, v3, v3
	s_delay_alu instid0(VALU_DEP_2) | instskip(NEXT) | instid1(VALU_DEP_1)
	v_bfe_u32 v5, v4, 16, 1
	v_add3_u32 v4, v4, v5, 0x7fff
	s_delay_alu instid0(VALU_DEP_1) | instskip(NEXT) | instid1(VALU_DEP_1)
	v_lshrrev_b32_e32 v4, 16, v4
	v_cndmask_b32_e32 v4, 0x7fc0, v4, vcc_lo
.LBB174_119:
	s_mov_b32 s0, 0
.LBB174_120:
	s_delay_alu instid0(SALU_CYCLE_1)
	s_and_not1_b32 vcc_lo, exec_lo, s0
	s_cbranch_vccnz .LBB174_131
; %bb.121:
	v_cmp_gt_i16_e32 vcc_lo, 6, v2
	s_cbranch_vccnz .LBB174_124
; %bb.122:
	v_cmp_lt_i16_e32 vcc_lo, 6, v2
	s_cbranch_vccz .LBB174_125
; %bb.123:
	global_load_b64 v[3:4], v[0:1], off
	s_mov_b32 s0, 0
	s_waitcnt vmcnt(0)
	v_cvt_f32_f64_e32 v3, v[3:4]
	s_delay_alu instid0(VALU_DEP_1) | instskip(SKIP_1) | instid1(VALU_DEP_2)
	v_bfe_u32 v4, v3, 16, 1
	v_cmp_o_f32_e32 vcc_lo, v3, v3
	v_add3_u32 v4, v3, v4, 0x7fff
	s_delay_alu instid0(VALU_DEP_1) | instskip(NEXT) | instid1(VALU_DEP_1)
	v_lshrrev_b32_e32 v4, 16, v4
	v_cndmask_b32_e32 v4, 0x7fc0, v4, vcc_lo
	s_branch .LBB174_126
.LBB174_124:
	s_mov_b32 s0, -1
                                        ; implicit-def: $vgpr4
	s_branch .LBB174_129
.LBB174_125:
	s_mov_b32 s0, -1
                                        ; implicit-def: $vgpr4
.LBB174_126:
	s_delay_alu instid0(SALU_CYCLE_1)
	s_and_not1_b32 vcc_lo, exec_lo, s0
	s_cbranch_vccnz .LBB174_128
; %bb.127:
	global_load_b32 v3, v[0:1], off
	s_waitcnt vmcnt(0)
	v_bfe_u32 v4, v3, 16, 1
	v_cmp_o_f32_e32 vcc_lo, v3, v3
	s_delay_alu instid0(VALU_DEP_2) | instskip(NEXT) | instid1(VALU_DEP_1)
	v_add3_u32 v4, v3, v4, 0x7fff
	v_lshrrev_b32_e32 v4, 16, v4
	s_delay_alu instid0(VALU_DEP_1)
	v_cndmask_b32_e32 v4, 0x7fc0, v4, vcc_lo
.LBB174_128:
	s_mov_b32 s0, 0
.LBB174_129:
	s_delay_alu instid0(SALU_CYCLE_1)
	s_and_not1_b32 vcc_lo, exec_lo, s0
	s_cbranch_vccnz .LBB174_131
; %bb.130:
	global_load_u16 v3, v[0:1], off
	s_waitcnt vmcnt(0)
	v_cvt_f32_f16_e32 v4, v3
	v_cmp_o_f16_e32 vcc_lo, v3, v3
	s_delay_alu instid0(VALU_DEP_2) | instskip(NEXT) | instid1(VALU_DEP_1)
	v_bfe_u32 v5, v4, 16, 1
	v_add3_u32 v4, v4, v5, 0x7fff
	s_delay_alu instid0(VALU_DEP_1) | instskip(NEXT) | instid1(VALU_DEP_1)
	v_lshrrev_b32_e32 v4, 16, v4
	v_cndmask_b32_e32 v4, 0x7fc0, v4, vcc_lo
.LBB174_131:
	s_cbranch_execnz .LBB174_151
.LBB174_132:
	v_cmp_gt_i16_e32 vcc_lo, 2, v2
	s_cbranch_vccnz .LBB174_136
; %bb.133:
	v_cmp_gt_i16_e32 vcc_lo, 3, v2
	s_cbranch_vccnz .LBB174_137
; %bb.134:
	v_cmp_lt_i16_e32 vcc_lo, 3, v2
	s_cbranch_vccz .LBB174_138
; %bb.135:
	global_load_b64 v[3:4], v[0:1], off
	s_mov_b32 s0, 0
	s_waitcnt vmcnt(0)
	v_xor_b32_e32 v5, v3, v4
	v_cls_i32_e32 v6, v4
	s_delay_alu instid0(VALU_DEP_2) | instskip(NEXT) | instid1(VALU_DEP_2)
	v_ashrrev_i32_e32 v5, 31, v5
	v_add_nc_u32_e32 v6, -1, v6
	s_delay_alu instid0(VALU_DEP_2) | instskip(NEXT) | instid1(VALU_DEP_1)
	v_add_nc_u32_e32 v5, 32, v5
	v_min_u32_e32 v5, v6, v5
	s_delay_alu instid0(VALU_DEP_1) | instskip(NEXT) | instid1(VALU_DEP_1)
	v_lshlrev_b64 v[3:4], v5, v[3:4]
	v_min_u32_e32 v3, 1, v3
	s_delay_alu instid0(VALU_DEP_1) | instskip(SKIP_1) | instid1(VALU_DEP_2)
	v_or_b32_e32 v3, v4, v3
	v_sub_nc_u32_e32 v4, 32, v5
	v_cvt_f32_i32_e32 v3, v3
	s_delay_alu instid0(VALU_DEP_1) | instskip(NEXT) | instid1(VALU_DEP_1)
	v_ldexp_f32 v3, v3, v4
	v_bfe_u32 v4, v3, 16, 1
	s_delay_alu instid0(VALU_DEP_1) | instskip(NEXT) | instid1(VALU_DEP_1)
	v_add3_u32 v3, v3, v4, 0x7fff
	v_lshrrev_b32_e32 v4, 16, v3
	s_branch .LBB174_139
.LBB174_136:
	s_mov_b32 s0, -1
                                        ; implicit-def: $vgpr4
	s_branch .LBB174_145
.LBB174_137:
	s_mov_b32 s0, -1
                                        ; implicit-def: $vgpr4
	s_branch .LBB174_142
.LBB174_138:
	s_mov_b32 s0, -1
                                        ; implicit-def: $vgpr4
.LBB174_139:
	s_delay_alu instid0(SALU_CYCLE_1)
	s_and_not1_b32 vcc_lo, exec_lo, s0
	s_cbranch_vccnz .LBB174_141
; %bb.140:
	global_load_b32 v3, v[0:1], off
	s_waitcnt vmcnt(0)
	v_cvt_f32_i32_e32 v3, v3
	s_delay_alu instid0(VALU_DEP_1) | instskip(NEXT) | instid1(VALU_DEP_1)
	v_bfe_u32 v4, v3, 16, 1
	v_add3_u32 v3, v3, v4, 0x7fff
	s_delay_alu instid0(VALU_DEP_1)
	v_lshrrev_b32_e32 v4, 16, v3
.LBB174_141:
	s_mov_b32 s0, 0
.LBB174_142:
	s_delay_alu instid0(SALU_CYCLE_1)
	s_and_not1_b32 vcc_lo, exec_lo, s0
	s_cbranch_vccnz .LBB174_144
; %bb.143:
	global_load_i16 v3, v[0:1], off
	s_waitcnt vmcnt(0)
	v_cvt_f32_i32_e32 v3, v3
	s_delay_alu instid0(VALU_DEP_1) | instskip(NEXT) | instid1(VALU_DEP_1)
	v_bfe_u32 v4, v3, 16, 1
	v_add3_u32 v3, v3, v4, 0x7fff
	s_delay_alu instid0(VALU_DEP_1)
	v_lshrrev_b32_e32 v4, 16, v3
.LBB174_144:
	s_mov_b32 s0, 0
.LBB174_145:
	s_delay_alu instid0(SALU_CYCLE_1)
	s_and_not1_b32 vcc_lo, exec_lo, s0
	s_cbranch_vccnz .LBB174_151
; %bb.146:
	v_cmp_lt_i16_e32 vcc_lo, 0, v2
	s_mov_b32 s0, 0
	s_cbranch_vccz .LBB174_148
; %bb.147:
	global_load_i8 v2, v[0:1], off
	s_waitcnt vmcnt(0)
	v_cvt_f32_i32_e32 v2, v2
	s_delay_alu instid0(VALU_DEP_1) | instskip(NEXT) | instid1(VALU_DEP_1)
	v_bfe_u32 v3, v2, 16, 1
	v_add3_u32 v2, v2, v3, 0x7fff
	s_delay_alu instid0(VALU_DEP_1)
	v_lshrrev_b32_e32 v4, 16, v2
	s_branch .LBB174_149
.LBB174_148:
	s_mov_b32 s0, -1
                                        ; implicit-def: $vgpr4
.LBB174_149:
	s_delay_alu instid0(SALU_CYCLE_1)
	s_and_not1_b32 vcc_lo, exec_lo, s0
	s_cbranch_vccnz .LBB174_151
; %bb.150:
	global_load_u8 v0, v[0:1], off
	s_waitcnt vmcnt(0)
	v_cvt_f32_ubyte0_e32 v0, v0
	s_delay_alu instid0(VALU_DEP_1) | instskip(NEXT) | instid1(VALU_DEP_1)
	v_bfe_u32 v1, v0, 16, 1
	v_add3_u32 v0, v0, v1, 0x7fff
	s_delay_alu instid0(VALU_DEP_1)
	v_lshrrev_b32_e32 v4, 16, v0
.LBB174_151:
	s_branch .LBB174_11
.LBB174_152:
	s_mov_b32 s0, 0
	s_mov_b32 s18, 0
	s_branch .LBB174_376
.LBB174_153:
	s_mov_b32 s18, -1
.LBB174_154:
	s_mov_b32 s0, 0
                                        ; implicit-def: $vgpr2
.LBB174_155:
	s_and_b32 vcc_lo, exec_lo, s16
	s_cbranch_vccz .LBB174_270
; %bb.156:
	v_cmp_eq_u16_e32 vcc_lo, 44, v5
	s_cbranch_vccz .LBB174_269
; %bb.157:
	global_load_u8 v2, v[0:1], off
	s_mov_b32 s18, 0
	s_mov_b32 s0, -1
	s_waitcnt vmcnt(0)
	v_lshlrev_b32_e32 v3, 23, v2
	v_cmp_ne_u32_e32 vcc_lo, 0, v2
	s_delay_alu instid0(VALU_DEP_2) | instskip(NEXT) | instid1(VALU_DEP_1)
	v_trunc_f32_e32 v3, v3
	v_mul_f32_e64 v6, 0x2f800000, |v3|
	s_delay_alu instid0(VALU_DEP_1) | instskip(NEXT) | instid1(VALU_DEP_1)
	v_floor_f32_e32 v6, v6
	v_fma_f32 v6, 0xcf800000, v6, |v3|
	v_ashrrev_i32_e32 v3, 31, v3
	s_delay_alu instid0(VALU_DEP_2) | instskip(NEXT) | instid1(VALU_DEP_1)
	v_cvt_u32_f32_e32 v6, v6
	v_xor_b32_e32 v6, v6, v3
	s_delay_alu instid0(VALU_DEP_1) | instskip(NEXT) | instid1(VALU_DEP_1)
	v_sub_nc_u32_e32 v3, v6, v3
	v_cndmask_b32_e32 v2, 0, v3, vcc_lo
	s_branch .LBB174_270
.LBB174_158:
	s_mov_b32 s22, -1
	s_mov_b32 s0, 0
	s_mov_b32 s16, 0
.LBB174_159:
	s_and_b32 vcc_lo, exec_lo, s22
	s_cbranch_vccz .LBB174_164
; %bb.160:
	v_cmp_eq_u16_e32 vcc_lo, 44, v3
	s_mov_b32 s0, -1
	s_cbranch_vccz .LBB174_164
; %bb.161:
	v_and_b32_e32 v4, 0xffff, v2
	v_mov_b32_e32 v5, 0xff
	s_mov_b32 s16, exec_lo
	s_delay_alu instid0(VALU_DEP_2) | instskip(NEXT) | instid1(VALU_DEP_1)
	v_bfe_u32 v6, v4, 7, 8
	v_cmpx_ne_u32_e32 0xff, v6
; %bb.162:
	v_lshlrev_b32_e32 v5, 16, v4
	v_and_b32_e32 v8, 64, v4
	v_lshrrev_b32_e32 v4, 7, v4
	s_delay_alu instid0(VALU_DEP_3) | instskip(NEXT) | instid1(VALU_DEP_3)
	v_and_or_b32 v5, 0x3f0000, v5, v6
	v_cmp_ne_u32_e32 vcc_lo, 0, v8
	s_delay_alu instid0(VALU_DEP_2) | instskip(NEXT) | instid1(VALU_DEP_1)
	v_cmp_ne_u32_e64 s0, 0, v5
	s_and_b32 s0, vcc_lo, s0
	s_delay_alu instid0(SALU_CYCLE_1) | instskip(NEXT) | instid1(VALU_DEP_1)
	v_cndmask_b32_e64 v5, 0, 1, s0
	v_add_nc_u32_e32 v5, v4, v5
; %bb.163:
	s_or_b32 exec_lo, exec_lo, s16
	s_mov_b32 s16, -1
	s_mov_b32 s0, 0
	global_store_b8 v[0:1], v5, off
.LBB174_164:
	s_mov_b32 s22, 0
.LBB174_165:
	s_delay_alu instid0(SALU_CYCLE_1)
	s_and_b32 vcc_lo, exec_lo, s22
	s_cbranch_vccz .LBB174_168
; %bb.166:
	v_cmp_eq_u16_e32 vcc_lo, 29, v3
	s_mov_b32 s0, -1
	s_cbranch_vccz .LBB174_168
; %bb.167:
	v_lshlrev_b32_e32 v4, 16, v2
	s_mov_b32 s16, -1
	s_mov_b32 s0, 0
	s_mov_b32 s22, 0
	s_delay_alu instid0(VALU_DEP_1) | instskip(NEXT) | instid1(VALU_DEP_1)
	v_trunc_f32_e32 v4, v4
	v_mul_f32_e32 v5, 0x2f800000, v4
	s_delay_alu instid0(VALU_DEP_1) | instskip(NEXT) | instid1(VALU_DEP_1)
	v_floor_f32_e32 v5, v5
	v_fmamk_f32 v4, v5, 0xcf800000, v4
	v_cvt_u32_f32_e32 v5, v5
	s_delay_alu instid0(VALU_DEP_2)
	v_cvt_u32_f32_e32 v4, v4
	global_store_b64 v[0:1], v[4:5], off
	s_branch .LBB174_169
.LBB174_168:
	s_mov_b32 s22, 0
.LBB174_169:
	s_delay_alu instid0(SALU_CYCLE_1)
	s_and_b32 vcc_lo, exec_lo, s22
	s_cbranch_vccz .LBB174_185
; %bb.170:
	v_cmp_gt_i16_e32 vcc_lo, 27, v3
	s_mov_b32 s16, -1
	s_cbranch_vccnz .LBB174_176
; %bb.171:
	v_cmp_lt_i16_e32 vcc_lo, 27, v3
	s_cbranch_vccz .LBB174_173
; %bb.172:
	v_lshlrev_b32_e32 v4, 16, v2
	s_mov_b32 s16, 0
	s_delay_alu instid0(VALU_DEP_1)
	v_cvt_u32_f32_e32 v4, v4
	global_store_b32 v[0:1], v4, off
.LBB174_173:
	s_and_not1_b32 vcc_lo, exec_lo, s16
	s_cbranch_vccnz .LBB174_175
; %bb.174:
	v_lshlrev_b32_e32 v4, 16, v2
	s_delay_alu instid0(VALU_DEP_1)
	v_cvt_u32_f32_e32 v4, v4
	global_store_b16 v[0:1], v4, off
.LBB174_175:
	s_mov_b32 s16, 0
.LBB174_176:
	s_delay_alu instid0(SALU_CYCLE_1)
	s_and_not1_b32 vcc_lo, exec_lo, s16
	s_cbranch_vccnz .LBB174_184
; %bb.177:
	v_lshlrev_b32_e32 v6, 16, v2
	v_mov_b32_e32 v8, 0x80
	s_mov_b32 s16, exec_lo
	s_delay_alu instid0(VALU_DEP_2) | instskip(NEXT) | instid1(VALU_DEP_1)
	v_and_b32_e32 v5, 0x7fffffff, v6
	v_cmpx_gt_u32_e32 0x43800000, v5
	s_cbranch_execz .LBB174_183
; %bb.178:
	v_and_b32_e32 v4, 0xffff, v2
	v_cmp_lt_u32_e32 vcc_lo, 0x3bffffff, v5
	s_mov_b32 s22, 0
                                        ; implicit-def: $vgpr5
	s_and_saveexec_b32 s23, vcc_lo
	s_delay_alu instid0(SALU_CYCLE_1)
	s_xor_b32 s23, exec_lo, s23
	s_cbranch_execz .LBB174_404
; %bb.179:
	v_bfe_u32 v5, v4, 4, 1
	s_mov_b32 s22, exec_lo
	s_delay_alu instid0(VALU_DEP_1) | instskip(NEXT) | instid1(VALU_DEP_1)
	v_add3_u32 v5, v6, v5, 0x487ffff
                                        ; implicit-def: $vgpr6
	v_lshrrev_b32_e32 v5, 20, v5
	s_or_saveexec_b32 s23, s23
                                        ; implicit-def: $sgpr24
	s_delay_alu instid0(SALU_CYCLE_1)
	s_xor_b32 exec_lo, exec_lo, s23
	s_cbranch_execnz .LBB174_405
.LBB174_180:
	s_or_b32 exec_lo, exec_lo, s23
	v_mov_b32_e32 v8, s24
	s_and_saveexec_b32 s23, s22
.LBB174_181:
	v_lshrrev_b32_e32 v4, 8, v4
	s_delay_alu instid0(VALU_DEP_1)
	v_and_or_b32 v8, 0x80, v4, v5
.LBB174_182:
	s_or_b32 exec_lo, exec_lo, s23
.LBB174_183:
	s_delay_alu instid0(SALU_CYCLE_1)
	s_or_b32 exec_lo, exec_lo, s16
	global_store_b8 v[0:1], v8, off
.LBB174_184:
	s_mov_b32 s16, -1
.LBB174_185:
	s_mov_b32 s22, 0
.LBB174_186:
	s_delay_alu instid0(SALU_CYCLE_1)
	s_and_b32 vcc_lo, exec_lo, s22
	s_cbranch_vccz .LBB174_227
; %bb.187:
	v_cmp_lt_i16_e32 vcc_lo, 22, v3
	s_mov_b32 s22, -1
	s_cbranch_vccz .LBB174_219
; %bb.188:
	v_cmp_gt_i16_e32 vcc_lo, 24, v3
	s_mov_b32 s16, -1
	s_cbranch_vccnz .LBB174_208
; %bb.189:
	v_cmp_lt_i16_e32 vcc_lo, 24, v3
	s_cbranch_vccz .LBB174_197
; %bb.190:
	v_lshlrev_b32_e32 v6, 16, v2
	v_mov_b32_e32 v8, 0x80
	s_mov_b32 s16, exec_lo
	s_delay_alu instid0(VALU_DEP_2) | instskip(NEXT) | instid1(VALU_DEP_1)
	v_and_b32_e32 v5, 0x7fffffff, v6
	v_cmpx_gt_u32_e32 0x47800000, v5
	s_cbranch_execz .LBB174_196
; %bb.191:
	v_and_b32_e32 v4, 0xffff, v2
	v_cmp_lt_u32_e32 vcc_lo, 0x37ffffff, v5
	s_mov_b32 s22, 0
                                        ; implicit-def: $vgpr5
	s_and_saveexec_b32 s23, vcc_lo
	s_delay_alu instid0(SALU_CYCLE_1)
	s_xor_b32 s23, exec_lo, s23
	s_cbranch_execz .LBB174_523
; %bb.192:
	v_bfe_u32 v5, v4, 5, 1
	s_mov_b32 s22, exec_lo
	s_delay_alu instid0(VALU_DEP_1) | instskip(NEXT) | instid1(VALU_DEP_1)
	v_add3_u32 v5, v6, v5, 0x88fffff
                                        ; implicit-def: $vgpr6
	v_lshrrev_b32_e32 v5, 21, v5
	s_or_saveexec_b32 s23, s23
                                        ; implicit-def: $sgpr24
	s_delay_alu instid0(SALU_CYCLE_1)
	s_xor_b32 exec_lo, exec_lo, s23
	s_cbranch_execnz .LBB174_524
.LBB174_193:
	s_or_b32 exec_lo, exec_lo, s23
	v_mov_b32_e32 v8, s24
	s_and_saveexec_b32 s23, s22
.LBB174_194:
	v_lshrrev_b32_e32 v4, 8, v4
	s_delay_alu instid0(VALU_DEP_1)
	v_and_or_b32 v8, 0x80, v4, v5
.LBB174_195:
	s_or_b32 exec_lo, exec_lo, s23
.LBB174_196:
	s_delay_alu instid0(SALU_CYCLE_1)
	s_or_b32 exec_lo, exec_lo, s16
	s_mov_b32 s16, 0
	global_store_b8 v[0:1], v8, off
.LBB174_197:
	s_and_b32 vcc_lo, exec_lo, s16
	s_cbranch_vccz .LBB174_207
; %bb.198:
	v_lshlrev_b32_e32 v6, 16, v2
	v_and_b32_e32 v4, 0xffff, v2
	s_mov_b32 s16, exec_lo
                                        ; implicit-def: $vgpr5
	s_delay_alu instid0(VALU_DEP_2) | instskip(NEXT) | instid1(VALU_DEP_1)
	v_and_b32_e32 v8, 0x7fffffff, v6
	v_cmpx_gt_u32_e32 0x43f00000, v8
	s_xor_b32 s16, exec_lo, s16
	s_cbranch_execz .LBB174_204
; %bb.199:
	s_mov_b32 s22, exec_lo
                                        ; implicit-def: $vgpr5
	v_cmpx_lt_u32_e32 0x3c7fffff, v8
	s_xor_b32 s22, exec_lo, s22
; %bb.200:
	v_bfe_u32 v5, v4, 4, 1
	s_delay_alu instid0(VALU_DEP_1) | instskip(NEXT) | instid1(VALU_DEP_1)
	v_add3_u32 v5, v6, v5, 0x407ffff
	v_and_b32_e32 v6, 0xff00000, v5
	v_lshrrev_b32_e32 v5, 20, v5
	s_delay_alu instid0(VALU_DEP_2) | instskip(NEXT) | instid1(VALU_DEP_2)
	v_cmp_ne_u32_e32 vcc_lo, 0x7f00000, v6
                                        ; implicit-def: $vgpr6
	v_cndmask_b32_e32 v5, 0x7e, v5, vcc_lo
; %bb.201:
	s_and_not1_saveexec_b32 s22, s22
; %bb.202:
	v_add_f32_e64 v5, 0x46800000, |v6|
; %bb.203:
	s_or_b32 exec_lo, exec_lo, s22
                                        ; implicit-def: $vgpr8
.LBB174_204:
	s_and_not1_saveexec_b32 s16, s16
; %bb.205:
	v_mov_b32_e32 v5, 0x7f
	v_cmp_lt_u32_e32 vcc_lo, 0x7f800000, v8
	s_delay_alu instid0(VALU_DEP_2)
	v_cndmask_b32_e32 v5, 0x7e, v5, vcc_lo
; %bb.206:
	s_or_b32 exec_lo, exec_lo, s16
	v_lshrrev_b32_e32 v4, 8, v4
	s_delay_alu instid0(VALU_DEP_1)
	v_and_or_b32 v4, 0x80, v4, v5
	global_store_b8 v[0:1], v4, off
.LBB174_207:
	s_mov_b32 s16, 0
.LBB174_208:
	s_delay_alu instid0(SALU_CYCLE_1)
	s_and_not1_b32 vcc_lo, exec_lo, s16
	s_cbranch_vccnz .LBB174_218
; %bb.209:
	v_lshlrev_b32_e32 v6, 16, v2
	v_and_b32_e32 v4, 0xffff, v2
	s_mov_b32 s16, exec_lo
                                        ; implicit-def: $vgpr5
	s_delay_alu instid0(VALU_DEP_2) | instskip(NEXT) | instid1(VALU_DEP_1)
	v_and_b32_e32 v8, 0x7fffffff, v6
	v_cmpx_gt_u32_e32 0x47800000, v8
	s_xor_b32 s16, exec_lo, s16
	s_cbranch_execz .LBB174_215
; %bb.210:
	s_mov_b32 s22, exec_lo
                                        ; implicit-def: $vgpr5
	v_cmpx_lt_u32_e32 0x387fffff, v8
	s_xor_b32 s22, exec_lo, s22
; %bb.211:
	v_bfe_u32 v5, v4, 5, 1
	s_delay_alu instid0(VALU_DEP_1) | instskip(NEXT) | instid1(VALU_DEP_1)
	v_add3_u32 v5, v6, v5, 0x80fffff
                                        ; implicit-def: $vgpr6
	v_lshrrev_b32_e32 v5, 21, v5
; %bb.212:
	s_and_not1_saveexec_b32 s22, s22
; %bb.213:
	v_add_f32_e64 v5, 0x43000000, |v6|
; %bb.214:
	s_or_b32 exec_lo, exec_lo, s22
                                        ; implicit-def: $vgpr8
.LBB174_215:
	s_and_not1_saveexec_b32 s16, s16
; %bb.216:
	v_mov_b32_e32 v5, 0x7f
	v_cmp_lt_u32_e32 vcc_lo, 0x7f800000, v8
	s_delay_alu instid0(VALU_DEP_2)
	v_cndmask_b32_e32 v5, 0x7c, v5, vcc_lo
; %bb.217:
	s_or_b32 exec_lo, exec_lo, s16
	v_lshrrev_b32_e32 v4, 8, v4
	s_delay_alu instid0(VALU_DEP_1)
	v_and_or_b32 v4, 0x80, v4, v5
	global_store_b8 v[0:1], v4, off
.LBB174_218:
	s_mov_b32 s22, 0
	s_mov_b32 s16, -1
.LBB174_219:
	s_and_not1_b32 vcc_lo, exec_lo, s22
	s_cbranch_vccnz .LBB174_227
; %bb.220:
	v_cmp_lt_i16_e32 vcc_lo, 14, v3
	s_mov_b32 s22, -1
	s_cbranch_vccz .LBB174_224
; %bb.221:
	v_cmp_eq_u16_e32 vcc_lo, 15, v3
	s_mov_b32 s0, -1
	s_cbranch_vccz .LBB174_223
; %bb.222:
	s_mov_b32 s16, -1
	s_mov_b32 s0, 0
	global_store_b16 v[0:1], v2, off
.LBB174_223:
	s_mov_b32 s22, 0
.LBB174_224:
	s_delay_alu instid0(SALU_CYCLE_1)
	s_and_b32 vcc_lo, exec_lo, s22
	s_cbranch_vccz .LBB174_227
; %bb.225:
	v_cmp_eq_u16_e32 vcc_lo, 11, v3
	s_mov_b32 s0, -1
	s_cbranch_vccz .LBB174_227
; %bb.226:
	v_and_b32_e32 v4, 0x7fff, v2
	s_mov_b32 s0, 0
	s_mov_b32 s16, -1
	s_delay_alu instid0(VALU_DEP_1)
	v_cmp_ne_u16_e32 vcc_lo, 0, v4
	v_cndmask_b32_e64 v4, 0, 1, vcc_lo
	global_store_b8 v[0:1], v4, off
.LBB174_227:
	s_mov_b32 s22, 0
.LBB174_228:
	s_delay_alu instid0(SALU_CYCLE_1)
	s_and_b32 vcc_lo, exec_lo, s22
	s_cbranch_vccz .LBB174_267
; %bb.229:
	v_cmp_gt_i16_e32 vcc_lo, 5, v3
	s_mov_b32 s16, -1
	s_cbranch_vccnz .LBB174_250
; %bb.230:
	v_cmp_gt_i16_e32 vcc_lo, 8, v3
	s_cbranch_vccnz .LBB174_240
; %bb.231:
	v_cmp_gt_i16_e32 vcc_lo, 9, v3
	s_cbranch_vccnz .LBB174_237
; %bb.232:
	v_cmp_lt_i16_e32 vcc_lo, 9, v3
	s_cbranch_vccz .LBB174_234
; %bb.233:
	v_mov_b32_e32 v10, 0
	v_lshlrev_b32_e32 v4, 16, v2
	s_mov_b32 s16, 0
	s_delay_alu instid0(VALU_DEP_2) | instskip(NEXT) | instid1(VALU_DEP_2)
	v_mov_b32_e32 v11, v10
	v_cvt_f64_f32_e32 v[8:9], v4
	global_store_b128 v[0:1], v[8:11], off
.LBB174_234:
	s_and_not1_b32 vcc_lo, exec_lo, s16
	s_cbranch_vccnz .LBB174_236
; %bb.235:
	v_dual_mov_b32 v5, 0 :: v_dual_lshlrev_b32 v4, 16, v2
	global_store_b64 v[0:1], v[4:5], off
.LBB174_236:
	s_mov_b32 s16, 0
.LBB174_237:
	s_delay_alu instid0(SALU_CYCLE_1)
	s_and_not1_b32 vcc_lo, exec_lo, s16
	s_cbranch_vccnz .LBB174_239
; %bb.238:
	v_lshlrev_b32_e32 v4, 16, v2
	s_delay_alu instid0(VALU_DEP_1) | instskip(NEXT) | instid1(VALU_DEP_1)
	v_cvt_f16_f32_e32 v4, v4
	v_and_b32_e32 v4, 0xffff, v4
	global_store_b32 v[0:1], v4, off
.LBB174_239:
	s_mov_b32 s16, 0
.LBB174_240:
	s_delay_alu instid0(SALU_CYCLE_1)
	s_and_not1_b32 vcc_lo, exec_lo, s16
	s_cbranch_vccnz .LBB174_249
; %bb.241:
	v_cmp_gt_i16_e32 vcc_lo, 6, v3
	s_mov_b32 s16, -1
	s_cbranch_vccnz .LBB174_247
; %bb.242:
	v_cmp_lt_i16_e32 vcc_lo, 6, v3
	s_cbranch_vccz .LBB174_244
; %bb.243:
	v_lshlrev_b32_e32 v4, 16, v2
	s_mov_b32 s16, 0
	s_delay_alu instid0(VALU_DEP_1)
	v_cvt_f64_f32_e32 v[4:5], v4
	global_store_b64 v[0:1], v[4:5], off
.LBB174_244:
	s_and_not1_b32 vcc_lo, exec_lo, s16
	s_cbranch_vccnz .LBB174_246
; %bb.245:
	v_lshlrev_b32_e32 v4, 16, v2
	global_store_b32 v[0:1], v4, off
.LBB174_246:
	s_mov_b32 s16, 0
.LBB174_247:
	s_delay_alu instid0(SALU_CYCLE_1)
	s_and_not1_b32 vcc_lo, exec_lo, s16
	s_cbranch_vccnz .LBB174_249
; %bb.248:
	v_lshlrev_b32_e32 v4, 16, v2
	s_delay_alu instid0(VALU_DEP_1)
	v_cvt_f16_f32_e32 v4, v4
	global_store_b16 v[0:1], v4, off
.LBB174_249:
	s_mov_b32 s16, 0
.LBB174_250:
	s_delay_alu instid0(SALU_CYCLE_1)
	s_and_not1_b32 vcc_lo, exec_lo, s16
	s_cbranch_vccnz .LBB174_266
; %bb.251:
	v_cmp_gt_i16_e32 vcc_lo, 2, v3
	s_mov_b32 s16, -1
	s_cbranch_vccnz .LBB174_261
; %bb.252:
	v_cmp_gt_i16_e32 vcc_lo, 3, v3
	s_cbranch_vccnz .LBB174_258
; %bb.253:
	v_cmp_lt_i16_e32 vcc_lo, 3, v3
	s_cbranch_vccz .LBB174_255
; %bb.254:
	v_lshlrev_b32_e32 v4, 16, v2
	s_mov_b32 s16, 0
	s_delay_alu instid0(VALU_DEP_1) | instskip(NEXT) | instid1(VALU_DEP_1)
	v_trunc_f32_e32 v4, v4
	v_mul_f32_e64 v5, 0x2f800000, |v4|
	v_ashrrev_i32_e32 v8, 31, v4
	s_delay_alu instid0(VALU_DEP_2) | instskip(NEXT) | instid1(VALU_DEP_1)
	v_floor_f32_e32 v5, v5
	v_fma_f32 v6, 0xcf800000, v5, |v4|
	v_cvt_u32_f32_e32 v5, v5
	s_delay_alu instid0(VALU_DEP_2) | instskip(NEXT) | instid1(VALU_DEP_2)
	v_cvt_u32_f32_e32 v4, v6
	v_xor_b32_e32 v5, v5, v8
	s_delay_alu instid0(VALU_DEP_2) | instskip(NEXT) | instid1(VALU_DEP_1)
	v_xor_b32_e32 v4, v4, v8
	v_sub_co_u32 v4, vcc_lo, v4, v8
	s_delay_alu instid0(VALU_DEP_3)
	v_sub_co_ci_u32_e32 v5, vcc_lo, v5, v8, vcc_lo
	global_store_b64 v[0:1], v[4:5], off
.LBB174_255:
	s_and_not1_b32 vcc_lo, exec_lo, s16
	s_cbranch_vccnz .LBB174_257
; %bb.256:
	v_lshlrev_b32_e32 v4, 16, v2
	s_delay_alu instid0(VALU_DEP_1)
	v_cvt_i32_f32_e32 v4, v4
	global_store_b32 v[0:1], v4, off
.LBB174_257:
	s_mov_b32 s16, 0
.LBB174_258:
	s_delay_alu instid0(SALU_CYCLE_1)
	s_and_not1_b32 vcc_lo, exec_lo, s16
	s_cbranch_vccnz .LBB174_260
; %bb.259:
	v_lshlrev_b32_e32 v4, 16, v2
	s_delay_alu instid0(VALU_DEP_1)
	v_cvt_i32_f32_e32 v4, v4
	global_store_b16 v[0:1], v4, off
.LBB174_260:
	s_mov_b32 s16, 0
.LBB174_261:
	s_delay_alu instid0(SALU_CYCLE_1)
	s_and_not1_b32 vcc_lo, exec_lo, s16
	s_cbranch_vccnz .LBB174_266
; %bb.262:
	v_cmp_lt_i16_e32 vcc_lo, 0, v3
	s_mov_b32 s16, -1
	s_cbranch_vccz .LBB174_264
; %bb.263:
	v_lshlrev_b32_e32 v3, 16, v2
	s_mov_b32 s16, 0
	s_delay_alu instid0(VALU_DEP_1)
	v_cvt_i32_f32_e32 v3, v3
	global_store_b8 v[0:1], v3, off
.LBB174_264:
	s_and_not1_b32 vcc_lo, exec_lo, s16
	s_cbranch_vccnz .LBB174_266
; %bb.265:
	v_lshlrev_b32_e32 v2, 16, v2
	s_delay_alu instid0(VALU_DEP_1) | instskip(NEXT) | instid1(VALU_DEP_1)
	v_trunc_f32_e32 v2, v2
	v_mul_f32_e64 v3, 0x2f800000, |v2|
	s_delay_alu instid0(VALU_DEP_1) | instskip(NEXT) | instid1(VALU_DEP_1)
	v_floor_f32_e32 v3, v3
	v_fma_f32 v3, 0xcf800000, v3, |v2|
	v_ashrrev_i32_e32 v2, 31, v2
	s_delay_alu instid0(VALU_DEP_2) | instskip(NEXT) | instid1(VALU_DEP_1)
	v_cvt_u32_f32_e32 v3, v3
	v_xor_b32_e32 v3, v3, v2
	s_delay_alu instid0(VALU_DEP_1)
	v_sub_nc_u32_e32 v2, v3, v2
	global_store_b8 v[0:1], v2, off
.LBB174_266:
	s_mov_b32 s16, -1
.LBB174_267:
	s_delay_alu instid0(SALU_CYCLE_1)
	s_and_not1_b32 vcc_lo, exec_lo, s16
	s_cbranch_vccnz .LBB174_376
; %bb.268:
	v_add_nc_u32_e32 v7, 0x80, v7
	s_mov_b32 s22, -1
	s_branch .LBB174_377
.LBB174_269:
	s_mov_b32 s18, -1
                                        ; implicit-def: $vgpr2
.LBB174_270:
	s_mov_b32 s16, 0
.LBB174_271:
	s_delay_alu instid0(SALU_CYCLE_1)
	s_and_b32 vcc_lo, exec_lo, s16
	s_cbranch_vccz .LBB174_275
; %bb.272:
	v_cmp_eq_u16_e32 vcc_lo, 29, v5
	s_cbranch_vccz .LBB174_274
; %bb.273:
	global_load_b64 v[2:3], v[0:1], off
	s_mov_b32 s0, -1
	s_mov_b32 s18, 0
	s_branch .LBB174_275
.LBB174_274:
	s_mov_b32 s18, -1
                                        ; implicit-def: $vgpr2
.LBB174_275:
	s_mov_b32 s16, 0
.LBB174_276:
	s_delay_alu instid0(SALU_CYCLE_1)
	s_and_b32 vcc_lo, exec_lo, s16
	s_cbranch_vccz .LBB174_292
; %bb.277:
	v_cmp_gt_i16_e32 vcc_lo, 27, v5
	s_cbranch_vccnz .LBB174_280
; %bb.278:
	v_cmp_lt_i16_e32 vcc_lo, 27, v5
	s_cbranch_vccz .LBB174_281
; %bb.279:
	global_load_b32 v2, v[0:1], off
	s_mov_b32 s0, 0
	s_branch .LBB174_282
.LBB174_280:
	s_mov_b32 s0, -1
                                        ; implicit-def: $vgpr2
	s_branch .LBB174_285
.LBB174_281:
	s_mov_b32 s0, -1
                                        ; implicit-def: $vgpr2
.LBB174_282:
	s_delay_alu instid0(SALU_CYCLE_1)
	s_and_not1_b32 vcc_lo, exec_lo, s0
	s_cbranch_vccnz .LBB174_284
; %bb.283:
	global_load_u16 v2, v[0:1], off
.LBB174_284:
	s_mov_b32 s0, 0
.LBB174_285:
	s_delay_alu instid0(SALU_CYCLE_1)
	s_and_not1_b32 vcc_lo, exec_lo, s0
	s_cbranch_vccnz .LBB174_291
; %bb.286:
	global_load_u8 v3, v[0:1], off
	s_mov_b32 s16, 0
	s_mov_b32 s0, exec_lo
                                        ; implicit-def: $sgpr22
	s_waitcnt vmcnt(0)
	v_cmpx_lt_i16_e32 0x7f, v3
	s_xor_b32 s0, exec_lo, s0
	s_cbranch_execz .LBB174_303
; %bb.287:
	v_cmp_ne_u16_e32 vcc_lo, 0x80, v3
	s_mov_b32 s22, 0
	s_and_b32 s16, vcc_lo, exec_lo
	s_or_saveexec_b32 s0, s0
	v_mov_b32_e32 v2, s22
	s_xor_b32 exec_lo, exec_lo, s0
	s_cbranch_execnz .LBB174_304
.LBB174_288:
	s_or_b32 exec_lo, exec_lo, s0
	s_and_saveexec_b32 s0, s16
	s_cbranch_execz .LBB174_290
.LBB174_289:
	v_and_b32_e32 v2, 0xffff, v3
	s_delay_alu instid0(VALU_DEP_1) | instskip(NEXT) | instid1(VALU_DEP_1)
	v_and_b32_e32 v6, 7, v2
	v_clz_i32_u32_e32 v8, v6
	s_delay_alu instid0(VALU_DEP_1) | instskip(NEXT) | instid1(VALU_DEP_1)
	v_min_u32_e32 v8, 32, v8
	v_subrev_nc_u32_e32 v9, 28, v8
	v_sub_nc_u32_e32 v8, 29, v8
	s_delay_alu instid0(VALU_DEP_2) | instskip(SKIP_1) | instid1(VALU_DEP_1)
	v_lshlrev_b32_e32 v9, v9, v2
	v_bfe_u32 v2, v2, 3, 4
	v_cmp_eq_u32_e32 vcc_lo, 0, v2
	s_delay_alu instid0(VALU_DEP_3) | instskip(SKIP_1) | instid1(VALU_DEP_2)
	v_dual_cndmask_b32 v2, v2, v8 :: v_dual_and_b32 v9, 7, v9
	v_lshlrev_b32_e32 v3, 24, v3
	v_lshl_add_u32 v2, v2, 23, 0x3b800000
	s_delay_alu instid0(VALU_DEP_2) | instskip(NEXT) | instid1(VALU_DEP_1)
	v_dual_cndmask_b32 v6, v6, v9 :: v_dual_and_b32 v3, 0x80000000, v3
	v_lshlrev_b32_e32 v6, 20, v6
	s_delay_alu instid0(VALU_DEP_1) | instskip(NEXT) | instid1(VALU_DEP_1)
	v_or3_b32 v2, v3, v2, v6
	v_trunc_f32_e32 v2, v2
	s_delay_alu instid0(VALU_DEP_1) | instskip(NEXT) | instid1(VALU_DEP_1)
	v_mul_f32_e64 v3, 0x2f800000, |v2|
	v_floor_f32_e32 v3, v3
	s_delay_alu instid0(VALU_DEP_1) | instskip(SKIP_1) | instid1(VALU_DEP_2)
	v_fma_f32 v3, 0xcf800000, v3, |v2|
	v_ashrrev_i32_e32 v2, 31, v2
	v_cvt_u32_f32_e32 v3, v3
	s_delay_alu instid0(VALU_DEP_1) | instskip(NEXT) | instid1(VALU_DEP_1)
	v_xor_b32_e32 v3, v3, v2
	v_sub_nc_u32_e32 v2, v3, v2
.LBB174_290:
	s_or_b32 exec_lo, exec_lo, s0
.LBB174_291:
	s_mov_b32 s0, -1
.LBB174_292:
	s_mov_b32 s16, 0
.LBB174_293:
	s_delay_alu instid0(SALU_CYCLE_1)
	s_and_b32 vcc_lo, exec_lo, s16
	s_cbranch_vccz .LBB174_326
; %bb.294:
	v_cmp_lt_i16_e32 vcc_lo, 22, v5
	s_cbranch_vccz .LBB174_302
; %bb.295:
	v_cmp_gt_i16_e32 vcc_lo, 24, v5
	s_cbranch_vccnz .LBB174_305
; %bb.296:
	v_cmp_lt_i16_e32 vcc_lo, 24, v5
	s_cbranch_vccz .LBB174_306
; %bb.297:
	global_load_u8 v3, v[0:1], off
	s_mov_b32 s16, 0
	s_mov_b32 s0, exec_lo
                                        ; implicit-def: $sgpr22
	s_waitcnt vmcnt(0)
	v_cmpx_lt_i16_e32 0x7f, v3
	s_xor_b32 s0, exec_lo, s0
	s_cbranch_execz .LBB174_318
; %bb.298:
	v_cmp_ne_u16_e32 vcc_lo, 0x80, v3
	s_mov_b32 s22, 0
	s_and_b32 s16, vcc_lo, exec_lo
	s_or_saveexec_b32 s0, s0
	v_mov_b32_e32 v2, s22
	s_xor_b32 exec_lo, exec_lo, s0
	s_cbranch_execnz .LBB174_319
.LBB174_299:
	s_or_b32 exec_lo, exec_lo, s0
	s_and_saveexec_b32 s0, s16
	s_cbranch_execz .LBB174_301
.LBB174_300:
	v_and_b32_e32 v2, 0xffff, v3
	s_delay_alu instid0(VALU_DEP_1) | instskip(NEXT) | instid1(VALU_DEP_1)
	v_and_b32_e32 v6, 3, v2
	v_clz_i32_u32_e32 v8, v6
	s_delay_alu instid0(VALU_DEP_1) | instskip(NEXT) | instid1(VALU_DEP_1)
	v_min_u32_e32 v8, 32, v8
	v_subrev_nc_u32_e32 v9, 29, v8
	v_sub_nc_u32_e32 v8, 30, v8
	s_delay_alu instid0(VALU_DEP_2) | instskip(SKIP_1) | instid1(VALU_DEP_1)
	v_lshlrev_b32_e32 v9, v9, v2
	v_bfe_u32 v2, v2, 2, 5
	v_cmp_eq_u32_e32 vcc_lo, 0, v2
	s_delay_alu instid0(VALU_DEP_3) | instskip(SKIP_1) | instid1(VALU_DEP_2)
	v_dual_cndmask_b32 v2, v2, v8 :: v_dual_and_b32 v9, 3, v9
	v_lshlrev_b32_e32 v3, 24, v3
	v_lshl_add_u32 v2, v2, 23, 0x37800000
	s_delay_alu instid0(VALU_DEP_2) | instskip(NEXT) | instid1(VALU_DEP_1)
	v_dual_cndmask_b32 v6, v6, v9 :: v_dual_and_b32 v3, 0x80000000, v3
	v_lshlrev_b32_e32 v6, 21, v6
	s_delay_alu instid0(VALU_DEP_1) | instskip(NEXT) | instid1(VALU_DEP_1)
	v_or3_b32 v2, v3, v2, v6
	v_trunc_f32_e32 v2, v2
	s_delay_alu instid0(VALU_DEP_1) | instskip(NEXT) | instid1(VALU_DEP_1)
	v_mul_f32_e64 v3, 0x2f800000, |v2|
	v_floor_f32_e32 v3, v3
	s_delay_alu instid0(VALU_DEP_1) | instskip(SKIP_1) | instid1(VALU_DEP_2)
	v_fma_f32 v3, 0xcf800000, v3, |v2|
	v_ashrrev_i32_e32 v2, 31, v2
	v_cvt_u32_f32_e32 v3, v3
	s_delay_alu instid0(VALU_DEP_1) | instskip(NEXT) | instid1(VALU_DEP_1)
	v_xor_b32_e32 v3, v3, v2
	v_sub_nc_u32_e32 v2, v3, v2
.LBB174_301:
	s_or_b32 exec_lo, exec_lo, s0
	s_mov_b32 s0, 0
	s_branch .LBB174_307
.LBB174_302:
	s_mov_b32 s16, -1
                                        ; implicit-def: $vgpr2
	s_branch .LBB174_313
.LBB174_303:
	s_or_saveexec_b32 s0, s0
	v_mov_b32_e32 v2, s22
	s_xor_b32 exec_lo, exec_lo, s0
	s_cbranch_execz .LBB174_288
.LBB174_304:
	v_cmp_ne_u16_e32 vcc_lo, 0, v3
	v_mov_b32_e32 v2, 0
	s_and_not1_b32 s16, s16, exec_lo
	s_and_b32 s22, vcc_lo, exec_lo
	s_delay_alu instid0(SALU_CYCLE_1)
	s_or_b32 s16, s16, s22
	s_or_b32 exec_lo, exec_lo, s0
	s_and_saveexec_b32 s0, s16
	s_cbranch_execnz .LBB174_289
	s_branch .LBB174_290
.LBB174_305:
	s_mov_b32 s0, -1
                                        ; implicit-def: $vgpr2
	s_branch .LBB174_310
.LBB174_306:
	s_mov_b32 s0, -1
                                        ; implicit-def: $vgpr2
.LBB174_307:
	s_delay_alu instid0(SALU_CYCLE_1)
	s_and_b32 vcc_lo, exec_lo, s0
	s_cbranch_vccz .LBB174_309
; %bb.308:
	global_load_u8 v2, v[0:1], off
	s_waitcnt vmcnt(0)
	v_lshlrev_b32_e32 v2, 24, v2
	s_delay_alu instid0(VALU_DEP_1) | instskip(NEXT) | instid1(VALU_DEP_1)
	v_and_b32_e32 v3, 0x7f000000, v2
	v_clz_i32_u32_e32 v6, v3
	v_cmp_ne_u32_e32 vcc_lo, 0, v3
	v_add_nc_u32_e32 v9, 0x1000000, v3
	s_delay_alu instid0(VALU_DEP_3) | instskip(NEXT) | instid1(VALU_DEP_1)
	v_min_u32_e32 v6, 32, v6
	v_sub_nc_u32_e64 v6, v6, 4 clamp
	s_delay_alu instid0(VALU_DEP_1) | instskip(SKIP_1) | instid1(VALU_DEP_2)
	v_lshlrev_b32_e32 v8, v6, v3
	v_lshlrev_b32_e32 v6, 23, v6
	v_lshrrev_b32_e32 v8, 4, v8
	s_delay_alu instid0(VALU_DEP_1) | instskip(SKIP_1) | instid1(VALU_DEP_2)
	v_sub_nc_u32_e32 v6, v8, v6
	v_ashrrev_i32_e32 v8, 8, v9
	v_add_nc_u32_e32 v6, 0x3c000000, v6
	s_delay_alu instid0(VALU_DEP_1) | instskip(NEXT) | instid1(VALU_DEP_1)
	v_and_or_b32 v6, 0x7f800000, v8, v6
	v_cndmask_b32_e32 v3, 0, v6, vcc_lo
	s_delay_alu instid0(VALU_DEP_1) | instskip(NEXT) | instid1(VALU_DEP_1)
	v_and_or_b32 v2, 0x80000000, v2, v3
	v_trunc_f32_e32 v2, v2
	s_delay_alu instid0(VALU_DEP_1) | instskip(NEXT) | instid1(VALU_DEP_1)
	v_mul_f32_e64 v3, 0x2f800000, |v2|
	v_floor_f32_e32 v3, v3
	s_delay_alu instid0(VALU_DEP_1) | instskip(SKIP_1) | instid1(VALU_DEP_2)
	v_fma_f32 v3, 0xcf800000, v3, |v2|
	v_ashrrev_i32_e32 v2, 31, v2
	v_cvt_u32_f32_e32 v3, v3
	s_delay_alu instid0(VALU_DEP_1) | instskip(NEXT) | instid1(VALU_DEP_1)
	v_xor_b32_e32 v3, v3, v2
	v_sub_nc_u32_e32 v2, v3, v2
.LBB174_309:
	s_mov_b32 s0, 0
.LBB174_310:
	s_delay_alu instid0(SALU_CYCLE_1)
	s_and_not1_b32 vcc_lo, exec_lo, s0
	s_cbranch_vccnz .LBB174_312
; %bb.311:
	global_load_u8 v2, v[0:1], off
	s_waitcnt vmcnt(0)
	v_lshlrev_b32_e32 v3, 25, v2
	v_lshlrev_b16 v2, 8, v2
	s_delay_alu instid0(VALU_DEP_1) | instskip(SKIP_1) | instid1(VALU_DEP_2)
	v_and_or_b32 v8, 0x7f00, v2, 0.5
	v_bfe_i32 v2, v2, 0, 16
	v_add_f32_e32 v8, -0.5, v8
	v_lshrrev_b32_e32 v6, 4, v3
	v_cmp_gt_u32_e32 vcc_lo, 0x8000000, v3
	s_delay_alu instid0(VALU_DEP_2) | instskip(NEXT) | instid1(VALU_DEP_1)
	v_or_b32_e32 v6, 0x70000000, v6
	v_mul_f32_e32 v6, 0x7800000, v6
	s_delay_alu instid0(VALU_DEP_1) | instskip(NEXT) | instid1(VALU_DEP_1)
	v_cndmask_b32_e32 v3, v6, v8, vcc_lo
	v_and_or_b32 v2, 0x80000000, v2, v3
	s_delay_alu instid0(VALU_DEP_1) | instskip(NEXT) | instid1(VALU_DEP_1)
	v_trunc_f32_e32 v2, v2
	v_mul_f32_e64 v3, 0x2f800000, |v2|
	s_delay_alu instid0(VALU_DEP_1) | instskip(NEXT) | instid1(VALU_DEP_1)
	v_floor_f32_e32 v3, v3
	v_fma_f32 v3, 0xcf800000, v3, |v2|
	v_ashrrev_i32_e32 v2, 31, v2
	s_delay_alu instid0(VALU_DEP_2) | instskip(NEXT) | instid1(VALU_DEP_1)
	v_cvt_u32_f32_e32 v3, v3
	v_xor_b32_e32 v3, v3, v2
	s_delay_alu instid0(VALU_DEP_1)
	v_sub_nc_u32_e32 v2, v3, v2
.LBB174_312:
	s_mov_b32 s16, 0
	s_mov_b32 s0, -1
.LBB174_313:
	s_and_not1_b32 vcc_lo, exec_lo, s16
	s_cbranch_vccnz .LBB174_326
; %bb.314:
	v_cmp_lt_i16_e32 vcc_lo, 14, v5
	s_cbranch_vccz .LBB174_317
; %bb.315:
	v_cmp_eq_u16_e32 vcc_lo, 15, v5
	s_cbranch_vccz .LBB174_320
; %bb.316:
	global_load_u16 v2, v[0:1], off
	s_mov_b32 s0, -1
	s_mov_b32 s18, 0
	s_waitcnt vmcnt(0)
	v_lshlrev_b32_e32 v2, 16, v2
	s_delay_alu instid0(VALU_DEP_1) | instskip(NEXT) | instid1(VALU_DEP_1)
	v_trunc_f32_e32 v2, v2
	v_mul_f32_e64 v3, 0x2f800000, |v2|
	s_delay_alu instid0(VALU_DEP_1) | instskip(NEXT) | instid1(VALU_DEP_1)
	v_floor_f32_e32 v3, v3
	v_fma_f32 v3, 0xcf800000, v3, |v2|
	v_ashrrev_i32_e32 v2, 31, v2
	s_delay_alu instid0(VALU_DEP_2) | instskip(NEXT) | instid1(VALU_DEP_1)
	v_cvt_u32_f32_e32 v3, v3
	v_xor_b32_e32 v3, v3, v2
	s_delay_alu instid0(VALU_DEP_1)
	v_sub_nc_u32_e32 v2, v3, v2
	s_branch .LBB174_321
.LBB174_317:
	s_mov_b32 s16, -1
                                        ; implicit-def: $vgpr2
	s_branch .LBB174_322
.LBB174_318:
	s_or_saveexec_b32 s0, s0
	v_mov_b32_e32 v2, s22
	s_xor_b32 exec_lo, exec_lo, s0
	s_cbranch_execz .LBB174_299
.LBB174_319:
	v_cmp_ne_u16_e32 vcc_lo, 0, v3
	v_mov_b32_e32 v2, 0
	s_and_not1_b32 s16, s16, exec_lo
	s_and_b32 s22, vcc_lo, exec_lo
	s_delay_alu instid0(SALU_CYCLE_1)
	s_or_b32 s16, s16, s22
	s_or_b32 exec_lo, exec_lo, s0
	s_and_saveexec_b32 s0, s16
	s_cbranch_execnz .LBB174_300
	s_branch .LBB174_301
.LBB174_320:
	s_mov_b32 s18, -1
                                        ; implicit-def: $vgpr2
.LBB174_321:
	s_mov_b32 s16, 0
.LBB174_322:
	s_delay_alu instid0(SALU_CYCLE_1)
	s_and_b32 vcc_lo, exec_lo, s16
	s_cbranch_vccz .LBB174_326
; %bb.323:
	v_cmp_eq_u16_e32 vcc_lo, 11, v5
	s_cbranch_vccz .LBB174_325
; %bb.324:
	global_load_u8 v2, v[0:1], off
	s_mov_b32 s18, 0
	s_mov_b32 s0, -1
	s_waitcnt vmcnt(0)
	v_cmp_ne_u16_e32 vcc_lo, 0, v2
	v_cndmask_b32_e64 v2, 0, 1, vcc_lo
	s_branch .LBB174_326
.LBB174_325:
	s_mov_b32 s18, -1
                                        ; implicit-def: $vgpr2
.LBB174_326:
	s_branch .LBB174_20
.LBB174_327:
	v_cmp_gt_i16_e32 vcc_lo, 5, v5
	s_cbranch_vccnz .LBB174_332
; %bb.328:
	v_cmp_gt_i16_e32 vcc_lo, 8, v5
	s_cbranch_vccnz .LBB174_333
; %bb.329:
	;; [unrolled: 3-line block ×3, first 2 shown]
	v_cmp_lt_i16_e32 vcc_lo, 9, v5
	s_cbranch_vccz .LBB174_335
; %bb.331:
	global_load_b64 v[2:3], v[0:1], off
	s_mov_b32 s0, 0
	s_waitcnt vmcnt(0)
	v_trunc_f64_e32 v[2:3], v[2:3]
	s_delay_alu instid0(VALU_DEP_1) | instskip(NEXT) | instid1(VALU_DEP_1)
	v_ldexp_f64 v[8:9], v[2:3], 0xffffffe0
	v_floor_f64_e32 v[8:9], v[8:9]
	s_delay_alu instid0(VALU_DEP_1) | instskip(NEXT) | instid1(VALU_DEP_1)
	v_fma_f64 v[2:3], 0xc1f00000, v[8:9], v[2:3]
	v_cvt_u32_f64_e32 v2, v[2:3]
	s_branch .LBB174_336
.LBB174_332:
	s_mov_b32 s0, -1
                                        ; implicit-def: $vgpr2
	s_branch .LBB174_354
.LBB174_333:
	s_mov_b32 s0, -1
                                        ; implicit-def: $vgpr2
	s_branch .LBB174_342
.LBB174_334:
	s_mov_b32 s0, -1
                                        ; implicit-def: $vgpr2
	s_branch .LBB174_339
.LBB174_335:
	s_mov_b32 s0, -1
                                        ; implicit-def: $vgpr2
.LBB174_336:
	s_delay_alu instid0(SALU_CYCLE_1)
	s_and_not1_b32 vcc_lo, exec_lo, s0
	s_cbranch_vccnz .LBB174_338
; %bb.337:
	global_load_b32 v2, v[0:1], off
	s_waitcnt vmcnt(0)
	v_trunc_f32_e32 v2, v2
	s_delay_alu instid0(VALU_DEP_1) | instskip(NEXT) | instid1(VALU_DEP_1)
	v_mul_f32_e64 v3, 0x2f800000, |v2|
	v_floor_f32_e32 v3, v3
	s_delay_alu instid0(VALU_DEP_1) | instskip(SKIP_1) | instid1(VALU_DEP_2)
	v_fma_f32 v3, 0xcf800000, v3, |v2|
	v_ashrrev_i32_e32 v2, 31, v2
	v_cvt_u32_f32_e32 v3, v3
	s_delay_alu instid0(VALU_DEP_1) | instskip(NEXT) | instid1(VALU_DEP_1)
	v_xor_b32_e32 v3, v3, v2
	v_sub_nc_u32_e32 v2, v3, v2
.LBB174_338:
	s_mov_b32 s0, 0
.LBB174_339:
	s_delay_alu instid0(SALU_CYCLE_1)
	s_and_not1_b32 vcc_lo, exec_lo, s0
	s_cbranch_vccnz .LBB174_341
; %bb.340:
	global_load_b32 v2, v[0:1], off
	s_waitcnt vmcnt(0)
	v_cvt_f32_f16_e32 v2, v2
	s_delay_alu instid0(VALU_DEP_1)
	v_cvt_i32_f32_e32 v2, v2
.LBB174_341:
	s_mov_b32 s0, 0
.LBB174_342:
	s_delay_alu instid0(SALU_CYCLE_1)
	s_and_not1_b32 vcc_lo, exec_lo, s0
	s_cbranch_vccnz .LBB174_353
; %bb.343:
	v_cmp_gt_i16_e32 vcc_lo, 6, v5
	s_cbranch_vccnz .LBB174_346
; %bb.344:
	v_cmp_lt_i16_e32 vcc_lo, 6, v5
	s_cbranch_vccz .LBB174_347
; %bb.345:
	global_load_b64 v[2:3], v[0:1], off
	s_mov_b32 s0, 0
	s_waitcnt vmcnt(0)
	v_trunc_f64_e32 v[2:3], v[2:3]
	s_delay_alu instid0(VALU_DEP_1) | instskip(NEXT) | instid1(VALU_DEP_1)
	v_ldexp_f64 v[8:9], v[2:3], 0xffffffe0
	v_floor_f64_e32 v[8:9], v[8:9]
	s_delay_alu instid0(VALU_DEP_1) | instskip(NEXT) | instid1(VALU_DEP_1)
	v_fma_f64 v[2:3], 0xc1f00000, v[8:9], v[2:3]
	v_cvt_u32_f64_e32 v2, v[2:3]
	s_branch .LBB174_348
.LBB174_346:
	s_mov_b32 s0, -1
                                        ; implicit-def: $vgpr2
	s_branch .LBB174_351
.LBB174_347:
	s_mov_b32 s0, -1
                                        ; implicit-def: $vgpr2
.LBB174_348:
	s_delay_alu instid0(SALU_CYCLE_1)
	s_and_not1_b32 vcc_lo, exec_lo, s0
	s_cbranch_vccnz .LBB174_350
; %bb.349:
	global_load_b32 v2, v[0:1], off
	s_waitcnt vmcnt(0)
	v_trunc_f32_e32 v2, v2
	s_delay_alu instid0(VALU_DEP_1) | instskip(NEXT) | instid1(VALU_DEP_1)
	v_mul_f32_e64 v3, 0x2f800000, |v2|
	v_floor_f32_e32 v3, v3
	s_delay_alu instid0(VALU_DEP_1) | instskip(SKIP_1) | instid1(VALU_DEP_2)
	v_fma_f32 v3, 0xcf800000, v3, |v2|
	v_ashrrev_i32_e32 v2, 31, v2
	v_cvt_u32_f32_e32 v3, v3
	s_delay_alu instid0(VALU_DEP_1) | instskip(NEXT) | instid1(VALU_DEP_1)
	v_xor_b32_e32 v3, v3, v2
	v_sub_nc_u32_e32 v2, v3, v2
.LBB174_350:
	s_mov_b32 s0, 0
.LBB174_351:
	s_delay_alu instid0(SALU_CYCLE_1)
	s_and_not1_b32 vcc_lo, exec_lo, s0
	s_cbranch_vccnz .LBB174_353
; %bb.352:
	global_load_u16 v2, v[0:1], off
	s_waitcnt vmcnt(0)
	v_cvt_f32_f16_e32 v2, v2
	s_delay_alu instid0(VALU_DEP_1)
	v_cvt_i32_f32_e32 v2, v2
.LBB174_353:
	s_mov_b32 s0, 0
.LBB174_354:
	s_delay_alu instid0(SALU_CYCLE_1)
	s_and_not1_b32 vcc_lo, exec_lo, s0
	s_cbranch_vccnz .LBB174_374
; %bb.355:
	v_cmp_gt_i16_e32 vcc_lo, 2, v5
	s_cbranch_vccnz .LBB174_359
; %bb.356:
	v_cmp_gt_i16_e32 vcc_lo, 3, v5
	s_cbranch_vccnz .LBB174_360
; %bb.357:
	v_cmp_lt_i16_e32 vcc_lo, 3, v5
	s_cbranch_vccz .LBB174_361
; %bb.358:
	global_load_b64 v[2:3], v[0:1], off
	s_mov_b32 s0, 0
	s_branch .LBB174_362
.LBB174_359:
	s_mov_b32 s0, -1
                                        ; implicit-def: $vgpr2
	s_branch .LBB174_368
.LBB174_360:
	s_mov_b32 s0, -1
                                        ; implicit-def: $vgpr2
	s_branch .LBB174_365
.LBB174_361:
	s_mov_b32 s0, -1
                                        ; implicit-def: $vgpr2
.LBB174_362:
	s_delay_alu instid0(SALU_CYCLE_1)
	s_and_not1_b32 vcc_lo, exec_lo, s0
	s_cbranch_vccnz .LBB174_364
; %bb.363:
	global_load_b32 v2, v[0:1], off
.LBB174_364:
	s_mov_b32 s0, 0
.LBB174_365:
	s_delay_alu instid0(SALU_CYCLE_1)
	s_and_not1_b32 vcc_lo, exec_lo, s0
	s_cbranch_vccnz .LBB174_367
; %bb.366:
	global_load_u16 v2, v[0:1], off
.LBB174_367:
	s_mov_b32 s0, 0
.LBB174_368:
	s_delay_alu instid0(SALU_CYCLE_1)
	s_and_not1_b32 vcc_lo, exec_lo, s0
	s_cbranch_vccnz .LBB174_374
; %bb.369:
	v_cmp_lt_i16_e32 vcc_lo, 0, v5
	s_mov_b32 s0, 0
	s_cbranch_vccz .LBB174_371
; %bb.370:
	global_load_u8 v2, v[0:1], off
	s_branch .LBB174_372
.LBB174_371:
	s_mov_b32 s0, -1
                                        ; implicit-def: $vgpr2
.LBB174_372:
	s_delay_alu instid0(SALU_CYCLE_1)
	s_and_not1_b32 vcc_lo, exec_lo, s0
	s_cbranch_vccnz .LBB174_374
; %bb.373:
	global_load_u8 v2, v[0:1], off
.LBB174_374:
	s_branch .LBB174_21
.LBB174_375:
	s_mov_b32 s0, 0
.LBB174_376:
	s_mov_b32 s22, 0
                                        ; implicit-def: $vgpr7
.LBB174_377:
	s_and_b32 s16, s0, exec_lo
	s_and_b32 s18, s18, exec_lo
	;; [unrolled: 1-line block ×3, first 2 shown]
	s_or_not1_b32 s23, s22, exec_lo
.LBB174_378:
	s_or_b32 exec_lo, exec_lo, s20
	s_mov_b32 s22, 0
	s_mov_b32 s0, 0
                                        ; implicit-def: $vgpr2
                                        ; implicit-def: $vgpr0_vgpr1
                                        ; implicit-def: $vgpr4
	s_and_saveexec_b32 s20, s23
	s_cbranch_execz .LBB174_1236
; %bb.379:
	s_mov_b32 s26, -1
	s_mov_b32 s21, s19
	s_mov_b32 s23, s18
	;; [unrolled: 1-line block ×3, first 2 shown]
	s_mov_b32 s24, exec_lo
	v_cmpx_gt_i32_e64 s17, v7
	s_cbranch_execz .LBB174_764
; %bb.380:
	v_mul_lo_u32 v0, v7, s9
	s_waitcnt vmcnt(0)
	v_and_b32_e64 v2, 0xff, s14
	s_delay_alu instid0(VALU_DEP_1) | instskip(NEXT) | instid1(VALU_DEP_3)
	v_cmp_gt_i16_e32 vcc_lo, 11, v2
	v_ashrrev_i32_e32 v1, 31, v0
	v_add_co_u32 v0, s0, s6, v0
	s_delay_alu instid0(VALU_DEP_1)
	v_add_co_ci_u32_e64 v1, s0, s7, v1, s0
	s_cbranch_vccnz .LBB174_387
; %bb.381:
	v_cmp_lt_i16_e32 vcc_lo, 25, v2
	s_cbranch_vccz .LBB174_396
; %bb.382:
	v_cmp_lt_i16_e32 vcc_lo, 28, v2
	s_cbranch_vccz .LBB174_398
	;; [unrolled: 3-line block ×4, first 2 shown]
; %bb.385:
	v_cmp_eq_u16_e32 vcc_lo, 46, v2
	s_mov_b32 s22, 0
	s_cbranch_vccz .LBB174_406
; %bb.386:
	global_load_b32 v4, v[0:1], off
	s_mov_b32 s0, -1
	s_mov_b32 s21, 0
	s_branch .LBB174_408
.LBB174_387:
	s_mov_b32 s0, 0
	s_mov_b32 s21, s19
                                        ; implicit-def: $vgpr4
	s_cbranch_execnz .LBB174_474
.LBB174_388:
	s_and_not1_b32 vcc_lo, exec_lo, s0
	s_cbranch_vccnz .LBB174_522
.LBB174_389:
	v_mul_lo_u32 v0, v7, s10
	v_and_b32_e64 v5, 0xff, s1
	s_delay_alu instid0(VALU_DEP_1) | instskip(NEXT) | instid1(VALU_DEP_3)
	v_cmp_gt_i16_e32 vcc_lo, 11, v5
	v_ashrrev_i32_e32 v1, 31, v0
	v_add_co_u32 v0, s0, s2, v0
	s_delay_alu instid0(VALU_DEP_1)
	v_add_co_ci_u32_e64 v1, s0, s3, v1, s0
	s_cbranch_vccnz .LBB174_397
; %bb.390:
	v_cmp_lt_i16_e32 vcc_lo, 25, v5
	s_cbranch_vccz .LBB174_399
; %bb.391:
	v_cmp_lt_i16_e32 vcc_lo, 28, v5
	s_cbranch_vccz .LBB174_401
	;; [unrolled: 3-line block ×4, first 2 shown]
; %bb.394:
	v_cmp_eq_u16_e32 vcc_lo, 46, v5
	s_mov_b32 s22, 0
	s_cbranch_vccz .LBB174_525
; %bb.395:
	global_load_b32 v2, v[0:1], off
	s_mov_b32 s0, -1
	s_mov_b32 s23, 0
	s_waitcnt vmcnt(0)
	v_lshlrev_b32_e32 v2, 16, v2
	s_delay_alu instid0(VALU_DEP_1) | instskip(NEXT) | instid1(VALU_DEP_1)
	v_trunc_f32_e32 v2, v2
	v_mul_f32_e64 v3, 0x2f800000, |v2|
	s_delay_alu instid0(VALU_DEP_1) | instskip(NEXT) | instid1(VALU_DEP_1)
	v_floor_f32_e32 v3, v3
	v_fma_f32 v3, 0xcf800000, v3, |v2|
	v_ashrrev_i32_e32 v2, 31, v2
	s_delay_alu instid0(VALU_DEP_2) | instskip(NEXT) | instid1(VALU_DEP_1)
	v_cvt_u32_f32_e32 v3, v3
	v_xor_b32_e32 v3, v3, v2
	s_delay_alu instid0(VALU_DEP_1)
	v_sub_nc_u32_e32 v2, v3, v2
	s_branch .LBB174_527
.LBB174_396:
	s_mov_b32 s22, -1
	s_mov_b32 s0, 0
	s_mov_b32 s21, s19
                                        ; implicit-def: $vgpr4
	s_branch .LBB174_438
.LBB174_397:
	s_mov_b32 s22, -1
	s_mov_b32 s0, 0
	s_mov_b32 s23, s18
                                        ; implicit-def: $vgpr2
	s_branch .LBB174_588
.LBB174_398:
	s_mov_b32 s22, -1
	s_mov_b32 s0, 0
	s_mov_b32 s21, s19
                                        ; implicit-def: $vgpr4
	s_branch .LBB174_419
.LBB174_399:
	s_mov_b32 s22, -1
	s_mov_b32 s0, 0
	s_mov_b32 s23, s18
                                        ; implicit-def: $vgpr2
	s_branch .LBB174_554
.LBB174_400:
	s_mov_b32 s22, -1
	s_mov_b32 s0, 0
	s_mov_b32 s21, s19
                                        ; implicit-def: $vgpr4
	s_branch .LBB174_414
.LBB174_401:
	s_mov_b32 s22, -1
	s_mov_b32 s0, 0
	s_mov_b32 s23, s18
                                        ; implicit-def: $vgpr2
	s_branch .LBB174_537
.LBB174_402:
	s_mov_b32 s22, -1
	s_mov_b32 s0, 0
	s_mov_b32 s21, s19
	s_branch .LBB174_407
.LBB174_403:
	s_mov_b32 s22, -1
	s_mov_b32 s0, 0
	s_mov_b32 s23, s18
                                        ; implicit-def: $vgpr2
	s_branch .LBB174_532
.LBB174_404:
	s_or_saveexec_b32 s23, s23
                                        ; implicit-def: $sgpr24
	s_delay_alu instid0(SALU_CYCLE_1)
	s_xor_b32 exec_lo, exec_lo, s23
	s_cbranch_execz .LBB174_180
.LBB174_405:
	v_add_f32_e64 v5, 0x46000000, |v6|
	s_and_not1_b32 s22, s22, exec_lo
	s_mov_b32 s24, 0
	s_delay_alu instid0(VALU_DEP_1) | instskip(NEXT) | instid1(VALU_DEP_1)
	v_and_b32_e32 v5, 0xff, v5
	v_cmp_ne_u32_e32 vcc_lo, 0, v5
	s_and_b32 s25, vcc_lo, exec_lo
	s_delay_alu instid0(SALU_CYCLE_1)
	s_or_b32 s22, s22, s25
	s_or_b32 exec_lo, exec_lo, s23
	v_mov_b32_e32 v8, s24
	s_and_saveexec_b32 s23, s22
	s_cbranch_execnz .LBB174_181
	s_branch .LBB174_182
.LBB174_406:
	s_mov_b32 s21, -1
	s_mov_b32 s0, 0
.LBB174_407:
                                        ; implicit-def: $vgpr4
.LBB174_408:
	s_and_b32 vcc_lo, exec_lo, s22
	s_cbranch_vccz .LBB174_413
; %bb.409:
	v_cmp_eq_u16_e32 vcc_lo, 44, v2
	s_cbranch_vccz .LBB174_412
; %bb.410:
	global_load_u8 v3, v[0:1], off
	s_mov_b32 s21, 0
	s_mov_b32 s0, -1
	s_waitcnt vmcnt(0)
	v_lshlrev_b32_e32 v4, 23, v3
	v_cmp_ne_u32_e32 vcc_lo, 0xff, v3
	s_delay_alu instid0(VALU_DEP_2) | instskip(SKIP_1) | instid1(VALU_DEP_2)
	v_cndmask_b32_e32 v4, 0x7f800001, v4, vcc_lo
	v_cmp_ne_u32_e32 vcc_lo, 0, v3
	v_cndmask_b32_e32 v3, 0x400000, v4, vcc_lo
	s_delay_alu instid0(VALU_DEP_1) | instskip(SKIP_1) | instid1(VALU_DEP_2)
	v_add_nc_u32_e32 v4, 0x7fff, v3
	v_cmp_o_f32_e32 vcc_lo, v3, v3
	v_lshrrev_b32_e32 v4, 16, v4
	s_delay_alu instid0(VALU_DEP_1)
	v_cndmask_b32_e32 v4, 0x7fc0, v4, vcc_lo
	s_branch .LBB174_413
.LBB174_411:
	s_mov_b32 s22, -1
	s_mov_b32 s0, 0
	s_mov_b32 s23, s18
	s_branch .LBB174_526
.LBB174_412:
	s_mov_b32 s21, -1
                                        ; implicit-def: $vgpr4
.LBB174_413:
	s_mov_b32 s22, 0
.LBB174_414:
	s_delay_alu instid0(SALU_CYCLE_1)
	s_and_b32 vcc_lo, exec_lo, s22
	s_cbranch_vccz .LBB174_418
; %bb.415:
	v_cmp_eq_u16_e32 vcc_lo, 29, v2
	s_cbranch_vccz .LBB174_417
; %bb.416:
	global_load_b64 v[3:4], v[0:1], off
	s_mov_b32 s0, -1
	s_mov_b32 s21, 0
	s_mov_b32 s22, 0
	s_waitcnt vmcnt(0)
	v_clz_i32_u32_e32 v5, v4
	s_delay_alu instid0(VALU_DEP_1) | instskip(NEXT) | instid1(VALU_DEP_1)
	v_min_u32_e32 v5, 32, v5
	v_lshlrev_b64 v[3:4], v5, v[3:4]
	s_delay_alu instid0(VALU_DEP_1) | instskip(NEXT) | instid1(VALU_DEP_1)
	v_min_u32_e32 v3, 1, v3
	v_or_b32_e32 v3, v4, v3
	v_sub_nc_u32_e32 v4, 32, v5
	s_delay_alu instid0(VALU_DEP_2) | instskip(NEXT) | instid1(VALU_DEP_1)
	v_cvt_f32_u32_e32 v3, v3
	v_ldexp_f32 v3, v3, v4
	s_delay_alu instid0(VALU_DEP_1) | instskip(NEXT) | instid1(VALU_DEP_1)
	v_bfe_u32 v4, v3, 16, 1
	v_add3_u32 v3, v3, v4, 0x7fff
	s_delay_alu instid0(VALU_DEP_1)
	v_lshrrev_b32_e32 v4, 16, v3
	s_branch .LBB174_419
.LBB174_417:
	s_mov_b32 s21, -1
                                        ; implicit-def: $vgpr4
.LBB174_418:
	s_mov_b32 s22, 0
.LBB174_419:
	s_delay_alu instid0(SALU_CYCLE_1)
	s_and_b32 vcc_lo, exec_lo, s22
	s_cbranch_vccz .LBB174_437
; %bb.420:
	v_cmp_gt_i16_e32 vcc_lo, 27, v2
	s_cbranch_vccnz .LBB174_423
; %bb.421:
	v_cmp_lt_i16_e32 vcc_lo, 27, v2
	s_cbranch_vccz .LBB174_424
; %bb.422:
	global_load_b32 v3, v[0:1], off
	s_mov_b32 s0, 0
	s_waitcnt vmcnt(0)
	v_cvt_f32_u32_e32 v3, v3
	s_delay_alu instid0(VALU_DEP_1) | instskip(NEXT) | instid1(VALU_DEP_1)
	v_bfe_u32 v4, v3, 16, 1
	v_add3_u32 v3, v3, v4, 0x7fff
	s_delay_alu instid0(VALU_DEP_1)
	v_lshrrev_b32_e32 v4, 16, v3
	s_branch .LBB174_425
.LBB174_423:
	s_mov_b32 s0, -1
                                        ; implicit-def: $vgpr4
	s_branch .LBB174_428
.LBB174_424:
	s_mov_b32 s0, -1
                                        ; implicit-def: $vgpr4
.LBB174_425:
	s_delay_alu instid0(SALU_CYCLE_1)
	s_and_not1_b32 vcc_lo, exec_lo, s0
	s_cbranch_vccnz .LBB174_427
; %bb.426:
	global_load_u16 v3, v[0:1], off
	s_waitcnt vmcnt(0)
	v_cvt_f32_u32_e32 v3, v3
	s_delay_alu instid0(VALU_DEP_1) | instskip(NEXT) | instid1(VALU_DEP_1)
	v_bfe_u32 v4, v3, 16, 1
	v_add3_u32 v3, v3, v4, 0x7fff
	s_delay_alu instid0(VALU_DEP_1)
	v_lshrrev_b32_e32 v4, 16, v3
.LBB174_427:
	s_mov_b32 s0, 0
.LBB174_428:
	s_delay_alu instid0(SALU_CYCLE_1)
	s_and_not1_b32 vcc_lo, exec_lo, s0
	s_cbranch_vccnz .LBB174_436
; %bb.429:
	global_load_u8 v3, v[0:1], off
	s_mov_b32 s0, 0
	s_mov_b32 s23, exec_lo
                                        ; implicit-def: $sgpr22
	s_waitcnt vmcnt(0)
	v_cmpx_lt_i16_e32 0x7f, v3
	s_xor_b32 s23, exec_lo, s23
	s_cbranch_execz .LBB174_450
; %bb.430:
	s_mov_b32 s0, -1
	s_mov_b32 s25, exec_lo
                                        ; implicit-def: $sgpr22
	v_cmpx_eq_u16_e32 0x80, v3
; %bb.431:
	s_mov_b32 s22, 0x7f800001
	s_xor_b32 s0, exec_lo, -1
; %bb.432:
	s_or_b32 exec_lo, exec_lo, s25
	s_delay_alu instid0(SALU_CYCLE_1)
	s_and_b32 s0, s0, exec_lo
	s_or_saveexec_b32 s23, s23
	v_mov_b32_e32 v4, s22
	s_xor_b32 exec_lo, exec_lo, s23
	s_cbranch_execnz .LBB174_451
.LBB174_433:
	s_or_b32 exec_lo, exec_lo, s23
	s_and_saveexec_b32 s22, s0
	s_cbranch_execz .LBB174_435
.LBB174_434:
	v_and_b32_e32 v4, 0xffff, v3
	v_lshlrev_b32_e32 v3, 24, v3
	s_delay_alu instid0(VALU_DEP_2) | instskip(NEXT) | instid1(VALU_DEP_2)
	v_and_b32_e32 v5, 7, v4
	v_and_b32_e32 v3, 0x80000000, v3
	s_delay_alu instid0(VALU_DEP_2) | instskip(NEXT) | instid1(VALU_DEP_1)
	v_clz_i32_u32_e32 v6, v5
	v_min_u32_e32 v6, 32, v6
	s_delay_alu instid0(VALU_DEP_1) | instskip(SKIP_1) | instid1(VALU_DEP_2)
	v_subrev_nc_u32_e32 v8, 28, v6
	v_sub_nc_u32_e32 v6, 29, v6
	v_lshlrev_b32_e32 v8, v8, v4
	v_bfe_u32 v4, v4, 3, 4
	s_delay_alu instid0(VALU_DEP_2) | instskip(NEXT) | instid1(VALU_DEP_2)
	v_and_b32_e32 v8, 7, v8
	v_cmp_eq_u32_e32 vcc_lo, 0, v4
	s_delay_alu instid0(VALU_DEP_2) | instskip(NEXT) | instid1(VALU_DEP_1)
	v_dual_cndmask_b32 v4, v4, v6 :: v_dual_cndmask_b32 v5, v5, v8
	v_lshl_add_u32 v4, v4, 23, 0x3b800000
	s_delay_alu instid0(VALU_DEP_2) | instskip(NEXT) | instid1(VALU_DEP_1)
	v_lshlrev_b32_e32 v5, 20, v5
	v_or3_b32 v4, v3, v4, v5
.LBB174_435:
	s_or_b32 exec_lo, exec_lo, s22
	s_delay_alu instid0(VALU_DEP_1) | instskip(SKIP_1) | instid1(VALU_DEP_2)
	v_bfe_u32 v3, v4, 16, 1
	v_cmp_o_f32_e32 vcc_lo, v4, v4
	v_add3_u32 v3, v4, v3, 0x7fff
	s_delay_alu instid0(VALU_DEP_1) | instskip(NEXT) | instid1(VALU_DEP_1)
	v_lshrrev_b32_e32 v3, 16, v3
	v_cndmask_b32_e32 v4, 0x7fc0, v3, vcc_lo
.LBB174_436:
	s_mov_b32 s0, -1
.LBB174_437:
	s_mov_b32 s22, 0
.LBB174_438:
	s_delay_alu instid0(SALU_CYCLE_1)
	s_and_b32 vcc_lo, exec_lo, s22
	s_cbranch_vccz .LBB174_473
; %bb.439:
	v_cmp_lt_i16_e32 vcc_lo, 22, v2
	s_cbranch_vccz .LBB174_449
; %bb.440:
	v_cmp_gt_i16_e32 vcc_lo, 24, v2
	s_cbranch_vccnz .LBB174_452
; %bb.441:
	v_cmp_lt_i16_e32 vcc_lo, 24, v2
	s_cbranch_vccz .LBB174_453
; %bb.442:
	global_load_u8 v3, v[0:1], off
	s_mov_b32 s0, 0
	s_mov_b32 s23, exec_lo
                                        ; implicit-def: $sgpr22
	s_waitcnt vmcnt(0)
	v_cmpx_lt_i16_e32 0x7f, v3
	s_xor_b32 s23, exec_lo, s23
	s_cbranch_execz .LBB174_465
; %bb.443:
	s_mov_b32 s0, -1
	s_mov_b32 s25, exec_lo
                                        ; implicit-def: $sgpr22
	v_cmpx_eq_u16_e32 0x80, v3
; %bb.444:
	s_mov_b32 s22, 0x7f800001
	s_xor_b32 s0, exec_lo, -1
; %bb.445:
	s_or_b32 exec_lo, exec_lo, s25
	s_delay_alu instid0(SALU_CYCLE_1)
	s_and_b32 s0, s0, exec_lo
	s_or_saveexec_b32 s23, s23
	v_mov_b32_e32 v4, s22
	s_xor_b32 exec_lo, exec_lo, s23
	s_cbranch_execnz .LBB174_466
.LBB174_446:
	s_or_b32 exec_lo, exec_lo, s23
	s_and_saveexec_b32 s22, s0
	s_cbranch_execz .LBB174_448
.LBB174_447:
	v_and_b32_e32 v4, 0xffff, v3
	v_lshlrev_b32_e32 v3, 24, v3
	s_delay_alu instid0(VALU_DEP_2) | instskip(NEXT) | instid1(VALU_DEP_2)
	v_and_b32_e32 v5, 3, v4
	v_and_b32_e32 v3, 0x80000000, v3
	s_delay_alu instid0(VALU_DEP_2) | instskip(NEXT) | instid1(VALU_DEP_1)
	v_clz_i32_u32_e32 v6, v5
	v_min_u32_e32 v6, 32, v6
	s_delay_alu instid0(VALU_DEP_1) | instskip(SKIP_1) | instid1(VALU_DEP_2)
	v_subrev_nc_u32_e32 v8, 29, v6
	v_sub_nc_u32_e32 v6, 30, v6
	v_lshlrev_b32_e32 v8, v8, v4
	v_bfe_u32 v4, v4, 2, 5
	s_delay_alu instid0(VALU_DEP_2) | instskip(NEXT) | instid1(VALU_DEP_2)
	v_and_b32_e32 v8, 3, v8
	v_cmp_eq_u32_e32 vcc_lo, 0, v4
	s_delay_alu instid0(VALU_DEP_2) | instskip(NEXT) | instid1(VALU_DEP_1)
	v_dual_cndmask_b32 v4, v4, v6 :: v_dual_cndmask_b32 v5, v5, v8
	v_lshl_add_u32 v4, v4, 23, 0x37800000
	s_delay_alu instid0(VALU_DEP_2) | instskip(NEXT) | instid1(VALU_DEP_1)
	v_lshlrev_b32_e32 v5, 21, v5
	v_or3_b32 v4, v3, v4, v5
.LBB174_448:
	s_or_b32 exec_lo, exec_lo, s22
	s_delay_alu instid0(VALU_DEP_1) | instskip(SKIP_2) | instid1(VALU_DEP_2)
	v_bfe_u32 v3, v4, 16, 1
	v_cmp_o_f32_e32 vcc_lo, v4, v4
	s_mov_b32 s0, 0
	v_add3_u32 v3, v4, v3, 0x7fff
	s_delay_alu instid0(VALU_DEP_1) | instskip(NEXT) | instid1(VALU_DEP_1)
	v_lshrrev_b32_e32 v3, 16, v3
	v_cndmask_b32_e32 v4, 0x7fc0, v3, vcc_lo
	s_branch .LBB174_454
.LBB174_449:
	s_mov_b32 s22, -1
                                        ; implicit-def: $vgpr4
	s_branch .LBB174_460
.LBB174_450:
	s_or_saveexec_b32 s23, s23
	v_mov_b32_e32 v4, s22
	s_xor_b32 exec_lo, exec_lo, s23
	s_cbranch_execz .LBB174_433
.LBB174_451:
	v_cmp_ne_u16_e32 vcc_lo, 0, v3
	v_mov_b32_e32 v4, 0
	s_and_not1_b32 s0, s0, exec_lo
	s_and_b32 s22, vcc_lo, exec_lo
	s_delay_alu instid0(SALU_CYCLE_1)
	s_or_b32 s0, s0, s22
	s_or_b32 exec_lo, exec_lo, s23
	s_and_saveexec_b32 s22, s0
	s_cbranch_execnz .LBB174_434
	s_branch .LBB174_435
.LBB174_452:
	s_mov_b32 s0, -1
                                        ; implicit-def: $vgpr4
	s_branch .LBB174_457
.LBB174_453:
	s_mov_b32 s0, -1
                                        ; implicit-def: $vgpr4
.LBB174_454:
	s_delay_alu instid0(SALU_CYCLE_1)
	s_and_b32 vcc_lo, exec_lo, s0
	s_cbranch_vccz .LBB174_456
; %bb.455:
	global_load_u8 v3, v[0:1], off
	s_waitcnt vmcnt(0)
	v_lshlrev_b32_e32 v3, 24, v3
	s_delay_alu instid0(VALU_DEP_1) | instskip(NEXT) | instid1(VALU_DEP_1)
	v_and_b32_e32 v4, 0x7f000000, v3
	v_clz_i32_u32_e32 v5, v4
	v_add_nc_u32_e32 v8, 0x1000000, v4
	v_cmp_ne_u32_e32 vcc_lo, 0, v4
	s_delay_alu instid0(VALU_DEP_3) | instskip(NEXT) | instid1(VALU_DEP_1)
	v_min_u32_e32 v5, 32, v5
	v_sub_nc_u32_e64 v5, v5, 4 clamp
	s_delay_alu instid0(VALU_DEP_1) | instskip(SKIP_1) | instid1(VALU_DEP_2)
	v_lshlrev_b32_e32 v6, v5, v4
	v_lshlrev_b32_e32 v5, 23, v5
	v_lshrrev_b32_e32 v6, 4, v6
	s_delay_alu instid0(VALU_DEP_1) | instskip(SKIP_1) | instid1(VALU_DEP_2)
	v_sub_nc_u32_e32 v5, v6, v5
	v_ashrrev_i32_e32 v6, 8, v8
	v_add_nc_u32_e32 v5, 0x3c000000, v5
	s_delay_alu instid0(VALU_DEP_1) | instskip(NEXT) | instid1(VALU_DEP_1)
	v_and_or_b32 v5, 0x7f800000, v6, v5
	v_cndmask_b32_e32 v4, 0, v5, vcc_lo
	s_delay_alu instid0(VALU_DEP_1) | instskip(SKIP_1) | instid1(VALU_DEP_2)
	v_and_or_b32 v3, 0x80000000, v3, v4
	v_bfe_u32 v4, v4, 16, 1
	v_cmp_o_f32_e32 vcc_lo, v3, v3
	s_delay_alu instid0(VALU_DEP_2) | instskip(NEXT) | instid1(VALU_DEP_1)
	v_add3_u32 v4, v3, v4, 0x7fff
	v_lshrrev_b32_e32 v4, 16, v4
	s_delay_alu instid0(VALU_DEP_1)
	v_cndmask_b32_e32 v4, 0x7fc0, v4, vcc_lo
.LBB174_456:
	s_mov_b32 s0, 0
.LBB174_457:
	s_delay_alu instid0(SALU_CYCLE_1)
	s_and_not1_b32 vcc_lo, exec_lo, s0
	s_cbranch_vccnz .LBB174_459
; %bb.458:
	global_load_u8 v3, v[0:1], off
	s_waitcnt vmcnt(0)
	v_lshlrev_b32_e32 v4, 25, v3
	v_lshlrev_b16 v3, 8, v3
	s_delay_alu instid0(VALU_DEP_2) | instskip(NEXT) | instid1(VALU_DEP_2)
	v_lshrrev_b32_e32 v5, 4, v4
	v_and_or_b32 v6, 0x7f00, v3, 0.5
	v_bfe_i32 v3, v3, 0, 16
	s_delay_alu instid0(VALU_DEP_3) | instskip(NEXT) | instid1(VALU_DEP_1)
	v_or_b32_e32 v5, 0x70000000, v5
	v_dual_add_f32 v6, -0.5, v6 :: v_dual_mul_f32 v5, 0x7800000, v5
	v_cmp_gt_u32_e32 vcc_lo, 0x8000000, v4
	s_delay_alu instid0(VALU_DEP_2) | instskip(NEXT) | instid1(VALU_DEP_1)
	v_cndmask_b32_e32 v4, v5, v6, vcc_lo
	v_and_or_b32 v3, 0x80000000, v3, v4
	v_bfe_u32 v4, v4, 16, 1
	s_delay_alu instid0(VALU_DEP_2) | instskip(NEXT) | instid1(VALU_DEP_2)
	v_cmp_o_f32_e32 vcc_lo, v3, v3
	v_add3_u32 v4, v3, v4, 0x7fff
	s_delay_alu instid0(VALU_DEP_1) | instskip(NEXT) | instid1(VALU_DEP_1)
	v_lshrrev_b32_e32 v4, 16, v4
	v_cndmask_b32_e32 v4, 0x7fc0, v4, vcc_lo
.LBB174_459:
	s_mov_b32 s22, 0
	s_mov_b32 s0, -1
.LBB174_460:
	s_and_not1_b32 vcc_lo, exec_lo, s22
	s_cbranch_vccnz .LBB174_473
; %bb.461:
	v_cmp_lt_i16_e32 vcc_lo, 14, v2
	s_cbranch_vccz .LBB174_464
; %bb.462:
	v_cmp_eq_u16_e32 vcc_lo, 15, v2
	s_cbranch_vccz .LBB174_467
; %bb.463:
	global_load_u16 v4, v[0:1], off
	s_mov_b32 s0, -1
	s_mov_b32 s21, 0
	s_branch .LBB174_468
.LBB174_464:
	s_mov_b32 s22, -1
                                        ; implicit-def: $vgpr4
	s_branch .LBB174_469
.LBB174_465:
	s_or_saveexec_b32 s23, s23
	v_mov_b32_e32 v4, s22
	s_xor_b32 exec_lo, exec_lo, s23
	s_cbranch_execz .LBB174_446
.LBB174_466:
	v_cmp_ne_u16_e32 vcc_lo, 0, v3
	v_mov_b32_e32 v4, 0
	s_and_not1_b32 s0, s0, exec_lo
	s_and_b32 s22, vcc_lo, exec_lo
	s_delay_alu instid0(SALU_CYCLE_1)
	s_or_b32 s0, s0, s22
	s_or_b32 exec_lo, exec_lo, s23
	s_and_saveexec_b32 s22, s0
	s_cbranch_execnz .LBB174_447
	s_branch .LBB174_448
.LBB174_467:
	s_mov_b32 s21, -1
                                        ; implicit-def: $vgpr4
.LBB174_468:
	s_mov_b32 s22, 0
.LBB174_469:
	s_delay_alu instid0(SALU_CYCLE_1)
	s_and_b32 vcc_lo, exec_lo, s22
	s_cbranch_vccz .LBB174_473
; %bb.470:
	v_cmp_eq_u16_e32 vcc_lo, 11, v2
	s_cbranch_vccz .LBB174_472
; %bb.471:
	global_load_u8 v3, v[0:1], off
	s_mov_b32 s21, 0
	s_mov_b32 s0, -1
	s_waitcnt vmcnt(0)
	v_cmp_ne_u16_e32 vcc_lo, 0, v3
	v_cndmask_b32_e64 v3, 0, 1.0, vcc_lo
	s_delay_alu instid0(VALU_DEP_1)
	v_lshrrev_b32_e32 v4, 16, v3
	s_branch .LBB174_473
.LBB174_472:
	s_mov_b32 s21, -1
                                        ; implicit-def: $vgpr4
.LBB174_473:
	s_branch .LBB174_388
.LBB174_474:
	v_cmp_gt_i16_e32 vcc_lo, 5, v2
	s_cbranch_vccnz .LBB174_479
; %bb.475:
	v_cmp_gt_i16_e32 vcc_lo, 8, v2
	s_cbranch_vccnz .LBB174_480
; %bb.476:
	;; [unrolled: 3-line block ×3, first 2 shown]
	v_cmp_lt_i16_e32 vcc_lo, 9, v2
	s_cbranch_vccz .LBB174_482
; %bb.478:
	global_load_b64 v[3:4], v[0:1], off
	s_mov_b32 s0, 0
	s_waitcnt vmcnt(0)
	v_cvt_f32_f64_e32 v3, v[3:4]
	s_delay_alu instid0(VALU_DEP_1) | instskip(SKIP_1) | instid1(VALU_DEP_2)
	v_bfe_u32 v4, v3, 16, 1
	v_cmp_o_f32_e32 vcc_lo, v3, v3
	v_add3_u32 v4, v3, v4, 0x7fff
	s_delay_alu instid0(VALU_DEP_1) | instskip(NEXT) | instid1(VALU_DEP_1)
	v_lshrrev_b32_e32 v4, 16, v4
	v_cndmask_b32_e32 v4, 0x7fc0, v4, vcc_lo
	s_branch .LBB174_483
.LBB174_479:
	s_mov_b32 s0, -1
                                        ; implicit-def: $vgpr4
	s_branch .LBB174_501
.LBB174_480:
	s_mov_b32 s0, -1
                                        ; implicit-def: $vgpr4
	s_branch .LBB174_489
.LBB174_481:
	s_mov_b32 s0, -1
                                        ; implicit-def: $vgpr4
	s_branch .LBB174_486
.LBB174_482:
	s_mov_b32 s0, -1
                                        ; implicit-def: $vgpr4
.LBB174_483:
	s_delay_alu instid0(SALU_CYCLE_1)
	s_and_not1_b32 vcc_lo, exec_lo, s0
	s_cbranch_vccnz .LBB174_485
; %bb.484:
	global_load_b32 v3, v[0:1], off
	s_waitcnt vmcnt(0)
	v_bfe_u32 v4, v3, 16, 1
	v_cmp_o_f32_e32 vcc_lo, v3, v3
	s_delay_alu instid0(VALU_DEP_2) | instskip(NEXT) | instid1(VALU_DEP_1)
	v_add3_u32 v4, v3, v4, 0x7fff
	v_lshrrev_b32_e32 v4, 16, v4
	s_delay_alu instid0(VALU_DEP_1)
	v_cndmask_b32_e32 v4, 0x7fc0, v4, vcc_lo
.LBB174_485:
	s_mov_b32 s0, 0
.LBB174_486:
	s_delay_alu instid0(SALU_CYCLE_1)
	s_and_not1_b32 vcc_lo, exec_lo, s0
	s_cbranch_vccnz .LBB174_488
; %bb.487:
	global_load_b32 v3, v[0:1], off
	s_waitcnt vmcnt(0)
	v_cvt_f32_f16_e32 v4, v3
	v_cmp_o_f16_e32 vcc_lo, v3, v3
	s_delay_alu instid0(VALU_DEP_2) | instskip(NEXT) | instid1(VALU_DEP_1)
	v_bfe_u32 v5, v4, 16, 1
	v_add3_u32 v4, v4, v5, 0x7fff
	s_delay_alu instid0(VALU_DEP_1) | instskip(NEXT) | instid1(VALU_DEP_1)
	v_lshrrev_b32_e32 v4, 16, v4
	v_cndmask_b32_e32 v4, 0x7fc0, v4, vcc_lo
.LBB174_488:
	s_mov_b32 s0, 0
.LBB174_489:
	s_delay_alu instid0(SALU_CYCLE_1)
	s_and_not1_b32 vcc_lo, exec_lo, s0
	s_cbranch_vccnz .LBB174_500
; %bb.490:
	v_cmp_gt_i16_e32 vcc_lo, 6, v2
	s_cbranch_vccnz .LBB174_493
; %bb.491:
	v_cmp_lt_i16_e32 vcc_lo, 6, v2
	s_cbranch_vccz .LBB174_494
; %bb.492:
	global_load_b64 v[3:4], v[0:1], off
	s_mov_b32 s0, 0
	s_waitcnt vmcnt(0)
	v_cvt_f32_f64_e32 v3, v[3:4]
	s_delay_alu instid0(VALU_DEP_1) | instskip(SKIP_1) | instid1(VALU_DEP_2)
	v_bfe_u32 v4, v3, 16, 1
	v_cmp_o_f32_e32 vcc_lo, v3, v3
	v_add3_u32 v4, v3, v4, 0x7fff
	s_delay_alu instid0(VALU_DEP_1) | instskip(NEXT) | instid1(VALU_DEP_1)
	v_lshrrev_b32_e32 v4, 16, v4
	v_cndmask_b32_e32 v4, 0x7fc0, v4, vcc_lo
	s_branch .LBB174_495
.LBB174_493:
	s_mov_b32 s0, -1
                                        ; implicit-def: $vgpr4
	s_branch .LBB174_498
.LBB174_494:
	s_mov_b32 s0, -1
                                        ; implicit-def: $vgpr4
.LBB174_495:
	s_delay_alu instid0(SALU_CYCLE_1)
	s_and_not1_b32 vcc_lo, exec_lo, s0
	s_cbranch_vccnz .LBB174_497
; %bb.496:
	global_load_b32 v3, v[0:1], off
	s_waitcnt vmcnt(0)
	v_bfe_u32 v4, v3, 16, 1
	v_cmp_o_f32_e32 vcc_lo, v3, v3
	s_delay_alu instid0(VALU_DEP_2) | instskip(NEXT) | instid1(VALU_DEP_1)
	v_add3_u32 v4, v3, v4, 0x7fff
	v_lshrrev_b32_e32 v4, 16, v4
	s_delay_alu instid0(VALU_DEP_1)
	v_cndmask_b32_e32 v4, 0x7fc0, v4, vcc_lo
.LBB174_497:
	s_mov_b32 s0, 0
.LBB174_498:
	s_delay_alu instid0(SALU_CYCLE_1)
	s_and_not1_b32 vcc_lo, exec_lo, s0
	s_cbranch_vccnz .LBB174_500
; %bb.499:
	global_load_u16 v3, v[0:1], off
	s_waitcnt vmcnt(0)
	v_cvt_f32_f16_e32 v4, v3
	v_cmp_o_f16_e32 vcc_lo, v3, v3
	s_delay_alu instid0(VALU_DEP_2) | instskip(NEXT) | instid1(VALU_DEP_1)
	v_bfe_u32 v5, v4, 16, 1
	v_add3_u32 v4, v4, v5, 0x7fff
	s_delay_alu instid0(VALU_DEP_1) | instskip(NEXT) | instid1(VALU_DEP_1)
	v_lshrrev_b32_e32 v4, 16, v4
	v_cndmask_b32_e32 v4, 0x7fc0, v4, vcc_lo
.LBB174_500:
	s_mov_b32 s0, 0
.LBB174_501:
	s_delay_alu instid0(SALU_CYCLE_1)
	s_and_not1_b32 vcc_lo, exec_lo, s0
	s_cbranch_vccnz .LBB174_521
; %bb.502:
	v_cmp_gt_i16_e32 vcc_lo, 2, v2
	s_cbranch_vccnz .LBB174_506
; %bb.503:
	v_cmp_gt_i16_e32 vcc_lo, 3, v2
	s_cbranch_vccnz .LBB174_507
; %bb.504:
	v_cmp_lt_i16_e32 vcc_lo, 3, v2
	s_cbranch_vccz .LBB174_508
; %bb.505:
	global_load_b64 v[3:4], v[0:1], off
	s_mov_b32 s0, 0
	s_waitcnt vmcnt(0)
	v_xor_b32_e32 v5, v3, v4
	v_cls_i32_e32 v6, v4
	s_delay_alu instid0(VALU_DEP_2) | instskip(NEXT) | instid1(VALU_DEP_2)
	v_ashrrev_i32_e32 v5, 31, v5
	v_add_nc_u32_e32 v6, -1, v6
	s_delay_alu instid0(VALU_DEP_2) | instskip(NEXT) | instid1(VALU_DEP_1)
	v_add_nc_u32_e32 v5, 32, v5
	v_min_u32_e32 v5, v6, v5
	s_delay_alu instid0(VALU_DEP_1) | instskip(NEXT) | instid1(VALU_DEP_1)
	v_lshlrev_b64 v[3:4], v5, v[3:4]
	v_min_u32_e32 v3, 1, v3
	s_delay_alu instid0(VALU_DEP_1) | instskip(SKIP_1) | instid1(VALU_DEP_2)
	v_or_b32_e32 v3, v4, v3
	v_sub_nc_u32_e32 v4, 32, v5
	v_cvt_f32_i32_e32 v3, v3
	s_delay_alu instid0(VALU_DEP_1) | instskip(NEXT) | instid1(VALU_DEP_1)
	v_ldexp_f32 v3, v3, v4
	v_bfe_u32 v4, v3, 16, 1
	s_delay_alu instid0(VALU_DEP_1) | instskip(NEXT) | instid1(VALU_DEP_1)
	v_add3_u32 v3, v3, v4, 0x7fff
	v_lshrrev_b32_e32 v4, 16, v3
	s_branch .LBB174_509
.LBB174_506:
	s_mov_b32 s0, -1
                                        ; implicit-def: $vgpr4
	s_branch .LBB174_515
.LBB174_507:
	s_mov_b32 s0, -1
                                        ; implicit-def: $vgpr4
	s_branch .LBB174_512
.LBB174_508:
	s_mov_b32 s0, -1
                                        ; implicit-def: $vgpr4
.LBB174_509:
	s_delay_alu instid0(SALU_CYCLE_1)
	s_and_not1_b32 vcc_lo, exec_lo, s0
	s_cbranch_vccnz .LBB174_511
; %bb.510:
	global_load_b32 v3, v[0:1], off
	s_waitcnt vmcnt(0)
	v_cvt_f32_i32_e32 v3, v3
	s_delay_alu instid0(VALU_DEP_1) | instskip(NEXT) | instid1(VALU_DEP_1)
	v_bfe_u32 v4, v3, 16, 1
	v_add3_u32 v3, v3, v4, 0x7fff
	s_delay_alu instid0(VALU_DEP_1)
	v_lshrrev_b32_e32 v4, 16, v3
.LBB174_511:
	s_mov_b32 s0, 0
.LBB174_512:
	s_delay_alu instid0(SALU_CYCLE_1)
	s_and_not1_b32 vcc_lo, exec_lo, s0
	s_cbranch_vccnz .LBB174_514
; %bb.513:
	global_load_i16 v3, v[0:1], off
	s_waitcnt vmcnt(0)
	v_cvt_f32_i32_e32 v3, v3
	s_delay_alu instid0(VALU_DEP_1) | instskip(NEXT) | instid1(VALU_DEP_1)
	v_bfe_u32 v4, v3, 16, 1
	v_add3_u32 v3, v3, v4, 0x7fff
	s_delay_alu instid0(VALU_DEP_1)
	v_lshrrev_b32_e32 v4, 16, v3
.LBB174_514:
	s_mov_b32 s0, 0
.LBB174_515:
	s_delay_alu instid0(SALU_CYCLE_1)
	s_and_not1_b32 vcc_lo, exec_lo, s0
	s_cbranch_vccnz .LBB174_521
; %bb.516:
	v_cmp_lt_i16_e32 vcc_lo, 0, v2
	s_mov_b32 s0, 0
	s_cbranch_vccz .LBB174_518
; %bb.517:
	global_load_i8 v2, v[0:1], off
	s_waitcnt vmcnt(0)
	v_cvt_f32_i32_e32 v2, v2
	s_delay_alu instid0(VALU_DEP_1) | instskip(NEXT) | instid1(VALU_DEP_1)
	v_bfe_u32 v3, v2, 16, 1
	v_add3_u32 v2, v2, v3, 0x7fff
	s_delay_alu instid0(VALU_DEP_1)
	v_lshrrev_b32_e32 v4, 16, v2
	s_branch .LBB174_519
.LBB174_518:
	s_mov_b32 s0, -1
                                        ; implicit-def: $vgpr4
.LBB174_519:
	s_delay_alu instid0(SALU_CYCLE_1)
	s_and_not1_b32 vcc_lo, exec_lo, s0
	s_cbranch_vccnz .LBB174_521
; %bb.520:
	global_load_u8 v0, v[0:1], off
	s_waitcnt vmcnt(0)
	v_cvt_f32_ubyte0_e32 v0, v0
	s_delay_alu instid0(VALU_DEP_1) | instskip(NEXT) | instid1(VALU_DEP_1)
	v_bfe_u32 v1, v0, 16, 1
	v_add3_u32 v0, v0, v1, 0x7fff
	s_delay_alu instid0(VALU_DEP_1)
	v_lshrrev_b32_e32 v4, 16, v0
.LBB174_521:
	s_branch .LBB174_389
.LBB174_522:
	s_mov_b32 s25, 0
	s_mov_b32 s0, s16
	;; [unrolled: 1-line block ×3, first 2 shown]
	s_branch .LBB174_762
.LBB174_523:
	s_or_saveexec_b32 s23, s23
                                        ; implicit-def: $sgpr24
	s_delay_alu instid0(SALU_CYCLE_1)
	s_xor_b32 exec_lo, exec_lo, s23
	s_cbranch_execz .LBB174_193
.LBB174_524:
	v_add_f32_e64 v5, 0x42800000, |v6|
	s_and_not1_b32 s22, s22, exec_lo
	s_mov_b32 s24, 0
	s_delay_alu instid0(VALU_DEP_1) | instskip(NEXT) | instid1(VALU_DEP_1)
	v_and_b32_e32 v5, 0xff, v5
	v_cmp_ne_u32_e32 vcc_lo, 0, v5
	s_and_b32 s25, vcc_lo, exec_lo
	s_delay_alu instid0(SALU_CYCLE_1)
	s_or_b32 s22, s22, s25
	s_or_b32 exec_lo, exec_lo, s23
	v_mov_b32_e32 v8, s24
	s_and_saveexec_b32 s23, s22
	s_cbranch_execnz .LBB174_194
	s_branch .LBB174_195
.LBB174_525:
	s_mov_b32 s23, -1
	s_mov_b32 s0, 0
.LBB174_526:
                                        ; implicit-def: $vgpr2
.LBB174_527:
	s_and_b32 vcc_lo, exec_lo, s22
	s_cbranch_vccz .LBB174_531
; %bb.528:
	v_cmp_eq_u16_e32 vcc_lo, 44, v5
	s_cbranch_vccz .LBB174_530
; %bb.529:
	global_load_u8 v2, v[0:1], off
	s_mov_b32 s23, 0
	s_mov_b32 s0, -1
	s_waitcnt vmcnt(0)
	v_lshlrev_b32_e32 v3, 23, v2
	v_cmp_ne_u32_e32 vcc_lo, 0, v2
	s_delay_alu instid0(VALU_DEP_2) | instskip(NEXT) | instid1(VALU_DEP_1)
	v_trunc_f32_e32 v3, v3
	v_mul_f32_e64 v6, 0x2f800000, |v3|
	s_delay_alu instid0(VALU_DEP_1) | instskip(NEXT) | instid1(VALU_DEP_1)
	v_floor_f32_e32 v6, v6
	v_fma_f32 v6, 0xcf800000, v6, |v3|
	v_ashrrev_i32_e32 v3, 31, v3
	s_delay_alu instid0(VALU_DEP_2) | instskip(NEXT) | instid1(VALU_DEP_1)
	v_cvt_u32_f32_e32 v6, v6
	v_xor_b32_e32 v6, v6, v3
	s_delay_alu instid0(VALU_DEP_1) | instskip(NEXT) | instid1(VALU_DEP_1)
	v_sub_nc_u32_e32 v3, v6, v3
	v_cndmask_b32_e32 v2, 0, v3, vcc_lo
	s_branch .LBB174_531
.LBB174_530:
	s_mov_b32 s23, -1
                                        ; implicit-def: $vgpr2
.LBB174_531:
	s_mov_b32 s22, 0
.LBB174_532:
	s_delay_alu instid0(SALU_CYCLE_1)
	s_and_b32 vcc_lo, exec_lo, s22
	s_cbranch_vccz .LBB174_536
; %bb.533:
	v_cmp_eq_u16_e32 vcc_lo, 29, v5
	s_cbranch_vccz .LBB174_535
; %bb.534:
	global_load_b64 v[2:3], v[0:1], off
	s_mov_b32 s0, -1
	s_mov_b32 s23, 0
	s_branch .LBB174_536
.LBB174_535:
	s_mov_b32 s23, -1
                                        ; implicit-def: $vgpr2
.LBB174_536:
	s_mov_b32 s22, 0
.LBB174_537:
	s_delay_alu instid0(SALU_CYCLE_1)
	s_and_b32 vcc_lo, exec_lo, s22
	s_cbranch_vccz .LBB174_553
; %bb.538:
	v_cmp_gt_i16_e32 vcc_lo, 27, v5
	s_cbranch_vccnz .LBB174_541
; %bb.539:
	v_cmp_lt_i16_e32 vcc_lo, 27, v5
	s_cbranch_vccz .LBB174_542
; %bb.540:
	global_load_b32 v2, v[0:1], off
	s_mov_b32 s0, 0
	s_branch .LBB174_543
.LBB174_541:
	s_mov_b32 s0, -1
                                        ; implicit-def: $vgpr2
	s_branch .LBB174_546
.LBB174_542:
	s_mov_b32 s0, -1
                                        ; implicit-def: $vgpr2
.LBB174_543:
	s_delay_alu instid0(SALU_CYCLE_1)
	s_and_not1_b32 vcc_lo, exec_lo, s0
	s_cbranch_vccnz .LBB174_545
; %bb.544:
	global_load_u16 v2, v[0:1], off
.LBB174_545:
	s_mov_b32 s0, 0
.LBB174_546:
	s_delay_alu instid0(SALU_CYCLE_1)
	s_and_not1_b32 vcc_lo, exec_lo, s0
	s_cbranch_vccnz .LBB174_552
; %bb.547:
	global_load_u8 v3, v[0:1], off
	s_mov_b32 s22, 0
	s_mov_b32 s0, exec_lo
                                        ; implicit-def: $sgpr25
	s_waitcnt vmcnt(0)
	v_cmpx_lt_i16_e32 0x7f, v3
	s_xor_b32 s0, exec_lo, s0
	s_cbranch_execz .LBB174_564
; %bb.548:
	v_cmp_ne_u16_e32 vcc_lo, 0x80, v3
	s_mov_b32 s25, 0
	s_and_b32 s22, vcc_lo, exec_lo
	s_or_saveexec_b32 s0, s0
	v_mov_b32_e32 v2, s25
	s_xor_b32 exec_lo, exec_lo, s0
	s_cbranch_execnz .LBB174_565
.LBB174_549:
	s_or_b32 exec_lo, exec_lo, s0
	s_and_saveexec_b32 s0, s22
	s_cbranch_execz .LBB174_551
.LBB174_550:
	v_and_b32_e32 v2, 0xffff, v3
	s_delay_alu instid0(VALU_DEP_1) | instskip(NEXT) | instid1(VALU_DEP_1)
	v_and_b32_e32 v6, 7, v2
	v_clz_i32_u32_e32 v8, v6
	s_delay_alu instid0(VALU_DEP_1) | instskip(NEXT) | instid1(VALU_DEP_1)
	v_min_u32_e32 v8, 32, v8
	v_subrev_nc_u32_e32 v9, 28, v8
	v_sub_nc_u32_e32 v8, 29, v8
	s_delay_alu instid0(VALU_DEP_2) | instskip(SKIP_1) | instid1(VALU_DEP_1)
	v_lshlrev_b32_e32 v9, v9, v2
	v_bfe_u32 v2, v2, 3, 4
	v_cmp_eq_u32_e32 vcc_lo, 0, v2
	s_delay_alu instid0(VALU_DEP_3) | instskip(SKIP_1) | instid1(VALU_DEP_2)
	v_dual_cndmask_b32 v2, v2, v8 :: v_dual_and_b32 v9, 7, v9
	v_lshlrev_b32_e32 v3, 24, v3
	v_lshl_add_u32 v2, v2, 23, 0x3b800000
	s_delay_alu instid0(VALU_DEP_2) | instskip(NEXT) | instid1(VALU_DEP_1)
	v_dual_cndmask_b32 v6, v6, v9 :: v_dual_and_b32 v3, 0x80000000, v3
	v_lshlrev_b32_e32 v6, 20, v6
	s_delay_alu instid0(VALU_DEP_1) | instskip(NEXT) | instid1(VALU_DEP_1)
	v_or3_b32 v2, v3, v2, v6
	v_trunc_f32_e32 v2, v2
	s_delay_alu instid0(VALU_DEP_1) | instskip(NEXT) | instid1(VALU_DEP_1)
	v_mul_f32_e64 v3, 0x2f800000, |v2|
	v_floor_f32_e32 v3, v3
	s_delay_alu instid0(VALU_DEP_1) | instskip(SKIP_1) | instid1(VALU_DEP_2)
	v_fma_f32 v3, 0xcf800000, v3, |v2|
	v_ashrrev_i32_e32 v2, 31, v2
	v_cvt_u32_f32_e32 v3, v3
	s_delay_alu instid0(VALU_DEP_1) | instskip(NEXT) | instid1(VALU_DEP_1)
	v_xor_b32_e32 v3, v3, v2
	v_sub_nc_u32_e32 v2, v3, v2
.LBB174_551:
	s_or_b32 exec_lo, exec_lo, s0
.LBB174_552:
	s_mov_b32 s0, -1
.LBB174_553:
	s_mov_b32 s22, 0
.LBB174_554:
	s_delay_alu instid0(SALU_CYCLE_1)
	s_and_b32 vcc_lo, exec_lo, s22
	s_cbranch_vccz .LBB174_587
; %bb.555:
	v_cmp_lt_i16_e32 vcc_lo, 22, v5
	s_cbranch_vccz .LBB174_563
; %bb.556:
	v_cmp_gt_i16_e32 vcc_lo, 24, v5
	s_cbranch_vccnz .LBB174_566
; %bb.557:
	v_cmp_lt_i16_e32 vcc_lo, 24, v5
	s_cbranch_vccz .LBB174_567
; %bb.558:
	global_load_u8 v3, v[0:1], off
	s_mov_b32 s22, 0
	s_mov_b32 s0, exec_lo
                                        ; implicit-def: $sgpr25
	s_waitcnt vmcnt(0)
	v_cmpx_lt_i16_e32 0x7f, v3
	s_xor_b32 s0, exec_lo, s0
	s_cbranch_execz .LBB174_579
; %bb.559:
	v_cmp_ne_u16_e32 vcc_lo, 0x80, v3
	s_mov_b32 s25, 0
	s_and_b32 s22, vcc_lo, exec_lo
	s_or_saveexec_b32 s0, s0
	v_mov_b32_e32 v2, s25
	s_xor_b32 exec_lo, exec_lo, s0
	s_cbranch_execnz .LBB174_580
.LBB174_560:
	s_or_b32 exec_lo, exec_lo, s0
	s_and_saveexec_b32 s0, s22
	s_cbranch_execz .LBB174_562
.LBB174_561:
	v_and_b32_e32 v2, 0xffff, v3
	s_delay_alu instid0(VALU_DEP_1) | instskip(NEXT) | instid1(VALU_DEP_1)
	v_and_b32_e32 v6, 3, v2
	v_clz_i32_u32_e32 v8, v6
	s_delay_alu instid0(VALU_DEP_1) | instskip(NEXT) | instid1(VALU_DEP_1)
	v_min_u32_e32 v8, 32, v8
	v_subrev_nc_u32_e32 v9, 29, v8
	v_sub_nc_u32_e32 v8, 30, v8
	s_delay_alu instid0(VALU_DEP_2) | instskip(SKIP_1) | instid1(VALU_DEP_1)
	v_lshlrev_b32_e32 v9, v9, v2
	v_bfe_u32 v2, v2, 2, 5
	v_cmp_eq_u32_e32 vcc_lo, 0, v2
	s_delay_alu instid0(VALU_DEP_3) | instskip(SKIP_1) | instid1(VALU_DEP_2)
	v_dual_cndmask_b32 v2, v2, v8 :: v_dual_and_b32 v9, 3, v9
	v_lshlrev_b32_e32 v3, 24, v3
	v_lshl_add_u32 v2, v2, 23, 0x37800000
	s_delay_alu instid0(VALU_DEP_2) | instskip(NEXT) | instid1(VALU_DEP_1)
	v_dual_cndmask_b32 v6, v6, v9 :: v_dual_and_b32 v3, 0x80000000, v3
	v_lshlrev_b32_e32 v6, 21, v6
	s_delay_alu instid0(VALU_DEP_1) | instskip(NEXT) | instid1(VALU_DEP_1)
	v_or3_b32 v2, v3, v2, v6
	v_trunc_f32_e32 v2, v2
	s_delay_alu instid0(VALU_DEP_1) | instskip(NEXT) | instid1(VALU_DEP_1)
	v_mul_f32_e64 v3, 0x2f800000, |v2|
	v_floor_f32_e32 v3, v3
	s_delay_alu instid0(VALU_DEP_1) | instskip(SKIP_1) | instid1(VALU_DEP_2)
	v_fma_f32 v3, 0xcf800000, v3, |v2|
	v_ashrrev_i32_e32 v2, 31, v2
	v_cvt_u32_f32_e32 v3, v3
	s_delay_alu instid0(VALU_DEP_1) | instskip(NEXT) | instid1(VALU_DEP_1)
	v_xor_b32_e32 v3, v3, v2
	v_sub_nc_u32_e32 v2, v3, v2
.LBB174_562:
	s_or_b32 exec_lo, exec_lo, s0
	s_mov_b32 s0, 0
	s_branch .LBB174_568
.LBB174_563:
	s_mov_b32 s22, -1
                                        ; implicit-def: $vgpr2
	s_branch .LBB174_574
.LBB174_564:
	s_or_saveexec_b32 s0, s0
	v_mov_b32_e32 v2, s25
	s_xor_b32 exec_lo, exec_lo, s0
	s_cbranch_execz .LBB174_549
.LBB174_565:
	v_cmp_ne_u16_e32 vcc_lo, 0, v3
	v_mov_b32_e32 v2, 0
	s_and_not1_b32 s22, s22, exec_lo
	s_and_b32 s25, vcc_lo, exec_lo
	s_delay_alu instid0(SALU_CYCLE_1)
	s_or_b32 s22, s22, s25
	s_or_b32 exec_lo, exec_lo, s0
	s_and_saveexec_b32 s0, s22
	s_cbranch_execnz .LBB174_550
	s_branch .LBB174_551
.LBB174_566:
	s_mov_b32 s0, -1
                                        ; implicit-def: $vgpr2
	s_branch .LBB174_571
.LBB174_567:
	s_mov_b32 s0, -1
                                        ; implicit-def: $vgpr2
.LBB174_568:
	s_delay_alu instid0(SALU_CYCLE_1)
	s_and_b32 vcc_lo, exec_lo, s0
	s_cbranch_vccz .LBB174_570
; %bb.569:
	global_load_u8 v2, v[0:1], off
	s_waitcnt vmcnt(0)
	v_lshlrev_b32_e32 v2, 24, v2
	s_delay_alu instid0(VALU_DEP_1) | instskip(NEXT) | instid1(VALU_DEP_1)
	v_and_b32_e32 v3, 0x7f000000, v2
	v_clz_i32_u32_e32 v6, v3
	v_cmp_ne_u32_e32 vcc_lo, 0, v3
	v_add_nc_u32_e32 v9, 0x1000000, v3
	s_delay_alu instid0(VALU_DEP_3) | instskip(NEXT) | instid1(VALU_DEP_1)
	v_min_u32_e32 v6, 32, v6
	v_sub_nc_u32_e64 v6, v6, 4 clamp
	s_delay_alu instid0(VALU_DEP_1) | instskip(SKIP_1) | instid1(VALU_DEP_2)
	v_lshlrev_b32_e32 v8, v6, v3
	v_lshlrev_b32_e32 v6, 23, v6
	v_lshrrev_b32_e32 v8, 4, v8
	s_delay_alu instid0(VALU_DEP_1) | instskip(SKIP_1) | instid1(VALU_DEP_2)
	v_sub_nc_u32_e32 v6, v8, v6
	v_ashrrev_i32_e32 v8, 8, v9
	v_add_nc_u32_e32 v6, 0x3c000000, v6
	s_delay_alu instid0(VALU_DEP_1) | instskip(NEXT) | instid1(VALU_DEP_1)
	v_and_or_b32 v6, 0x7f800000, v8, v6
	v_cndmask_b32_e32 v3, 0, v6, vcc_lo
	s_delay_alu instid0(VALU_DEP_1) | instskip(NEXT) | instid1(VALU_DEP_1)
	v_and_or_b32 v2, 0x80000000, v2, v3
	v_trunc_f32_e32 v2, v2
	s_delay_alu instid0(VALU_DEP_1) | instskip(NEXT) | instid1(VALU_DEP_1)
	v_mul_f32_e64 v3, 0x2f800000, |v2|
	v_floor_f32_e32 v3, v3
	s_delay_alu instid0(VALU_DEP_1) | instskip(SKIP_1) | instid1(VALU_DEP_2)
	v_fma_f32 v3, 0xcf800000, v3, |v2|
	v_ashrrev_i32_e32 v2, 31, v2
	v_cvt_u32_f32_e32 v3, v3
	s_delay_alu instid0(VALU_DEP_1) | instskip(NEXT) | instid1(VALU_DEP_1)
	v_xor_b32_e32 v3, v3, v2
	v_sub_nc_u32_e32 v2, v3, v2
.LBB174_570:
	s_mov_b32 s0, 0
.LBB174_571:
	s_delay_alu instid0(SALU_CYCLE_1)
	s_and_not1_b32 vcc_lo, exec_lo, s0
	s_cbranch_vccnz .LBB174_573
; %bb.572:
	global_load_u8 v2, v[0:1], off
	s_waitcnt vmcnt(0)
	v_lshlrev_b32_e32 v3, 25, v2
	v_lshlrev_b16 v2, 8, v2
	s_delay_alu instid0(VALU_DEP_1) | instskip(SKIP_1) | instid1(VALU_DEP_2)
	v_and_or_b32 v8, 0x7f00, v2, 0.5
	v_bfe_i32 v2, v2, 0, 16
	v_add_f32_e32 v8, -0.5, v8
	v_lshrrev_b32_e32 v6, 4, v3
	v_cmp_gt_u32_e32 vcc_lo, 0x8000000, v3
	s_delay_alu instid0(VALU_DEP_2) | instskip(NEXT) | instid1(VALU_DEP_1)
	v_or_b32_e32 v6, 0x70000000, v6
	v_mul_f32_e32 v6, 0x7800000, v6
	s_delay_alu instid0(VALU_DEP_1) | instskip(NEXT) | instid1(VALU_DEP_1)
	v_cndmask_b32_e32 v3, v6, v8, vcc_lo
	v_and_or_b32 v2, 0x80000000, v2, v3
	s_delay_alu instid0(VALU_DEP_1) | instskip(NEXT) | instid1(VALU_DEP_1)
	v_trunc_f32_e32 v2, v2
	v_mul_f32_e64 v3, 0x2f800000, |v2|
	s_delay_alu instid0(VALU_DEP_1) | instskip(NEXT) | instid1(VALU_DEP_1)
	v_floor_f32_e32 v3, v3
	v_fma_f32 v3, 0xcf800000, v3, |v2|
	v_ashrrev_i32_e32 v2, 31, v2
	s_delay_alu instid0(VALU_DEP_2) | instskip(NEXT) | instid1(VALU_DEP_1)
	v_cvt_u32_f32_e32 v3, v3
	v_xor_b32_e32 v3, v3, v2
	s_delay_alu instid0(VALU_DEP_1)
	v_sub_nc_u32_e32 v2, v3, v2
.LBB174_573:
	s_mov_b32 s22, 0
	s_mov_b32 s0, -1
.LBB174_574:
	s_and_not1_b32 vcc_lo, exec_lo, s22
	s_cbranch_vccnz .LBB174_587
; %bb.575:
	v_cmp_lt_i16_e32 vcc_lo, 14, v5
	s_cbranch_vccz .LBB174_578
; %bb.576:
	v_cmp_eq_u16_e32 vcc_lo, 15, v5
	s_cbranch_vccz .LBB174_581
; %bb.577:
	global_load_u16 v2, v[0:1], off
	s_mov_b32 s0, -1
	s_mov_b32 s23, 0
	s_waitcnt vmcnt(0)
	v_lshlrev_b32_e32 v2, 16, v2
	s_delay_alu instid0(VALU_DEP_1) | instskip(NEXT) | instid1(VALU_DEP_1)
	v_trunc_f32_e32 v2, v2
	v_mul_f32_e64 v3, 0x2f800000, |v2|
	s_delay_alu instid0(VALU_DEP_1) | instskip(NEXT) | instid1(VALU_DEP_1)
	v_floor_f32_e32 v3, v3
	v_fma_f32 v3, 0xcf800000, v3, |v2|
	v_ashrrev_i32_e32 v2, 31, v2
	s_delay_alu instid0(VALU_DEP_2) | instskip(NEXT) | instid1(VALU_DEP_1)
	v_cvt_u32_f32_e32 v3, v3
	v_xor_b32_e32 v3, v3, v2
	s_delay_alu instid0(VALU_DEP_1)
	v_sub_nc_u32_e32 v2, v3, v2
	s_branch .LBB174_582
.LBB174_578:
	s_mov_b32 s22, -1
                                        ; implicit-def: $vgpr2
	s_branch .LBB174_583
.LBB174_579:
	s_or_saveexec_b32 s0, s0
	v_mov_b32_e32 v2, s25
	s_xor_b32 exec_lo, exec_lo, s0
	s_cbranch_execz .LBB174_560
.LBB174_580:
	v_cmp_ne_u16_e32 vcc_lo, 0, v3
	v_mov_b32_e32 v2, 0
	s_and_not1_b32 s22, s22, exec_lo
	s_and_b32 s25, vcc_lo, exec_lo
	s_delay_alu instid0(SALU_CYCLE_1)
	s_or_b32 s22, s22, s25
	s_or_b32 exec_lo, exec_lo, s0
	s_and_saveexec_b32 s0, s22
	s_cbranch_execnz .LBB174_561
	s_branch .LBB174_562
.LBB174_581:
	s_mov_b32 s23, -1
                                        ; implicit-def: $vgpr2
.LBB174_582:
	s_mov_b32 s22, 0
.LBB174_583:
	s_delay_alu instid0(SALU_CYCLE_1)
	s_and_b32 vcc_lo, exec_lo, s22
	s_cbranch_vccz .LBB174_587
; %bb.584:
	v_cmp_eq_u16_e32 vcc_lo, 11, v5
	s_cbranch_vccz .LBB174_586
; %bb.585:
	global_load_u8 v2, v[0:1], off
	s_mov_b32 s23, 0
	s_mov_b32 s0, -1
	s_waitcnt vmcnt(0)
	v_cmp_ne_u16_e32 vcc_lo, 0, v2
	v_cndmask_b32_e64 v2, 0, 1, vcc_lo
	s_branch .LBB174_587
.LBB174_586:
	s_mov_b32 s23, -1
                                        ; implicit-def: $vgpr2
.LBB174_587:
	s_mov_b32 s22, 0
.LBB174_588:
	s_delay_alu instid0(SALU_CYCLE_1)
	s_and_b32 vcc_lo, exec_lo, s22
	s_cbranch_vccz .LBB174_637
; %bb.589:
	v_cmp_gt_i16_e32 vcc_lo, 5, v5
	s_cbranch_vccnz .LBB174_594
; %bb.590:
	v_cmp_gt_i16_e32 vcc_lo, 8, v5
	s_cbranch_vccnz .LBB174_595
	;; [unrolled: 3-line block ×3, first 2 shown]
; %bb.592:
	v_cmp_lt_i16_e32 vcc_lo, 9, v5
	s_cbranch_vccz .LBB174_597
; %bb.593:
	global_load_b64 v[2:3], v[0:1], off
	s_mov_b32 s0, 0
	s_waitcnt vmcnt(0)
	v_trunc_f64_e32 v[2:3], v[2:3]
	s_delay_alu instid0(VALU_DEP_1) | instskip(NEXT) | instid1(VALU_DEP_1)
	v_ldexp_f64 v[8:9], v[2:3], 0xffffffe0
	v_floor_f64_e32 v[8:9], v[8:9]
	s_delay_alu instid0(VALU_DEP_1) | instskip(NEXT) | instid1(VALU_DEP_1)
	v_fma_f64 v[2:3], 0xc1f00000, v[8:9], v[2:3]
	v_cvt_u32_f64_e32 v2, v[2:3]
	s_branch .LBB174_598
.LBB174_594:
	s_mov_b32 s0, -1
                                        ; implicit-def: $vgpr2
	s_branch .LBB174_616
.LBB174_595:
	s_mov_b32 s0, -1
                                        ; implicit-def: $vgpr2
	s_branch .LBB174_604
.LBB174_596:
	s_mov_b32 s0, -1
                                        ; implicit-def: $vgpr2
	s_branch .LBB174_601
.LBB174_597:
	s_mov_b32 s0, -1
                                        ; implicit-def: $vgpr2
.LBB174_598:
	s_delay_alu instid0(SALU_CYCLE_1)
	s_and_not1_b32 vcc_lo, exec_lo, s0
	s_cbranch_vccnz .LBB174_600
; %bb.599:
	global_load_b32 v2, v[0:1], off
	s_waitcnt vmcnt(0)
	v_trunc_f32_e32 v2, v2
	s_delay_alu instid0(VALU_DEP_1) | instskip(NEXT) | instid1(VALU_DEP_1)
	v_mul_f32_e64 v3, 0x2f800000, |v2|
	v_floor_f32_e32 v3, v3
	s_delay_alu instid0(VALU_DEP_1) | instskip(SKIP_1) | instid1(VALU_DEP_2)
	v_fma_f32 v3, 0xcf800000, v3, |v2|
	v_ashrrev_i32_e32 v2, 31, v2
	v_cvt_u32_f32_e32 v3, v3
	s_delay_alu instid0(VALU_DEP_1) | instskip(NEXT) | instid1(VALU_DEP_1)
	v_xor_b32_e32 v3, v3, v2
	v_sub_nc_u32_e32 v2, v3, v2
.LBB174_600:
	s_mov_b32 s0, 0
.LBB174_601:
	s_delay_alu instid0(SALU_CYCLE_1)
	s_and_not1_b32 vcc_lo, exec_lo, s0
	s_cbranch_vccnz .LBB174_603
; %bb.602:
	global_load_b32 v2, v[0:1], off
	s_waitcnt vmcnt(0)
	v_cvt_f32_f16_e32 v2, v2
	s_delay_alu instid0(VALU_DEP_1)
	v_cvt_i32_f32_e32 v2, v2
.LBB174_603:
	s_mov_b32 s0, 0
.LBB174_604:
	s_delay_alu instid0(SALU_CYCLE_1)
	s_and_not1_b32 vcc_lo, exec_lo, s0
	s_cbranch_vccnz .LBB174_615
; %bb.605:
	v_cmp_gt_i16_e32 vcc_lo, 6, v5
	s_cbranch_vccnz .LBB174_608
; %bb.606:
	v_cmp_lt_i16_e32 vcc_lo, 6, v5
	s_cbranch_vccz .LBB174_609
; %bb.607:
	global_load_b64 v[2:3], v[0:1], off
	s_mov_b32 s0, 0
	s_waitcnt vmcnt(0)
	v_trunc_f64_e32 v[2:3], v[2:3]
	s_delay_alu instid0(VALU_DEP_1) | instskip(NEXT) | instid1(VALU_DEP_1)
	v_ldexp_f64 v[8:9], v[2:3], 0xffffffe0
	v_floor_f64_e32 v[8:9], v[8:9]
	s_delay_alu instid0(VALU_DEP_1) | instskip(NEXT) | instid1(VALU_DEP_1)
	v_fma_f64 v[2:3], 0xc1f00000, v[8:9], v[2:3]
	v_cvt_u32_f64_e32 v2, v[2:3]
	s_branch .LBB174_610
.LBB174_608:
	s_mov_b32 s0, -1
                                        ; implicit-def: $vgpr2
	s_branch .LBB174_613
.LBB174_609:
	s_mov_b32 s0, -1
                                        ; implicit-def: $vgpr2
.LBB174_610:
	s_delay_alu instid0(SALU_CYCLE_1)
	s_and_not1_b32 vcc_lo, exec_lo, s0
	s_cbranch_vccnz .LBB174_612
; %bb.611:
	global_load_b32 v2, v[0:1], off
	s_waitcnt vmcnt(0)
	v_trunc_f32_e32 v2, v2
	s_delay_alu instid0(VALU_DEP_1) | instskip(NEXT) | instid1(VALU_DEP_1)
	v_mul_f32_e64 v3, 0x2f800000, |v2|
	v_floor_f32_e32 v3, v3
	s_delay_alu instid0(VALU_DEP_1) | instskip(SKIP_1) | instid1(VALU_DEP_2)
	v_fma_f32 v3, 0xcf800000, v3, |v2|
	v_ashrrev_i32_e32 v2, 31, v2
	v_cvt_u32_f32_e32 v3, v3
	s_delay_alu instid0(VALU_DEP_1) | instskip(NEXT) | instid1(VALU_DEP_1)
	v_xor_b32_e32 v3, v3, v2
	v_sub_nc_u32_e32 v2, v3, v2
.LBB174_612:
	s_mov_b32 s0, 0
.LBB174_613:
	s_delay_alu instid0(SALU_CYCLE_1)
	s_and_not1_b32 vcc_lo, exec_lo, s0
	s_cbranch_vccnz .LBB174_615
; %bb.614:
	global_load_u16 v2, v[0:1], off
	s_waitcnt vmcnt(0)
	v_cvt_f32_f16_e32 v2, v2
	s_delay_alu instid0(VALU_DEP_1)
	v_cvt_i32_f32_e32 v2, v2
.LBB174_615:
	s_mov_b32 s0, 0
.LBB174_616:
	s_delay_alu instid0(SALU_CYCLE_1)
	s_and_not1_b32 vcc_lo, exec_lo, s0
	s_cbranch_vccnz .LBB174_636
; %bb.617:
	v_cmp_gt_i16_e32 vcc_lo, 2, v5
	s_cbranch_vccnz .LBB174_621
; %bb.618:
	v_cmp_gt_i16_e32 vcc_lo, 3, v5
	s_cbranch_vccnz .LBB174_622
; %bb.619:
	v_cmp_lt_i16_e32 vcc_lo, 3, v5
	s_cbranch_vccz .LBB174_623
; %bb.620:
	global_load_b64 v[2:3], v[0:1], off
	s_mov_b32 s0, 0
	s_branch .LBB174_624
.LBB174_621:
	s_mov_b32 s0, -1
                                        ; implicit-def: $vgpr2
	s_branch .LBB174_630
.LBB174_622:
	s_mov_b32 s0, -1
                                        ; implicit-def: $vgpr2
	s_branch .LBB174_627
.LBB174_623:
	s_mov_b32 s0, -1
                                        ; implicit-def: $vgpr2
.LBB174_624:
	s_delay_alu instid0(SALU_CYCLE_1)
	s_and_not1_b32 vcc_lo, exec_lo, s0
	s_cbranch_vccnz .LBB174_626
; %bb.625:
	global_load_b32 v2, v[0:1], off
.LBB174_626:
	s_mov_b32 s0, 0
.LBB174_627:
	s_delay_alu instid0(SALU_CYCLE_1)
	s_and_not1_b32 vcc_lo, exec_lo, s0
	s_cbranch_vccnz .LBB174_629
; %bb.628:
	global_load_u16 v2, v[0:1], off
.LBB174_629:
	s_mov_b32 s0, 0
.LBB174_630:
	s_delay_alu instid0(SALU_CYCLE_1)
	s_and_not1_b32 vcc_lo, exec_lo, s0
	s_cbranch_vccnz .LBB174_636
; %bb.631:
	v_cmp_lt_i16_e32 vcc_lo, 0, v5
	s_mov_b32 s0, 0
	s_cbranch_vccz .LBB174_633
; %bb.632:
	global_load_u8 v2, v[0:1], off
	s_branch .LBB174_634
.LBB174_633:
	s_mov_b32 s0, -1
                                        ; implicit-def: $vgpr2
.LBB174_634:
	s_delay_alu instid0(SALU_CYCLE_1)
	s_and_not1_b32 vcc_lo, exec_lo, s0
	s_cbranch_vccnz .LBB174_636
; %bb.635:
	global_load_u8 v2, v[0:1], off
.LBB174_636:
	s_mov_b32 s0, -1
.LBB174_637:
	s_delay_alu instid0(SALU_CYCLE_1)
	s_and_not1_b32 vcc_lo, exec_lo, s0
	s_cbranch_vccnz .LBB174_645
; %bb.638:
	s_waitcnt vmcnt(0)
	s_delay_alu instid0(VALU_DEP_1) | instskip(SKIP_2) | instid1(VALU_DEP_2)
	v_cvt_f32_ubyte0_e32 v0, v2
	v_lshlrev_b32_e32 v1, 16, v4
	v_and_b32_e64 v3, 0xff, s12
	v_mul_f32_e32 v0, v1, v0
	v_mul_lo_u32 v1, v7, s8
	s_delay_alu instid0(VALU_DEP_3) | instskip(NEXT) | instid1(VALU_DEP_3)
	v_cmp_gt_i16_e32 vcc_lo, 11, v3
	v_mul_f32_e32 v2, s11, v0
	s_and_b32 vcc_lo, exec_lo, vcc_lo
	s_delay_alu instid0(VALU_DEP_3) | instskip(NEXT) | instid1(VALU_DEP_2)
	v_ashrrev_i32_e32 v4, 31, v1
	v_bfe_u32 v0, v2, 16, 1
	s_delay_alu instid0(VALU_DEP_1) | instskip(NEXT) | instid1(VALU_DEP_1)
	v_add3_u32 v0, v2, v0, 0x7fff
	v_lshrrev_b32_e32 v5, 16, v0
	v_add_co_u32 v0, s0, s4, v1
	s_delay_alu instid0(VALU_DEP_1) | instskip(SKIP_1) | instid1(VALU_DEP_1)
	v_add_co_ci_u32_e64 v1, s0, s5, v4, s0
	v_cmp_o_f32_e64 s0, v2, v2
	v_cndmask_b32_e64 v2, 0x7fc0, v5, s0
	s_cbranch_vccnz .LBB174_646
; %bb.639:
	v_cmp_lt_i16_e32 vcc_lo, 25, v3
	s_cbranch_vccz .LBB174_647
; %bb.640:
	v_cmp_lt_i16_e32 vcc_lo, 28, v3
	s_cbranch_vccz .LBB174_648
	;; [unrolled: 3-line block ×4, first 2 shown]
; %bb.643:
	v_cmp_eq_u16_e32 vcc_lo, 46, v3
	s_mov_b32 s25, 0
	s_mov_b32 s0, -1
	s_mov_b32 s22, 0
	s_cbranch_vccz .LBB174_651
; %bb.644:
	v_and_b32_e32 v4, 0xffff, v2
	s_mov_b32 s22, -1
	s_mov_b32 s0, 0
	global_store_b32 v[0:1], v4, off
	s_branch .LBB174_651
.LBB174_645:
	s_mov_b32 s25, 0
	s_mov_b32 s0, s16
	s_branch .LBB174_762
.LBB174_646:
	s_mov_b32 s25, -1
	s_mov_b32 s22, 0
	s_mov_b32 s0, s16
	s_branch .LBB174_720
.LBB174_647:
	s_mov_b32 s25, -1
	s_mov_b32 s22, 0
	s_mov_b32 s0, s16
	s_branch .LBB174_678
.LBB174_648:
	s_mov_b32 s25, -1
	s_mov_b32 s22, 0
	s_mov_b32 s0, s16
	s_branch .LBB174_661
.LBB174_649:
	s_mov_b32 s25, -1
	s_mov_b32 s22, 0
	s_mov_b32 s0, s16
	s_branch .LBB174_657
.LBB174_650:
	s_mov_b32 s25, -1
	s_mov_b32 s22, 0
	s_mov_b32 s0, s16
.LBB174_651:
	s_and_b32 vcc_lo, exec_lo, s25
	s_cbranch_vccz .LBB174_656
; %bb.652:
	v_cmp_eq_u16_e32 vcc_lo, 44, v3
	s_mov_b32 s0, -1
	s_cbranch_vccz .LBB174_656
; %bb.653:
	v_and_b32_e32 v4, 0xffff, v2
	v_mov_b32_e32 v5, 0xff
	s_mov_b32 s22, exec_lo
	s_delay_alu instid0(VALU_DEP_2) | instskip(NEXT) | instid1(VALU_DEP_1)
	v_bfe_u32 v6, v4, 7, 8
	v_cmpx_ne_u32_e32 0xff, v6
; %bb.654:
	v_lshlrev_b32_e32 v5, 16, v4
	v_and_b32_e32 v8, 64, v4
	v_lshrrev_b32_e32 v4, 7, v4
	s_delay_alu instid0(VALU_DEP_3) | instskip(NEXT) | instid1(VALU_DEP_3)
	v_and_or_b32 v5, 0x3f0000, v5, v6
	v_cmp_ne_u32_e32 vcc_lo, 0, v8
	s_delay_alu instid0(VALU_DEP_2) | instskip(NEXT) | instid1(VALU_DEP_1)
	v_cmp_ne_u32_e64 s0, 0, v5
	s_and_b32 s0, vcc_lo, s0
	s_delay_alu instid0(SALU_CYCLE_1) | instskip(NEXT) | instid1(VALU_DEP_1)
	v_cndmask_b32_e64 v5, 0, 1, s0
	v_add_nc_u32_e32 v5, v4, v5
; %bb.655:
	s_or_b32 exec_lo, exec_lo, s22
	s_mov_b32 s22, -1
	s_mov_b32 s0, 0
	global_store_b8 v[0:1], v5, off
.LBB174_656:
	s_mov_b32 s25, 0
.LBB174_657:
	s_delay_alu instid0(SALU_CYCLE_1)
	s_and_b32 vcc_lo, exec_lo, s25
	s_cbranch_vccz .LBB174_660
; %bb.658:
	v_cmp_eq_u16_e32 vcc_lo, 29, v3
	s_mov_b32 s0, -1
	s_cbranch_vccz .LBB174_660
; %bb.659:
	v_lshlrev_b32_e32 v4, 16, v2
	s_mov_b32 s22, -1
	s_mov_b32 s0, 0
	s_mov_b32 s25, 0
	s_delay_alu instid0(VALU_DEP_1) | instskip(NEXT) | instid1(VALU_DEP_1)
	v_trunc_f32_e32 v4, v4
	v_mul_f32_e32 v5, 0x2f800000, v4
	s_delay_alu instid0(VALU_DEP_1) | instskip(NEXT) | instid1(VALU_DEP_1)
	v_floor_f32_e32 v5, v5
	v_fmamk_f32 v4, v5, 0xcf800000, v4
	v_cvt_u32_f32_e32 v5, v5
	s_delay_alu instid0(VALU_DEP_2)
	v_cvt_u32_f32_e32 v4, v4
	global_store_b64 v[0:1], v[4:5], off
	s_branch .LBB174_661
.LBB174_660:
	s_mov_b32 s25, 0
.LBB174_661:
	s_delay_alu instid0(SALU_CYCLE_1)
	s_and_b32 vcc_lo, exec_lo, s25
	s_cbranch_vccz .LBB174_677
; %bb.662:
	v_cmp_gt_i16_e32 vcc_lo, 27, v3
	s_mov_b32 s22, -1
	s_cbranch_vccnz .LBB174_668
; %bb.663:
	v_cmp_lt_i16_e32 vcc_lo, 27, v3
	s_cbranch_vccz .LBB174_665
; %bb.664:
	v_lshlrev_b32_e32 v4, 16, v2
	s_mov_b32 s22, 0
	s_delay_alu instid0(VALU_DEP_1)
	v_cvt_u32_f32_e32 v4, v4
	global_store_b32 v[0:1], v4, off
.LBB174_665:
	s_and_not1_b32 vcc_lo, exec_lo, s22
	s_cbranch_vccnz .LBB174_667
; %bb.666:
	v_lshlrev_b32_e32 v4, 16, v2
	s_delay_alu instid0(VALU_DEP_1)
	v_cvt_u32_f32_e32 v4, v4
	global_store_b16 v[0:1], v4, off
.LBB174_667:
	s_mov_b32 s22, 0
.LBB174_668:
	s_delay_alu instid0(SALU_CYCLE_1)
	s_and_not1_b32 vcc_lo, exec_lo, s22
	s_cbranch_vccnz .LBB174_676
; %bb.669:
	v_lshlrev_b32_e32 v6, 16, v2
	v_mov_b32_e32 v8, 0x80
	s_mov_b32 s22, exec_lo
	s_delay_alu instid0(VALU_DEP_2) | instskip(NEXT) | instid1(VALU_DEP_1)
	v_and_b32_e32 v5, 0x7fffffff, v6
	v_cmpx_gt_u32_e32 0x43800000, v5
	s_cbranch_execz .LBB174_675
; %bb.670:
	v_and_b32_e32 v4, 0xffff, v2
	v_cmp_lt_u32_e32 vcc_lo, 0x3bffffff, v5
	s_mov_b32 s25, 0
                                        ; implicit-def: $vgpr5
	s_and_saveexec_b32 s26, vcc_lo
	s_delay_alu instid0(SALU_CYCLE_1)
	s_xor_b32 s26, exec_lo, s26
	s_cbranch_execz .LBB174_778
; %bb.671:
	v_bfe_u32 v5, v4, 4, 1
	s_mov_b32 s25, exec_lo
	s_delay_alu instid0(VALU_DEP_1) | instskip(NEXT) | instid1(VALU_DEP_1)
	v_add3_u32 v5, v6, v5, 0x487ffff
                                        ; implicit-def: $vgpr6
	v_lshrrev_b32_e32 v5, 20, v5
	s_or_saveexec_b32 s26, s26
                                        ; implicit-def: $sgpr27
	s_delay_alu instid0(SALU_CYCLE_1)
	s_xor_b32 exec_lo, exec_lo, s26
	s_cbranch_execnz .LBB174_779
.LBB174_672:
	s_or_b32 exec_lo, exec_lo, s26
	v_mov_b32_e32 v8, s27
	s_and_saveexec_b32 s26, s25
.LBB174_673:
	v_lshrrev_b32_e32 v4, 8, v4
	s_delay_alu instid0(VALU_DEP_1)
	v_and_or_b32 v8, 0x80, v4, v5
.LBB174_674:
	s_or_b32 exec_lo, exec_lo, s26
.LBB174_675:
	s_delay_alu instid0(SALU_CYCLE_1)
	s_or_b32 exec_lo, exec_lo, s22
	global_store_b8 v[0:1], v8, off
.LBB174_676:
	s_mov_b32 s22, -1
.LBB174_677:
	s_mov_b32 s25, 0
.LBB174_678:
	s_delay_alu instid0(SALU_CYCLE_1)
	s_and_b32 vcc_lo, exec_lo, s25
	s_cbranch_vccz .LBB174_719
; %bb.679:
	v_cmp_lt_i16_e32 vcc_lo, 22, v3
	s_mov_b32 s25, -1
	s_cbranch_vccz .LBB174_711
; %bb.680:
	v_cmp_gt_i16_e32 vcc_lo, 24, v3
	s_mov_b32 s22, -1
	s_cbranch_vccnz .LBB174_700
; %bb.681:
	v_cmp_lt_i16_e32 vcc_lo, 24, v3
	s_cbranch_vccz .LBB174_689
; %bb.682:
	v_lshlrev_b32_e32 v6, 16, v2
	v_mov_b32_e32 v8, 0x80
	s_mov_b32 s22, exec_lo
	s_delay_alu instid0(VALU_DEP_2) | instskip(NEXT) | instid1(VALU_DEP_1)
	v_and_b32_e32 v5, 0x7fffffff, v6
	v_cmpx_gt_u32_e32 0x47800000, v5
	s_cbranch_execz .LBB174_688
; %bb.683:
	v_and_b32_e32 v4, 0xffff, v2
	v_cmp_lt_u32_e32 vcc_lo, 0x37ffffff, v5
	s_mov_b32 s25, 0
                                        ; implicit-def: $vgpr5
	s_and_saveexec_b32 s26, vcc_lo
	s_delay_alu instid0(SALU_CYCLE_1)
	s_xor_b32 s26, exec_lo, s26
	s_cbranch_execz .LBB174_910
; %bb.684:
	v_bfe_u32 v5, v4, 5, 1
	s_mov_b32 s25, exec_lo
	s_delay_alu instid0(VALU_DEP_1) | instskip(NEXT) | instid1(VALU_DEP_1)
	v_add3_u32 v5, v6, v5, 0x88fffff
                                        ; implicit-def: $vgpr6
	v_lshrrev_b32_e32 v5, 21, v5
	s_or_saveexec_b32 s26, s26
                                        ; implicit-def: $sgpr27
	s_delay_alu instid0(SALU_CYCLE_1)
	s_xor_b32 exec_lo, exec_lo, s26
	s_cbranch_execnz .LBB174_911
.LBB174_685:
	s_or_b32 exec_lo, exec_lo, s26
	v_mov_b32_e32 v8, s27
	s_and_saveexec_b32 s26, s25
.LBB174_686:
	v_lshrrev_b32_e32 v4, 8, v4
	s_delay_alu instid0(VALU_DEP_1)
	v_and_or_b32 v8, 0x80, v4, v5
.LBB174_687:
	s_or_b32 exec_lo, exec_lo, s26
.LBB174_688:
	s_delay_alu instid0(SALU_CYCLE_1)
	s_or_b32 exec_lo, exec_lo, s22
	s_mov_b32 s22, 0
	global_store_b8 v[0:1], v8, off
.LBB174_689:
	s_and_b32 vcc_lo, exec_lo, s22
	s_cbranch_vccz .LBB174_699
; %bb.690:
	v_lshlrev_b32_e32 v6, 16, v2
	v_and_b32_e32 v4, 0xffff, v2
	s_mov_b32 s22, exec_lo
                                        ; implicit-def: $vgpr5
	s_delay_alu instid0(VALU_DEP_2) | instskip(NEXT) | instid1(VALU_DEP_1)
	v_and_b32_e32 v8, 0x7fffffff, v6
	v_cmpx_gt_u32_e32 0x43f00000, v8
	s_xor_b32 s22, exec_lo, s22
	s_cbranch_execz .LBB174_696
; %bb.691:
	s_mov_b32 s25, exec_lo
                                        ; implicit-def: $vgpr5
	v_cmpx_lt_u32_e32 0x3c7fffff, v8
	s_xor_b32 s25, exec_lo, s25
; %bb.692:
	v_bfe_u32 v5, v4, 4, 1
	s_delay_alu instid0(VALU_DEP_1) | instskip(NEXT) | instid1(VALU_DEP_1)
	v_add3_u32 v5, v6, v5, 0x407ffff
	v_and_b32_e32 v6, 0xff00000, v5
	v_lshrrev_b32_e32 v5, 20, v5
	s_delay_alu instid0(VALU_DEP_2) | instskip(NEXT) | instid1(VALU_DEP_2)
	v_cmp_ne_u32_e32 vcc_lo, 0x7f00000, v6
                                        ; implicit-def: $vgpr6
	v_cndmask_b32_e32 v5, 0x7e, v5, vcc_lo
; %bb.693:
	s_and_not1_saveexec_b32 s25, s25
; %bb.694:
	v_add_f32_e64 v5, 0x46800000, |v6|
; %bb.695:
	s_or_b32 exec_lo, exec_lo, s25
                                        ; implicit-def: $vgpr8
.LBB174_696:
	s_and_not1_saveexec_b32 s22, s22
; %bb.697:
	v_mov_b32_e32 v5, 0x7f
	v_cmp_lt_u32_e32 vcc_lo, 0x7f800000, v8
	s_delay_alu instid0(VALU_DEP_2)
	v_cndmask_b32_e32 v5, 0x7e, v5, vcc_lo
; %bb.698:
	s_or_b32 exec_lo, exec_lo, s22
	v_lshrrev_b32_e32 v4, 8, v4
	s_delay_alu instid0(VALU_DEP_1)
	v_and_or_b32 v4, 0x80, v4, v5
	global_store_b8 v[0:1], v4, off
.LBB174_699:
	s_mov_b32 s22, 0
.LBB174_700:
	s_delay_alu instid0(SALU_CYCLE_1)
	s_and_not1_b32 vcc_lo, exec_lo, s22
	s_cbranch_vccnz .LBB174_710
; %bb.701:
	v_lshlrev_b32_e32 v6, 16, v2
	v_and_b32_e32 v4, 0xffff, v2
	s_mov_b32 s22, exec_lo
                                        ; implicit-def: $vgpr5
	s_delay_alu instid0(VALU_DEP_2) | instskip(NEXT) | instid1(VALU_DEP_1)
	v_and_b32_e32 v8, 0x7fffffff, v6
	v_cmpx_gt_u32_e32 0x47800000, v8
	s_xor_b32 s22, exec_lo, s22
	s_cbranch_execz .LBB174_707
; %bb.702:
	s_mov_b32 s25, exec_lo
                                        ; implicit-def: $vgpr5
	v_cmpx_lt_u32_e32 0x387fffff, v8
	s_xor_b32 s25, exec_lo, s25
; %bb.703:
	v_bfe_u32 v5, v4, 5, 1
	s_delay_alu instid0(VALU_DEP_1) | instskip(NEXT) | instid1(VALU_DEP_1)
	v_add3_u32 v5, v6, v5, 0x80fffff
                                        ; implicit-def: $vgpr6
	v_lshrrev_b32_e32 v5, 21, v5
; %bb.704:
	s_and_not1_saveexec_b32 s25, s25
; %bb.705:
	v_add_f32_e64 v5, 0x43000000, |v6|
; %bb.706:
	s_or_b32 exec_lo, exec_lo, s25
                                        ; implicit-def: $vgpr8
.LBB174_707:
	s_and_not1_saveexec_b32 s22, s22
; %bb.708:
	v_mov_b32_e32 v5, 0x7f
	v_cmp_lt_u32_e32 vcc_lo, 0x7f800000, v8
	s_delay_alu instid0(VALU_DEP_2)
	v_cndmask_b32_e32 v5, 0x7c, v5, vcc_lo
; %bb.709:
	s_or_b32 exec_lo, exec_lo, s22
	v_lshrrev_b32_e32 v4, 8, v4
	s_delay_alu instid0(VALU_DEP_1)
	v_and_or_b32 v4, 0x80, v4, v5
	global_store_b8 v[0:1], v4, off
.LBB174_710:
	s_mov_b32 s25, 0
	s_mov_b32 s22, -1
.LBB174_711:
	s_and_not1_b32 vcc_lo, exec_lo, s25
	s_cbranch_vccnz .LBB174_719
; %bb.712:
	v_cmp_lt_i16_e32 vcc_lo, 14, v3
	s_mov_b32 s25, -1
	s_cbranch_vccz .LBB174_716
; %bb.713:
	v_cmp_eq_u16_e32 vcc_lo, 15, v3
	s_mov_b32 s0, -1
	s_cbranch_vccz .LBB174_715
; %bb.714:
	s_mov_b32 s22, -1
	s_mov_b32 s0, 0
	global_store_b16 v[0:1], v2, off
.LBB174_715:
	s_mov_b32 s25, 0
.LBB174_716:
	s_delay_alu instid0(SALU_CYCLE_1)
	s_and_b32 vcc_lo, exec_lo, s25
	s_cbranch_vccz .LBB174_719
; %bb.717:
	v_cmp_eq_u16_e32 vcc_lo, 11, v3
	s_mov_b32 s0, -1
	s_cbranch_vccz .LBB174_719
; %bb.718:
	v_and_b32_e32 v4, 0x7fff, v2
	s_mov_b32 s0, 0
	s_mov_b32 s22, -1
	s_delay_alu instid0(VALU_DEP_1)
	v_cmp_ne_u16_e32 vcc_lo, 0, v4
	v_cndmask_b32_e64 v4, 0, 1, vcc_lo
	global_store_b8 v[0:1], v4, off
.LBB174_719:
	s_mov_b32 s25, 0
.LBB174_720:
	s_delay_alu instid0(SALU_CYCLE_1)
	s_and_b32 vcc_lo, exec_lo, s25
	s_cbranch_vccz .LBB174_759
; %bb.721:
	v_cmp_gt_i16_e32 vcc_lo, 5, v3
	s_mov_b32 s22, -1
	s_cbranch_vccnz .LBB174_742
; %bb.722:
	v_cmp_gt_i16_e32 vcc_lo, 8, v3
	s_cbranch_vccnz .LBB174_732
; %bb.723:
	v_cmp_gt_i16_e32 vcc_lo, 9, v3
	s_cbranch_vccnz .LBB174_729
; %bb.724:
	v_cmp_lt_i16_e32 vcc_lo, 9, v3
	s_cbranch_vccz .LBB174_726
; %bb.725:
	v_mov_b32_e32 v10, 0
	v_lshlrev_b32_e32 v4, 16, v2
	s_mov_b32 s22, 0
	s_delay_alu instid0(VALU_DEP_2) | instskip(NEXT) | instid1(VALU_DEP_2)
	v_mov_b32_e32 v11, v10
	v_cvt_f64_f32_e32 v[8:9], v4
	global_store_b128 v[0:1], v[8:11], off
.LBB174_726:
	s_and_not1_b32 vcc_lo, exec_lo, s22
	s_cbranch_vccnz .LBB174_728
; %bb.727:
	v_dual_mov_b32 v5, 0 :: v_dual_lshlrev_b32 v4, 16, v2
	global_store_b64 v[0:1], v[4:5], off
.LBB174_728:
	s_mov_b32 s22, 0
.LBB174_729:
	s_delay_alu instid0(SALU_CYCLE_1)
	s_and_not1_b32 vcc_lo, exec_lo, s22
	s_cbranch_vccnz .LBB174_731
; %bb.730:
	v_lshlrev_b32_e32 v4, 16, v2
	s_delay_alu instid0(VALU_DEP_1) | instskip(NEXT) | instid1(VALU_DEP_1)
	v_cvt_f16_f32_e32 v4, v4
	v_and_b32_e32 v4, 0xffff, v4
	global_store_b32 v[0:1], v4, off
.LBB174_731:
	s_mov_b32 s22, 0
.LBB174_732:
	s_delay_alu instid0(SALU_CYCLE_1)
	s_and_not1_b32 vcc_lo, exec_lo, s22
	s_cbranch_vccnz .LBB174_741
; %bb.733:
	v_cmp_gt_i16_e32 vcc_lo, 6, v3
	s_mov_b32 s22, -1
	s_cbranch_vccnz .LBB174_739
; %bb.734:
	v_cmp_lt_i16_e32 vcc_lo, 6, v3
	s_cbranch_vccz .LBB174_736
; %bb.735:
	v_lshlrev_b32_e32 v4, 16, v2
	s_mov_b32 s22, 0
	s_delay_alu instid0(VALU_DEP_1)
	v_cvt_f64_f32_e32 v[4:5], v4
	global_store_b64 v[0:1], v[4:5], off
.LBB174_736:
	s_and_not1_b32 vcc_lo, exec_lo, s22
	s_cbranch_vccnz .LBB174_738
; %bb.737:
	v_lshlrev_b32_e32 v4, 16, v2
	global_store_b32 v[0:1], v4, off
.LBB174_738:
	s_mov_b32 s22, 0
.LBB174_739:
	s_delay_alu instid0(SALU_CYCLE_1)
	s_and_not1_b32 vcc_lo, exec_lo, s22
	s_cbranch_vccnz .LBB174_741
; %bb.740:
	v_lshlrev_b32_e32 v4, 16, v2
	s_delay_alu instid0(VALU_DEP_1)
	v_cvt_f16_f32_e32 v4, v4
	global_store_b16 v[0:1], v4, off
.LBB174_741:
	s_mov_b32 s22, 0
.LBB174_742:
	s_delay_alu instid0(SALU_CYCLE_1)
	s_and_not1_b32 vcc_lo, exec_lo, s22
	s_cbranch_vccnz .LBB174_758
; %bb.743:
	v_cmp_gt_i16_e32 vcc_lo, 2, v3
	s_mov_b32 s22, -1
	s_cbranch_vccnz .LBB174_753
; %bb.744:
	v_cmp_gt_i16_e32 vcc_lo, 3, v3
	s_cbranch_vccnz .LBB174_750
; %bb.745:
	v_cmp_lt_i16_e32 vcc_lo, 3, v3
	s_cbranch_vccz .LBB174_747
; %bb.746:
	v_lshlrev_b32_e32 v4, 16, v2
	s_mov_b32 s22, 0
	s_delay_alu instid0(VALU_DEP_1) | instskip(NEXT) | instid1(VALU_DEP_1)
	v_trunc_f32_e32 v4, v4
	v_mul_f32_e64 v5, 0x2f800000, |v4|
	v_ashrrev_i32_e32 v8, 31, v4
	s_delay_alu instid0(VALU_DEP_2) | instskip(NEXT) | instid1(VALU_DEP_1)
	v_floor_f32_e32 v5, v5
	v_fma_f32 v6, 0xcf800000, v5, |v4|
	v_cvt_u32_f32_e32 v5, v5
	s_delay_alu instid0(VALU_DEP_2) | instskip(NEXT) | instid1(VALU_DEP_2)
	v_cvt_u32_f32_e32 v4, v6
	v_xor_b32_e32 v5, v5, v8
	s_delay_alu instid0(VALU_DEP_2) | instskip(NEXT) | instid1(VALU_DEP_1)
	v_xor_b32_e32 v4, v4, v8
	v_sub_co_u32 v4, vcc_lo, v4, v8
	s_delay_alu instid0(VALU_DEP_3)
	v_sub_co_ci_u32_e32 v5, vcc_lo, v5, v8, vcc_lo
	global_store_b64 v[0:1], v[4:5], off
.LBB174_747:
	s_and_not1_b32 vcc_lo, exec_lo, s22
	s_cbranch_vccnz .LBB174_749
; %bb.748:
	v_lshlrev_b32_e32 v4, 16, v2
	s_delay_alu instid0(VALU_DEP_1)
	v_cvt_i32_f32_e32 v4, v4
	global_store_b32 v[0:1], v4, off
.LBB174_749:
	s_mov_b32 s22, 0
.LBB174_750:
	s_delay_alu instid0(SALU_CYCLE_1)
	s_and_not1_b32 vcc_lo, exec_lo, s22
	s_cbranch_vccnz .LBB174_752
; %bb.751:
	v_lshlrev_b32_e32 v4, 16, v2
	s_delay_alu instid0(VALU_DEP_1)
	v_cvt_i32_f32_e32 v4, v4
	global_store_b16 v[0:1], v4, off
.LBB174_752:
	s_mov_b32 s22, 0
.LBB174_753:
	s_delay_alu instid0(SALU_CYCLE_1)
	s_and_not1_b32 vcc_lo, exec_lo, s22
	s_cbranch_vccnz .LBB174_758
; %bb.754:
	v_cmp_lt_i16_e32 vcc_lo, 0, v3
	s_mov_b32 s22, -1
	s_cbranch_vccz .LBB174_756
; %bb.755:
	v_lshlrev_b32_e32 v3, 16, v2
	s_mov_b32 s22, 0
	s_delay_alu instid0(VALU_DEP_1)
	v_cvt_i32_f32_e32 v3, v3
	global_store_b8 v[0:1], v3, off
.LBB174_756:
	s_and_not1_b32 vcc_lo, exec_lo, s22
	s_cbranch_vccnz .LBB174_758
; %bb.757:
	v_lshlrev_b32_e32 v2, 16, v2
	s_delay_alu instid0(VALU_DEP_1) | instskip(NEXT) | instid1(VALU_DEP_1)
	v_trunc_f32_e32 v2, v2
	v_mul_f32_e64 v3, 0x2f800000, |v2|
	s_delay_alu instid0(VALU_DEP_1) | instskip(NEXT) | instid1(VALU_DEP_1)
	v_floor_f32_e32 v3, v3
	v_fma_f32 v3, 0xcf800000, v3, |v2|
	v_ashrrev_i32_e32 v2, 31, v2
	s_delay_alu instid0(VALU_DEP_2) | instskip(NEXT) | instid1(VALU_DEP_1)
	v_cvt_u32_f32_e32 v3, v3
	v_xor_b32_e32 v3, v3, v2
	s_delay_alu instid0(VALU_DEP_1)
	v_sub_nc_u32_e32 v2, v3, v2
	global_store_b8 v[0:1], v2, off
.LBB174_758:
	s_mov_b32 s22, -1
.LBB174_759:
	s_delay_alu instid0(SALU_CYCLE_1)
	s_and_not1_b32 vcc_lo, exec_lo, s22
	s_cbranch_vccnz .LBB174_761
; %bb.760:
	v_add_nc_u32_e32 v7, 0x80, v7
	s_mov_b32 s25, -1
	s_branch .LBB174_763
.LBB174_761:
	s_mov_b32 s25, 0
.LBB174_762:
                                        ; implicit-def: $vgpr7
.LBB174_763:
	s_and_not1_b32 s22, s16, exec_lo
	s_and_b32 s0, s0, exec_lo
	s_and_b32 s23, s23, exec_lo
	s_or_b32 s22, s22, s0
	s_and_not1_b32 s0, s18, exec_lo
	s_and_not1_b32 s26, s19, exec_lo
	s_and_b32 s21, s21, exec_lo
	s_or_b32 s23, s0, s23
	s_or_b32 s21, s26, s21
	s_or_not1_b32 s26, s25, exec_lo
.LBB174_764:
	s_or_b32 exec_lo, exec_lo, s24
	s_mov_b32 s25, 0
	s_mov_b32 s27, 0
	;; [unrolled: 1-line block ×3, first 2 shown]
                                        ; implicit-def: $vgpr2
                                        ; implicit-def: $vgpr0_vgpr1
                                        ; implicit-def: $vgpr4
	s_and_saveexec_b32 s24, s26
	s_cbranch_execz .LBB174_1235
; %bb.765:
	s_mov_b32 s31, -1
	s_mov_b32 s26, s21
	s_mov_b32 s27, s23
	;; [unrolled: 1-line block ×3, first 2 shown]
	s_mov_b32 s25, exec_lo
	v_cmpx_gt_i32_e64 s17, v7
	s_cbranch_execz .LBB174_1151
; %bb.766:
	v_mul_lo_u32 v0, v7, s9
	s_waitcnt vmcnt(0)
	v_and_b32_e64 v2, 0xff, s14
	s_delay_alu instid0(VALU_DEP_1) | instskip(NEXT) | instid1(VALU_DEP_3)
	v_cmp_gt_i16_e32 vcc_lo, 11, v2
	v_ashrrev_i32_e32 v1, 31, v0
	v_add_co_u32 v0, s0, s6, v0
	s_delay_alu instid0(VALU_DEP_1)
	v_add_co_ci_u32_e64 v1, s0, s7, v1, s0
	s_cbranch_vccnz .LBB174_773
; %bb.767:
	v_cmp_lt_i16_e32 vcc_lo, 25, v2
	s_cbranch_vccz .LBB174_774
; %bb.768:
	v_cmp_lt_i16_e32 vcc_lo, 28, v2
	s_cbranch_vccz .LBB174_775
	;; [unrolled: 3-line block ×4, first 2 shown]
; %bb.771:
	v_cmp_eq_u16_e32 vcc_lo, 46, v2
	s_mov_b32 s27, 0
	s_cbranch_vccz .LBB174_780
; %bb.772:
	global_load_b32 v4, v[0:1], off
	s_mov_b32 s0, -1
	s_mov_b32 s26, 0
	s_branch .LBB174_782
.LBB174_773:
	s_mov_b32 s27, -1
	s_mov_b32 s0, 0
	s_mov_b32 s26, s21
                                        ; implicit-def: $vgpr4
	s_branch .LBB174_847
.LBB174_774:
	s_mov_b32 s27, -1
	s_mov_b32 s0, 0
	s_mov_b32 s26, s21
                                        ; implicit-def: $vgpr4
	s_branch .LBB174_811
.LBB174_775:
	s_mov_b32 s27, -1
	s_mov_b32 s0, 0
	s_mov_b32 s26, s21
                                        ; implicit-def: $vgpr4
	s_branch .LBB174_792
.LBB174_776:
	s_mov_b32 s27, -1
	s_mov_b32 s0, 0
	s_mov_b32 s26, s21
                                        ; implicit-def: $vgpr4
	s_branch .LBB174_787
.LBB174_777:
	s_mov_b32 s27, -1
	s_mov_b32 s0, 0
	s_mov_b32 s26, s21
	s_branch .LBB174_781
.LBB174_778:
	s_or_saveexec_b32 s26, s26
                                        ; implicit-def: $sgpr27
	s_delay_alu instid0(SALU_CYCLE_1)
	s_xor_b32 exec_lo, exec_lo, s26
	s_cbranch_execz .LBB174_672
.LBB174_779:
	v_add_f32_e64 v5, 0x46000000, |v6|
	s_and_not1_b32 s25, s25, exec_lo
	s_mov_b32 s27, 0
	s_delay_alu instid0(VALU_DEP_1) | instskip(NEXT) | instid1(VALU_DEP_1)
	v_and_b32_e32 v5, 0xff, v5
	v_cmp_ne_u32_e32 vcc_lo, 0, v5
	s_and_b32 s28, vcc_lo, exec_lo
	s_delay_alu instid0(SALU_CYCLE_1)
	s_or_b32 s25, s25, s28
	s_or_b32 exec_lo, exec_lo, s26
	v_mov_b32_e32 v8, s27
	s_and_saveexec_b32 s26, s25
	s_cbranch_execnz .LBB174_673
	s_branch .LBB174_674
.LBB174_780:
	s_mov_b32 s26, -1
	s_mov_b32 s0, 0
.LBB174_781:
                                        ; implicit-def: $vgpr4
.LBB174_782:
	s_and_b32 vcc_lo, exec_lo, s27
	s_cbranch_vccz .LBB174_786
; %bb.783:
	v_cmp_eq_u16_e32 vcc_lo, 44, v2
	s_cbranch_vccz .LBB174_785
; %bb.784:
	global_load_u8 v3, v[0:1], off
	s_mov_b32 s26, 0
	s_mov_b32 s0, -1
	s_waitcnt vmcnt(0)
	v_lshlrev_b32_e32 v4, 23, v3
	v_cmp_ne_u32_e32 vcc_lo, 0xff, v3
	s_delay_alu instid0(VALU_DEP_2) | instskip(SKIP_1) | instid1(VALU_DEP_2)
	v_cndmask_b32_e32 v4, 0x7f800001, v4, vcc_lo
	v_cmp_ne_u32_e32 vcc_lo, 0, v3
	v_cndmask_b32_e32 v3, 0x400000, v4, vcc_lo
	s_delay_alu instid0(VALU_DEP_1) | instskip(SKIP_1) | instid1(VALU_DEP_2)
	v_add_nc_u32_e32 v4, 0x7fff, v3
	v_cmp_o_f32_e32 vcc_lo, v3, v3
	v_lshrrev_b32_e32 v4, 16, v4
	s_delay_alu instid0(VALU_DEP_1)
	v_cndmask_b32_e32 v4, 0x7fc0, v4, vcc_lo
	s_branch .LBB174_786
.LBB174_785:
	s_mov_b32 s26, -1
                                        ; implicit-def: $vgpr4
.LBB174_786:
	s_mov_b32 s27, 0
.LBB174_787:
	s_delay_alu instid0(SALU_CYCLE_1)
	s_and_b32 vcc_lo, exec_lo, s27
	s_cbranch_vccz .LBB174_791
; %bb.788:
	v_cmp_eq_u16_e32 vcc_lo, 29, v2
	s_cbranch_vccz .LBB174_790
; %bb.789:
	global_load_b64 v[3:4], v[0:1], off
	s_mov_b32 s0, -1
	s_mov_b32 s26, 0
	s_mov_b32 s27, 0
	s_waitcnt vmcnt(0)
	v_clz_i32_u32_e32 v5, v4
	s_delay_alu instid0(VALU_DEP_1) | instskip(NEXT) | instid1(VALU_DEP_1)
	v_min_u32_e32 v5, 32, v5
	v_lshlrev_b64 v[3:4], v5, v[3:4]
	s_delay_alu instid0(VALU_DEP_1) | instskip(NEXT) | instid1(VALU_DEP_1)
	v_min_u32_e32 v3, 1, v3
	v_or_b32_e32 v3, v4, v3
	v_sub_nc_u32_e32 v4, 32, v5
	s_delay_alu instid0(VALU_DEP_2) | instskip(NEXT) | instid1(VALU_DEP_1)
	v_cvt_f32_u32_e32 v3, v3
	v_ldexp_f32 v3, v3, v4
	s_delay_alu instid0(VALU_DEP_1) | instskip(NEXT) | instid1(VALU_DEP_1)
	v_bfe_u32 v4, v3, 16, 1
	v_add3_u32 v3, v3, v4, 0x7fff
	s_delay_alu instid0(VALU_DEP_1)
	v_lshrrev_b32_e32 v4, 16, v3
	s_branch .LBB174_792
.LBB174_790:
	s_mov_b32 s26, -1
                                        ; implicit-def: $vgpr4
.LBB174_791:
	s_mov_b32 s27, 0
.LBB174_792:
	s_delay_alu instid0(SALU_CYCLE_1)
	s_and_b32 vcc_lo, exec_lo, s27
	s_cbranch_vccz .LBB174_810
; %bb.793:
	v_cmp_gt_i16_e32 vcc_lo, 27, v2
	s_cbranch_vccnz .LBB174_796
; %bb.794:
	v_cmp_lt_i16_e32 vcc_lo, 27, v2
	s_cbranch_vccz .LBB174_797
; %bb.795:
	global_load_b32 v3, v[0:1], off
	s_mov_b32 s0, 0
	s_waitcnt vmcnt(0)
	v_cvt_f32_u32_e32 v3, v3
	s_delay_alu instid0(VALU_DEP_1) | instskip(NEXT) | instid1(VALU_DEP_1)
	v_bfe_u32 v4, v3, 16, 1
	v_add3_u32 v3, v3, v4, 0x7fff
	s_delay_alu instid0(VALU_DEP_1)
	v_lshrrev_b32_e32 v4, 16, v3
	s_branch .LBB174_798
.LBB174_796:
	s_mov_b32 s0, -1
                                        ; implicit-def: $vgpr4
	s_branch .LBB174_801
.LBB174_797:
	s_mov_b32 s0, -1
                                        ; implicit-def: $vgpr4
.LBB174_798:
	s_delay_alu instid0(SALU_CYCLE_1)
	s_and_not1_b32 vcc_lo, exec_lo, s0
	s_cbranch_vccnz .LBB174_800
; %bb.799:
	global_load_u16 v3, v[0:1], off
	s_waitcnt vmcnt(0)
	v_cvt_f32_u32_e32 v3, v3
	s_delay_alu instid0(VALU_DEP_1) | instskip(NEXT) | instid1(VALU_DEP_1)
	v_bfe_u32 v4, v3, 16, 1
	v_add3_u32 v3, v3, v4, 0x7fff
	s_delay_alu instid0(VALU_DEP_1)
	v_lshrrev_b32_e32 v4, 16, v3
.LBB174_800:
	s_mov_b32 s0, 0
.LBB174_801:
	s_delay_alu instid0(SALU_CYCLE_1)
	s_and_not1_b32 vcc_lo, exec_lo, s0
	s_cbranch_vccnz .LBB174_809
; %bb.802:
	global_load_u8 v3, v[0:1], off
	s_mov_b32 s0, 0
	s_mov_b32 s28, exec_lo
                                        ; implicit-def: $sgpr27
	s_waitcnt vmcnt(0)
	v_cmpx_lt_i16_e32 0x7f, v3
	s_xor_b32 s28, exec_lo, s28
	s_cbranch_execz .LBB174_823
; %bb.803:
	s_mov_b32 s0, -1
	s_mov_b32 s29, exec_lo
                                        ; implicit-def: $sgpr27
	v_cmpx_eq_u16_e32 0x80, v3
; %bb.804:
	s_mov_b32 s27, 0x7f800001
	s_xor_b32 s0, exec_lo, -1
; %bb.805:
	s_or_b32 exec_lo, exec_lo, s29
	s_delay_alu instid0(SALU_CYCLE_1)
	s_and_b32 s0, s0, exec_lo
	s_or_saveexec_b32 s28, s28
	v_mov_b32_e32 v4, s27
	s_xor_b32 exec_lo, exec_lo, s28
	s_cbranch_execnz .LBB174_824
.LBB174_806:
	s_or_b32 exec_lo, exec_lo, s28
	s_and_saveexec_b32 s27, s0
	s_cbranch_execz .LBB174_808
.LBB174_807:
	v_and_b32_e32 v4, 0xffff, v3
	v_lshlrev_b32_e32 v3, 24, v3
	s_delay_alu instid0(VALU_DEP_2) | instskip(NEXT) | instid1(VALU_DEP_2)
	v_and_b32_e32 v5, 7, v4
	v_and_b32_e32 v3, 0x80000000, v3
	s_delay_alu instid0(VALU_DEP_2) | instskip(NEXT) | instid1(VALU_DEP_1)
	v_clz_i32_u32_e32 v6, v5
	v_min_u32_e32 v6, 32, v6
	s_delay_alu instid0(VALU_DEP_1) | instskip(SKIP_1) | instid1(VALU_DEP_2)
	v_subrev_nc_u32_e32 v8, 28, v6
	v_sub_nc_u32_e32 v6, 29, v6
	v_lshlrev_b32_e32 v8, v8, v4
	v_bfe_u32 v4, v4, 3, 4
	s_delay_alu instid0(VALU_DEP_2) | instskip(NEXT) | instid1(VALU_DEP_2)
	v_and_b32_e32 v8, 7, v8
	v_cmp_eq_u32_e32 vcc_lo, 0, v4
	s_delay_alu instid0(VALU_DEP_2) | instskip(NEXT) | instid1(VALU_DEP_1)
	v_dual_cndmask_b32 v4, v4, v6 :: v_dual_cndmask_b32 v5, v5, v8
	v_lshl_add_u32 v4, v4, 23, 0x3b800000
	s_delay_alu instid0(VALU_DEP_2) | instskip(NEXT) | instid1(VALU_DEP_1)
	v_lshlrev_b32_e32 v5, 20, v5
	v_or3_b32 v4, v3, v4, v5
.LBB174_808:
	s_or_b32 exec_lo, exec_lo, s27
	s_delay_alu instid0(VALU_DEP_1) | instskip(SKIP_1) | instid1(VALU_DEP_2)
	v_bfe_u32 v3, v4, 16, 1
	v_cmp_o_f32_e32 vcc_lo, v4, v4
	v_add3_u32 v3, v4, v3, 0x7fff
	s_delay_alu instid0(VALU_DEP_1) | instskip(NEXT) | instid1(VALU_DEP_1)
	v_lshrrev_b32_e32 v3, 16, v3
	v_cndmask_b32_e32 v4, 0x7fc0, v3, vcc_lo
.LBB174_809:
	s_mov_b32 s0, -1
.LBB174_810:
	s_mov_b32 s27, 0
.LBB174_811:
	s_delay_alu instid0(SALU_CYCLE_1)
	s_and_b32 vcc_lo, exec_lo, s27
	s_cbranch_vccz .LBB174_846
; %bb.812:
	v_cmp_lt_i16_e32 vcc_lo, 22, v2
	s_cbranch_vccz .LBB174_822
; %bb.813:
	v_cmp_gt_i16_e32 vcc_lo, 24, v2
	s_cbranch_vccnz .LBB174_825
; %bb.814:
	v_cmp_lt_i16_e32 vcc_lo, 24, v2
	s_cbranch_vccz .LBB174_826
; %bb.815:
	global_load_u8 v3, v[0:1], off
	s_mov_b32 s0, 0
	s_mov_b32 s28, exec_lo
                                        ; implicit-def: $sgpr27
	s_waitcnt vmcnt(0)
	v_cmpx_lt_i16_e32 0x7f, v3
	s_xor_b32 s28, exec_lo, s28
	s_cbranch_execz .LBB174_838
; %bb.816:
	s_mov_b32 s0, -1
	s_mov_b32 s29, exec_lo
                                        ; implicit-def: $sgpr27
	v_cmpx_eq_u16_e32 0x80, v3
; %bb.817:
	s_mov_b32 s27, 0x7f800001
	s_xor_b32 s0, exec_lo, -1
; %bb.818:
	s_or_b32 exec_lo, exec_lo, s29
	s_delay_alu instid0(SALU_CYCLE_1)
	s_and_b32 s0, s0, exec_lo
	s_or_saveexec_b32 s28, s28
	v_mov_b32_e32 v4, s27
	s_xor_b32 exec_lo, exec_lo, s28
	s_cbranch_execnz .LBB174_839
.LBB174_819:
	s_or_b32 exec_lo, exec_lo, s28
	s_and_saveexec_b32 s27, s0
	s_cbranch_execz .LBB174_821
.LBB174_820:
	v_and_b32_e32 v4, 0xffff, v3
	v_lshlrev_b32_e32 v3, 24, v3
	s_delay_alu instid0(VALU_DEP_2) | instskip(NEXT) | instid1(VALU_DEP_2)
	v_and_b32_e32 v5, 3, v4
	v_and_b32_e32 v3, 0x80000000, v3
	s_delay_alu instid0(VALU_DEP_2) | instskip(NEXT) | instid1(VALU_DEP_1)
	v_clz_i32_u32_e32 v6, v5
	v_min_u32_e32 v6, 32, v6
	s_delay_alu instid0(VALU_DEP_1) | instskip(SKIP_1) | instid1(VALU_DEP_2)
	v_subrev_nc_u32_e32 v8, 29, v6
	v_sub_nc_u32_e32 v6, 30, v6
	v_lshlrev_b32_e32 v8, v8, v4
	v_bfe_u32 v4, v4, 2, 5
	s_delay_alu instid0(VALU_DEP_2) | instskip(NEXT) | instid1(VALU_DEP_2)
	v_and_b32_e32 v8, 3, v8
	v_cmp_eq_u32_e32 vcc_lo, 0, v4
	s_delay_alu instid0(VALU_DEP_2) | instskip(NEXT) | instid1(VALU_DEP_1)
	v_dual_cndmask_b32 v4, v4, v6 :: v_dual_cndmask_b32 v5, v5, v8
	v_lshl_add_u32 v4, v4, 23, 0x37800000
	s_delay_alu instid0(VALU_DEP_2) | instskip(NEXT) | instid1(VALU_DEP_1)
	v_lshlrev_b32_e32 v5, 21, v5
	v_or3_b32 v4, v3, v4, v5
.LBB174_821:
	s_or_b32 exec_lo, exec_lo, s27
	s_delay_alu instid0(VALU_DEP_1) | instskip(SKIP_2) | instid1(VALU_DEP_2)
	v_bfe_u32 v3, v4, 16, 1
	v_cmp_o_f32_e32 vcc_lo, v4, v4
	s_mov_b32 s0, 0
	v_add3_u32 v3, v4, v3, 0x7fff
	s_delay_alu instid0(VALU_DEP_1) | instskip(NEXT) | instid1(VALU_DEP_1)
	v_lshrrev_b32_e32 v3, 16, v3
	v_cndmask_b32_e32 v4, 0x7fc0, v3, vcc_lo
	s_branch .LBB174_827
.LBB174_822:
	s_mov_b32 s27, -1
                                        ; implicit-def: $vgpr4
	s_branch .LBB174_833
.LBB174_823:
	s_or_saveexec_b32 s28, s28
	v_mov_b32_e32 v4, s27
	s_xor_b32 exec_lo, exec_lo, s28
	s_cbranch_execz .LBB174_806
.LBB174_824:
	v_cmp_ne_u16_e32 vcc_lo, 0, v3
	v_mov_b32_e32 v4, 0
	s_and_not1_b32 s0, s0, exec_lo
	s_and_b32 s27, vcc_lo, exec_lo
	s_delay_alu instid0(SALU_CYCLE_1)
	s_or_b32 s0, s0, s27
	s_or_b32 exec_lo, exec_lo, s28
	s_and_saveexec_b32 s27, s0
	s_cbranch_execnz .LBB174_807
	s_branch .LBB174_808
.LBB174_825:
	s_mov_b32 s0, -1
                                        ; implicit-def: $vgpr4
	s_branch .LBB174_830
.LBB174_826:
	s_mov_b32 s0, -1
                                        ; implicit-def: $vgpr4
.LBB174_827:
	s_delay_alu instid0(SALU_CYCLE_1)
	s_and_b32 vcc_lo, exec_lo, s0
	s_cbranch_vccz .LBB174_829
; %bb.828:
	global_load_u8 v3, v[0:1], off
	s_waitcnt vmcnt(0)
	v_lshlrev_b32_e32 v3, 24, v3
	s_delay_alu instid0(VALU_DEP_1) | instskip(NEXT) | instid1(VALU_DEP_1)
	v_and_b32_e32 v4, 0x7f000000, v3
	v_clz_i32_u32_e32 v5, v4
	v_add_nc_u32_e32 v8, 0x1000000, v4
	v_cmp_ne_u32_e32 vcc_lo, 0, v4
	s_delay_alu instid0(VALU_DEP_3) | instskip(NEXT) | instid1(VALU_DEP_1)
	v_min_u32_e32 v5, 32, v5
	v_sub_nc_u32_e64 v5, v5, 4 clamp
	s_delay_alu instid0(VALU_DEP_1) | instskip(SKIP_1) | instid1(VALU_DEP_2)
	v_lshlrev_b32_e32 v6, v5, v4
	v_lshlrev_b32_e32 v5, 23, v5
	v_lshrrev_b32_e32 v6, 4, v6
	s_delay_alu instid0(VALU_DEP_1) | instskip(SKIP_1) | instid1(VALU_DEP_2)
	v_sub_nc_u32_e32 v5, v6, v5
	v_ashrrev_i32_e32 v6, 8, v8
	v_add_nc_u32_e32 v5, 0x3c000000, v5
	s_delay_alu instid0(VALU_DEP_1) | instskip(NEXT) | instid1(VALU_DEP_1)
	v_and_or_b32 v5, 0x7f800000, v6, v5
	v_cndmask_b32_e32 v4, 0, v5, vcc_lo
	s_delay_alu instid0(VALU_DEP_1) | instskip(SKIP_1) | instid1(VALU_DEP_2)
	v_and_or_b32 v3, 0x80000000, v3, v4
	v_bfe_u32 v4, v4, 16, 1
	v_cmp_o_f32_e32 vcc_lo, v3, v3
	s_delay_alu instid0(VALU_DEP_2) | instskip(NEXT) | instid1(VALU_DEP_1)
	v_add3_u32 v4, v3, v4, 0x7fff
	v_lshrrev_b32_e32 v4, 16, v4
	s_delay_alu instid0(VALU_DEP_1)
	v_cndmask_b32_e32 v4, 0x7fc0, v4, vcc_lo
.LBB174_829:
	s_mov_b32 s0, 0
.LBB174_830:
	s_delay_alu instid0(SALU_CYCLE_1)
	s_and_not1_b32 vcc_lo, exec_lo, s0
	s_cbranch_vccnz .LBB174_832
; %bb.831:
	global_load_u8 v3, v[0:1], off
	s_waitcnt vmcnt(0)
	v_lshlrev_b32_e32 v4, 25, v3
	v_lshlrev_b16 v3, 8, v3
	s_delay_alu instid0(VALU_DEP_2) | instskip(NEXT) | instid1(VALU_DEP_2)
	v_lshrrev_b32_e32 v5, 4, v4
	v_and_or_b32 v6, 0x7f00, v3, 0.5
	v_bfe_i32 v3, v3, 0, 16
	s_delay_alu instid0(VALU_DEP_3) | instskip(NEXT) | instid1(VALU_DEP_1)
	v_or_b32_e32 v5, 0x70000000, v5
	v_dual_add_f32 v6, -0.5, v6 :: v_dual_mul_f32 v5, 0x7800000, v5
	v_cmp_gt_u32_e32 vcc_lo, 0x8000000, v4
	s_delay_alu instid0(VALU_DEP_2) | instskip(NEXT) | instid1(VALU_DEP_1)
	v_cndmask_b32_e32 v4, v5, v6, vcc_lo
	v_and_or_b32 v3, 0x80000000, v3, v4
	v_bfe_u32 v4, v4, 16, 1
	s_delay_alu instid0(VALU_DEP_2) | instskip(NEXT) | instid1(VALU_DEP_2)
	v_cmp_o_f32_e32 vcc_lo, v3, v3
	v_add3_u32 v4, v3, v4, 0x7fff
	s_delay_alu instid0(VALU_DEP_1) | instskip(NEXT) | instid1(VALU_DEP_1)
	v_lshrrev_b32_e32 v4, 16, v4
	v_cndmask_b32_e32 v4, 0x7fc0, v4, vcc_lo
.LBB174_832:
	s_mov_b32 s27, 0
	s_mov_b32 s0, -1
.LBB174_833:
	s_and_not1_b32 vcc_lo, exec_lo, s27
	s_cbranch_vccnz .LBB174_846
; %bb.834:
	v_cmp_lt_i16_e32 vcc_lo, 14, v2
	s_cbranch_vccz .LBB174_837
; %bb.835:
	v_cmp_eq_u16_e32 vcc_lo, 15, v2
	s_cbranch_vccz .LBB174_840
; %bb.836:
	global_load_u16 v4, v[0:1], off
	s_mov_b32 s0, -1
	s_mov_b32 s26, 0
	s_branch .LBB174_841
.LBB174_837:
	s_mov_b32 s27, -1
                                        ; implicit-def: $vgpr4
	s_branch .LBB174_842
.LBB174_838:
	s_or_saveexec_b32 s28, s28
	v_mov_b32_e32 v4, s27
	s_xor_b32 exec_lo, exec_lo, s28
	s_cbranch_execz .LBB174_819
.LBB174_839:
	v_cmp_ne_u16_e32 vcc_lo, 0, v3
	v_mov_b32_e32 v4, 0
	s_and_not1_b32 s0, s0, exec_lo
	s_and_b32 s27, vcc_lo, exec_lo
	s_delay_alu instid0(SALU_CYCLE_1)
	s_or_b32 s0, s0, s27
	s_or_b32 exec_lo, exec_lo, s28
	s_and_saveexec_b32 s27, s0
	s_cbranch_execnz .LBB174_820
	s_branch .LBB174_821
.LBB174_840:
	s_mov_b32 s26, -1
                                        ; implicit-def: $vgpr4
.LBB174_841:
	s_mov_b32 s27, 0
.LBB174_842:
	s_delay_alu instid0(SALU_CYCLE_1)
	s_and_b32 vcc_lo, exec_lo, s27
	s_cbranch_vccz .LBB174_846
; %bb.843:
	v_cmp_eq_u16_e32 vcc_lo, 11, v2
	s_cbranch_vccz .LBB174_845
; %bb.844:
	global_load_u8 v3, v[0:1], off
	s_mov_b32 s26, 0
	s_mov_b32 s0, -1
	s_waitcnt vmcnt(0)
	v_cmp_ne_u16_e32 vcc_lo, 0, v3
	v_cndmask_b32_e64 v3, 0, 1.0, vcc_lo
	s_delay_alu instid0(VALU_DEP_1)
	v_lshrrev_b32_e32 v4, 16, v3
	s_branch .LBB174_846
.LBB174_845:
	s_mov_b32 s26, -1
                                        ; implicit-def: $vgpr4
.LBB174_846:
	s_mov_b32 s27, 0
.LBB174_847:
	s_delay_alu instid0(SALU_CYCLE_1)
	s_and_b32 vcc_lo, exec_lo, s27
	s_cbranch_vccz .LBB174_896
; %bb.848:
	v_cmp_gt_i16_e32 vcc_lo, 5, v2
	s_cbranch_vccnz .LBB174_853
; %bb.849:
	v_cmp_gt_i16_e32 vcc_lo, 8, v2
	s_cbranch_vccnz .LBB174_854
	;; [unrolled: 3-line block ×3, first 2 shown]
; %bb.851:
	v_cmp_lt_i16_e32 vcc_lo, 9, v2
	s_cbranch_vccz .LBB174_856
; %bb.852:
	global_load_b64 v[3:4], v[0:1], off
	s_mov_b32 s0, 0
	s_waitcnt vmcnt(0)
	v_cvt_f32_f64_e32 v3, v[3:4]
	s_delay_alu instid0(VALU_DEP_1) | instskip(SKIP_1) | instid1(VALU_DEP_2)
	v_bfe_u32 v4, v3, 16, 1
	v_cmp_o_f32_e32 vcc_lo, v3, v3
	v_add3_u32 v4, v3, v4, 0x7fff
	s_delay_alu instid0(VALU_DEP_1) | instskip(NEXT) | instid1(VALU_DEP_1)
	v_lshrrev_b32_e32 v4, 16, v4
	v_cndmask_b32_e32 v4, 0x7fc0, v4, vcc_lo
	s_branch .LBB174_857
.LBB174_853:
	s_mov_b32 s0, -1
                                        ; implicit-def: $vgpr4
	s_branch .LBB174_875
.LBB174_854:
	s_mov_b32 s0, -1
                                        ; implicit-def: $vgpr4
	s_branch .LBB174_863
.LBB174_855:
	s_mov_b32 s0, -1
                                        ; implicit-def: $vgpr4
	s_branch .LBB174_860
.LBB174_856:
	s_mov_b32 s0, -1
                                        ; implicit-def: $vgpr4
.LBB174_857:
	s_delay_alu instid0(SALU_CYCLE_1)
	s_and_not1_b32 vcc_lo, exec_lo, s0
	s_cbranch_vccnz .LBB174_859
; %bb.858:
	global_load_b32 v3, v[0:1], off
	s_waitcnt vmcnt(0)
	v_bfe_u32 v4, v3, 16, 1
	v_cmp_o_f32_e32 vcc_lo, v3, v3
	s_delay_alu instid0(VALU_DEP_2) | instskip(NEXT) | instid1(VALU_DEP_1)
	v_add3_u32 v4, v3, v4, 0x7fff
	v_lshrrev_b32_e32 v4, 16, v4
	s_delay_alu instid0(VALU_DEP_1)
	v_cndmask_b32_e32 v4, 0x7fc0, v4, vcc_lo
.LBB174_859:
	s_mov_b32 s0, 0
.LBB174_860:
	s_delay_alu instid0(SALU_CYCLE_1)
	s_and_not1_b32 vcc_lo, exec_lo, s0
	s_cbranch_vccnz .LBB174_862
; %bb.861:
	global_load_b32 v3, v[0:1], off
	s_waitcnt vmcnt(0)
	v_cvt_f32_f16_e32 v4, v3
	v_cmp_o_f16_e32 vcc_lo, v3, v3
	s_delay_alu instid0(VALU_DEP_2) | instskip(NEXT) | instid1(VALU_DEP_1)
	v_bfe_u32 v5, v4, 16, 1
	v_add3_u32 v4, v4, v5, 0x7fff
	s_delay_alu instid0(VALU_DEP_1) | instskip(NEXT) | instid1(VALU_DEP_1)
	v_lshrrev_b32_e32 v4, 16, v4
	v_cndmask_b32_e32 v4, 0x7fc0, v4, vcc_lo
.LBB174_862:
	s_mov_b32 s0, 0
.LBB174_863:
	s_delay_alu instid0(SALU_CYCLE_1)
	s_and_not1_b32 vcc_lo, exec_lo, s0
	s_cbranch_vccnz .LBB174_874
; %bb.864:
	v_cmp_gt_i16_e32 vcc_lo, 6, v2
	s_cbranch_vccnz .LBB174_867
; %bb.865:
	v_cmp_lt_i16_e32 vcc_lo, 6, v2
	s_cbranch_vccz .LBB174_868
; %bb.866:
	global_load_b64 v[3:4], v[0:1], off
	s_mov_b32 s0, 0
	s_waitcnt vmcnt(0)
	v_cvt_f32_f64_e32 v3, v[3:4]
	s_delay_alu instid0(VALU_DEP_1) | instskip(SKIP_1) | instid1(VALU_DEP_2)
	v_bfe_u32 v4, v3, 16, 1
	v_cmp_o_f32_e32 vcc_lo, v3, v3
	v_add3_u32 v4, v3, v4, 0x7fff
	s_delay_alu instid0(VALU_DEP_1) | instskip(NEXT) | instid1(VALU_DEP_1)
	v_lshrrev_b32_e32 v4, 16, v4
	v_cndmask_b32_e32 v4, 0x7fc0, v4, vcc_lo
	s_branch .LBB174_869
.LBB174_867:
	s_mov_b32 s0, -1
                                        ; implicit-def: $vgpr4
	s_branch .LBB174_872
.LBB174_868:
	s_mov_b32 s0, -1
                                        ; implicit-def: $vgpr4
.LBB174_869:
	s_delay_alu instid0(SALU_CYCLE_1)
	s_and_not1_b32 vcc_lo, exec_lo, s0
	s_cbranch_vccnz .LBB174_871
; %bb.870:
	global_load_b32 v3, v[0:1], off
	s_waitcnt vmcnt(0)
	v_bfe_u32 v4, v3, 16, 1
	v_cmp_o_f32_e32 vcc_lo, v3, v3
	s_delay_alu instid0(VALU_DEP_2) | instskip(NEXT) | instid1(VALU_DEP_1)
	v_add3_u32 v4, v3, v4, 0x7fff
	v_lshrrev_b32_e32 v4, 16, v4
	s_delay_alu instid0(VALU_DEP_1)
	v_cndmask_b32_e32 v4, 0x7fc0, v4, vcc_lo
.LBB174_871:
	s_mov_b32 s0, 0
.LBB174_872:
	s_delay_alu instid0(SALU_CYCLE_1)
	s_and_not1_b32 vcc_lo, exec_lo, s0
	s_cbranch_vccnz .LBB174_874
; %bb.873:
	global_load_u16 v3, v[0:1], off
	s_waitcnt vmcnt(0)
	v_cvt_f32_f16_e32 v4, v3
	v_cmp_o_f16_e32 vcc_lo, v3, v3
	s_delay_alu instid0(VALU_DEP_2) | instskip(NEXT) | instid1(VALU_DEP_1)
	v_bfe_u32 v5, v4, 16, 1
	v_add3_u32 v4, v4, v5, 0x7fff
	s_delay_alu instid0(VALU_DEP_1) | instskip(NEXT) | instid1(VALU_DEP_1)
	v_lshrrev_b32_e32 v4, 16, v4
	v_cndmask_b32_e32 v4, 0x7fc0, v4, vcc_lo
.LBB174_874:
	s_mov_b32 s0, 0
.LBB174_875:
	s_delay_alu instid0(SALU_CYCLE_1)
	s_and_not1_b32 vcc_lo, exec_lo, s0
	s_cbranch_vccnz .LBB174_895
; %bb.876:
	v_cmp_gt_i16_e32 vcc_lo, 2, v2
	s_cbranch_vccnz .LBB174_880
; %bb.877:
	v_cmp_gt_i16_e32 vcc_lo, 3, v2
	s_cbranch_vccnz .LBB174_881
; %bb.878:
	v_cmp_lt_i16_e32 vcc_lo, 3, v2
	s_cbranch_vccz .LBB174_882
; %bb.879:
	global_load_b64 v[3:4], v[0:1], off
	s_mov_b32 s0, 0
	s_waitcnt vmcnt(0)
	v_xor_b32_e32 v5, v3, v4
	v_cls_i32_e32 v6, v4
	s_delay_alu instid0(VALU_DEP_2) | instskip(NEXT) | instid1(VALU_DEP_2)
	v_ashrrev_i32_e32 v5, 31, v5
	v_add_nc_u32_e32 v6, -1, v6
	s_delay_alu instid0(VALU_DEP_2) | instskip(NEXT) | instid1(VALU_DEP_1)
	v_add_nc_u32_e32 v5, 32, v5
	v_min_u32_e32 v5, v6, v5
	s_delay_alu instid0(VALU_DEP_1) | instskip(NEXT) | instid1(VALU_DEP_1)
	v_lshlrev_b64 v[3:4], v5, v[3:4]
	v_min_u32_e32 v3, 1, v3
	s_delay_alu instid0(VALU_DEP_1) | instskip(SKIP_1) | instid1(VALU_DEP_2)
	v_or_b32_e32 v3, v4, v3
	v_sub_nc_u32_e32 v4, 32, v5
	v_cvt_f32_i32_e32 v3, v3
	s_delay_alu instid0(VALU_DEP_1) | instskip(NEXT) | instid1(VALU_DEP_1)
	v_ldexp_f32 v3, v3, v4
	v_bfe_u32 v4, v3, 16, 1
	s_delay_alu instid0(VALU_DEP_1) | instskip(NEXT) | instid1(VALU_DEP_1)
	v_add3_u32 v3, v3, v4, 0x7fff
	v_lshrrev_b32_e32 v4, 16, v3
	s_branch .LBB174_883
.LBB174_880:
	s_mov_b32 s0, -1
                                        ; implicit-def: $vgpr4
	s_branch .LBB174_889
.LBB174_881:
	s_mov_b32 s0, -1
                                        ; implicit-def: $vgpr4
	s_branch .LBB174_886
.LBB174_882:
	s_mov_b32 s0, -1
                                        ; implicit-def: $vgpr4
.LBB174_883:
	s_delay_alu instid0(SALU_CYCLE_1)
	s_and_not1_b32 vcc_lo, exec_lo, s0
	s_cbranch_vccnz .LBB174_885
; %bb.884:
	global_load_b32 v3, v[0:1], off
	s_waitcnt vmcnt(0)
	v_cvt_f32_i32_e32 v3, v3
	s_delay_alu instid0(VALU_DEP_1) | instskip(NEXT) | instid1(VALU_DEP_1)
	v_bfe_u32 v4, v3, 16, 1
	v_add3_u32 v3, v3, v4, 0x7fff
	s_delay_alu instid0(VALU_DEP_1)
	v_lshrrev_b32_e32 v4, 16, v3
.LBB174_885:
	s_mov_b32 s0, 0
.LBB174_886:
	s_delay_alu instid0(SALU_CYCLE_1)
	s_and_not1_b32 vcc_lo, exec_lo, s0
	s_cbranch_vccnz .LBB174_888
; %bb.887:
	global_load_i16 v3, v[0:1], off
	s_waitcnt vmcnt(0)
	v_cvt_f32_i32_e32 v3, v3
	s_delay_alu instid0(VALU_DEP_1) | instskip(NEXT) | instid1(VALU_DEP_1)
	v_bfe_u32 v4, v3, 16, 1
	v_add3_u32 v3, v3, v4, 0x7fff
	s_delay_alu instid0(VALU_DEP_1)
	v_lshrrev_b32_e32 v4, 16, v3
.LBB174_888:
	s_mov_b32 s0, 0
.LBB174_889:
	s_delay_alu instid0(SALU_CYCLE_1)
	s_and_not1_b32 vcc_lo, exec_lo, s0
	s_cbranch_vccnz .LBB174_895
; %bb.890:
	v_cmp_lt_i16_e32 vcc_lo, 0, v2
	s_mov_b32 s0, 0
	s_cbranch_vccz .LBB174_892
; %bb.891:
	global_load_i8 v2, v[0:1], off
	s_waitcnt vmcnt(0)
	v_cvt_f32_i32_e32 v2, v2
	s_delay_alu instid0(VALU_DEP_1) | instskip(NEXT) | instid1(VALU_DEP_1)
	v_bfe_u32 v3, v2, 16, 1
	v_add3_u32 v2, v2, v3, 0x7fff
	s_delay_alu instid0(VALU_DEP_1)
	v_lshrrev_b32_e32 v4, 16, v2
	s_branch .LBB174_893
.LBB174_892:
	s_mov_b32 s0, -1
                                        ; implicit-def: $vgpr4
.LBB174_893:
	s_delay_alu instid0(SALU_CYCLE_1)
	s_and_not1_b32 vcc_lo, exec_lo, s0
	s_cbranch_vccnz .LBB174_895
; %bb.894:
	global_load_u8 v0, v[0:1], off
	s_waitcnt vmcnt(0)
	v_cvt_f32_ubyte0_e32 v0, v0
	s_delay_alu instid0(VALU_DEP_1) | instskip(NEXT) | instid1(VALU_DEP_1)
	v_bfe_u32 v1, v0, 16, 1
	v_add3_u32 v0, v0, v1, 0x7fff
	s_delay_alu instid0(VALU_DEP_1)
	v_lshrrev_b32_e32 v4, 16, v0
.LBB174_895:
	s_mov_b32 s0, -1
.LBB174_896:
	s_delay_alu instid0(SALU_CYCLE_1)
	s_and_not1_b32 vcc_lo, exec_lo, s0
	s_cbranch_vccnz .LBB174_904
; %bb.897:
	v_mul_lo_u32 v0, v7, s10
	v_and_b32_e64 v5, 0xff, s1
	s_delay_alu instid0(VALU_DEP_1) | instskip(NEXT) | instid1(VALU_DEP_3)
	v_cmp_gt_i16_e32 vcc_lo, 11, v5
	v_ashrrev_i32_e32 v1, 31, v0
	v_add_co_u32 v0, s0, s2, v0
	s_delay_alu instid0(VALU_DEP_1)
	v_add_co_ci_u32_e64 v1, s0, s3, v1, s0
	s_cbranch_vccnz .LBB174_905
; %bb.898:
	v_cmp_lt_i16_e32 vcc_lo, 25, v5
	s_cbranch_vccz .LBB174_906
; %bb.899:
	v_cmp_lt_i16_e32 vcc_lo, 28, v5
	s_cbranch_vccz .LBB174_907
	;; [unrolled: 3-line block ×4, first 2 shown]
; %bb.902:
	v_cmp_eq_u16_e32 vcc_lo, 46, v5
	s_mov_b32 s28, 0
	s_cbranch_vccz .LBB174_912
; %bb.903:
	global_load_b32 v2, v[0:1], off
	s_mov_b32 s0, -1
	s_mov_b32 s27, 0
	s_waitcnt vmcnt(0)
	v_lshlrev_b32_e32 v2, 16, v2
	s_delay_alu instid0(VALU_DEP_1) | instskip(NEXT) | instid1(VALU_DEP_1)
	v_trunc_f32_e32 v2, v2
	v_mul_f32_e64 v3, 0x2f800000, |v2|
	s_delay_alu instid0(VALU_DEP_1) | instskip(NEXT) | instid1(VALU_DEP_1)
	v_floor_f32_e32 v3, v3
	v_fma_f32 v3, 0xcf800000, v3, |v2|
	v_ashrrev_i32_e32 v2, 31, v2
	s_delay_alu instid0(VALU_DEP_2) | instskip(NEXT) | instid1(VALU_DEP_1)
	v_cvt_u32_f32_e32 v3, v3
	v_xor_b32_e32 v3, v3, v2
	s_delay_alu instid0(VALU_DEP_1)
	v_sub_nc_u32_e32 v2, v3, v2
	s_branch .LBB174_914
.LBB174_904:
	s_mov_b32 s29, 0
	s_mov_b32 s0, s22
	;; [unrolled: 1-line block ×3, first 2 shown]
	s_branch .LBB174_1149
.LBB174_905:
	s_mov_b32 s28, -1
	s_mov_b32 s0, 0
	s_mov_b32 s27, s23
                                        ; implicit-def: $vgpr2
	s_branch .LBB174_975
.LBB174_906:
	s_mov_b32 s28, -1
	s_mov_b32 s0, 0
	s_mov_b32 s27, s23
                                        ; implicit-def: $vgpr2
	s_branch .LBB174_941
.LBB174_907:
	s_mov_b32 s28, -1
	s_mov_b32 s0, 0
	s_mov_b32 s27, s23
                                        ; implicit-def: $vgpr2
	s_branch .LBB174_924
.LBB174_908:
	s_mov_b32 s28, -1
	s_mov_b32 s0, 0
	s_mov_b32 s27, s23
                                        ; implicit-def: $vgpr2
	s_branch .LBB174_919
.LBB174_909:
	s_mov_b32 s28, -1
	s_mov_b32 s0, 0
	s_mov_b32 s27, s23
	s_branch .LBB174_913
.LBB174_910:
	s_or_saveexec_b32 s26, s26
                                        ; implicit-def: $sgpr27
	s_delay_alu instid0(SALU_CYCLE_1)
	s_xor_b32 exec_lo, exec_lo, s26
	s_cbranch_execz .LBB174_685
.LBB174_911:
	v_add_f32_e64 v5, 0x42800000, |v6|
	s_and_not1_b32 s25, s25, exec_lo
	s_mov_b32 s27, 0
	s_delay_alu instid0(VALU_DEP_1) | instskip(NEXT) | instid1(VALU_DEP_1)
	v_and_b32_e32 v5, 0xff, v5
	v_cmp_ne_u32_e32 vcc_lo, 0, v5
	s_and_b32 s28, vcc_lo, exec_lo
	s_delay_alu instid0(SALU_CYCLE_1)
	s_or_b32 s25, s25, s28
	s_or_b32 exec_lo, exec_lo, s26
	v_mov_b32_e32 v8, s27
	s_and_saveexec_b32 s26, s25
	s_cbranch_execnz .LBB174_686
	s_branch .LBB174_687
.LBB174_912:
	s_mov_b32 s27, -1
	s_mov_b32 s0, 0
.LBB174_913:
                                        ; implicit-def: $vgpr2
.LBB174_914:
	s_and_b32 vcc_lo, exec_lo, s28
	s_cbranch_vccz .LBB174_918
; %bb.915:
	v_cmp_eq_u16_e32 vcc_lo, 44, v5
	s_cbranch_vccz .LBB174_917
; %bb.916:
	global_load_u8 v2, v[0:1], off
	s_mov_b32 s27, 0
	s_mov_b32 s0, -1
	s_waitcnt vmcnt(0)
	v_lshlrev_b32_e32 v3, 23, v2
	v_cmp_ne_u32_e32 vcc_lo, 0, v2
	s_delay_alu instid0(VALU_DEP_2) | instskip(NEXT) | instid1(VALU_DEP_1)
	v_trunc_f32_e32 v3, v3
	v_mul_f32_e64 v6, 0x2f800000, |v3|
	s_delay_alu instid0(VALU_DEP_1) | instskip(NEXT) | instid1(VALU_DEP_1)
	v_floor_f32_e32 v6, v6
	v_fma_f32 v6, 0xcf800000, v6, |v3|
	v_ashrrev_i32_e32 v3, 31, v3
	s_delay_alu instid0(VALU_DEP_2) | instskip(NEXT) | instid1(VALU_DEP_1)
	v_cvt_u32_f32_e32 v6, v6
	v_xor_b32_e32 v6, v6, v3
	s_delay_alu instid0(VALU_DEP_1) | instskip(NEXT) | instid1(VALU_DEP_1)
	v_sub_nc_u32_e32 v3, v6, v3
	v_cndmask_b32_e32 v2, 0, v3, vcc_lo
	s_branch .LBB174_918
.LBB174_917:
	s_mov_b32 s27, -1
                                        ; implicit-def: $vgpr2
.LBB174_918:
	s_mov_b32 s28, 0
.LBB174_919:
	s_delay_alu instid0(SALU_CYCLE_1)
	s_and_b32 vcc_lo, exec_lo, s28
	s_cbranch_vccz .LBB174_923
; %bb.920:
	v_cmp_eq_u16_e32 vcc_lo, 29, v5
	s_cbranch_vccz .LBB174_922
; %bb.921:
	global_load_b64 v[2:3], v[0:1], off
	s_mov_b32 s0, -1
	s_mov_b32 s27, 0
	s_branch .LBB174_923
.LBB174_922:
	s_mov_b32 s27, -1
                                        ; implicit-def: $vgpr2
.LBB174_923:
	s_mov_b32 s28, 0
.LBB174_924:
	s_delay_alu instid0(SALU_CYCLE_1)
	s_and_b32 vcc_lo, exec_lo, s28
	s_cbranch_vccz .LBB174_940
; %bb.925:
	v_cmp_gt_i16_e32 vcc_lo, 27, v5
	s_cbranch_vccnz .LBB174_928
; %bb.926:
	v_cmp_lt_i16_e32 vcc_lo, 27, v5
	s_cbranch_vccz .LBB174_929
; %bb.927:
	global_load_b32 v2, v[0:1], off
	s_mov_b32 s0, 0
	s_branch .LBB174_930
.LBB174_928:
	s_mov_b32 s0, -1
                                        ; implicit-def: $vgpr2
	s_branch .LBB174_933
.LBB174_929:
	s_mov_b32 s0, -1
                                        ; implicit-def: $vgpr2
.LBB174_930:
	s_delay_alu instid0(SALU_CYCLE_1)
	s_and_not1_b32 vcc_lo, exec_lo, s0
	s_cbranch_vccnz .LBB174_932
; %bb.931:
	global_load_u16 v2, v[0:1], off
.LBB174_932:
	s_mov_b32 s0, 0
.LBB174_933:
	s_delay_alu instid0(SALU_CYCLE_1)
	s_and_not1_b32 vcc_lo, exec_lo, s0
	s_cbranch_vccnz .LBB174_939
; %bb.934:
	global_load_u8 v3, v[0:1], off
	s_mov_b32 s28, 0
	s_mov_b32 s0, exec_lo
                                        ; implicit-def: $sgpr29
	s_waitcnt vmcnt(0)
	v_cmpx_lt_i16_e32 0x7f, v3
	s_xor_b32 s0, exec_lo, s0
	s_cbranch_execz .LBB174_951
; %bb.935:
	v_cmp_ne_u16_e32 vcc_lo, 0x80, v3
	s_mov_b32 s29, 0
	s_and_b32 s28, vcc_lo, exec_lo
	s_or_saveexec_b32 s0, s0
	v_mov_b32_e32 v2, s29
	s_xor_b32 exec_lo, exec_lo, s0
	s_cbranch_execnz .LBB174_952
.LBB174_936:
	s_or_b32 exec_lo, exec_lo, s0
	s_and_saveexec_b32 s0, s28
	s_cbranch_execz .LBB174_938
.LBB174_937:
	v_and_b32_e32 v2, 0xffff, v3
	s_delay_alu instid0(VALU_DEP_1) | instskip(NEXT) | instid1(VALU_DEP_1)
	v_and_b32_e32 v6, 7, v2
	v_clz_i32_u32_e32 v8, v6
	s_delay_alu instid0(VALU_DEP_1) | instskip(NEXT) | instid1(VALU_DEP_1)
	v_min_u32_e32 v8, 32, v8
	v_subrev_nc_u32_e32 v9, 28, v8
	v_sub_nc_u32_e32 v8, 29, v8
	s_delay_alu instid0(VALU_DEP_2) | instskip(SKIP_1) | instid1(VALU_DEP_1)
	v_lshlrev_b32_e32 v9, v9, v2
	v_bfe_u32 v2, v2, 3, 4
	v_cmp_eq_u32_e32 vcc_lo, 0, v2
	s_delay_alu instid0(VALU_DEP_3) | instskip(SKIP_1) | instid1(VALU_DEP_2)
	v_dual_cndmask_b32 v2, v2, v8 :: v_dual_and_b32 v9, 7, v9
	v_lshlrev_b32_e32 v3, 24, v3
	v_lshl_add_u32 v2, v2, 23, 0x3b800000
	s_delay_alu instid0(VALU_DEP_2) | instskip(NEXT) | instid1(VALU_DEP_1)
	v_dual_cndmask_b32 v6, v6, v9 :: v_dual_and_b32 v3, 0x80000000, v3
	v_lshlrev_b32_e32 v6, 20, v6
	s_delay_alu instid0(VALU_DEP_1) | instskip(NEXT) | instid1(VALU_DEP_1)
	v_or3_b32 v2, v3, v2, v6
	v_trunc_f32_e32 v2, v2
	s_delay_alu instid0(VALU_DEP_1) | instskip(NEXT) | instid1(VALU_DEP_1)
	v_mul_f32_e64 v3, 0x2f800000, |v2|
	v_floor_f32_e32 v3, v3
	s_delay_alu instid0(VALU_DEP_1) | instskip(SKIP_1) | instid1(VALU_DEP_2)
	v_fma_f32 v3, 0xcf800000, v3, |v2|
	v_ashrrev_i32_e32 v2, 31, v2
	v_cvt_u32_f32_e32 v3, v3
	s_delay_alu instid0(VALU_DEP_1) | instskip(NEXT) | instid1(VALU_DEP_1)
	v_xor_b32_e32 v3, v3, v2
	v_sub_nc_u32_e32 v2, v3, v2
.LBB174_938:
	s_or_b32 exec_lo, exec_lo, s0
.LBB174_939:
	s_mov_b32 s0, -1
.LBB174_940:
	s_mov_b32 s28, 0
.LBB174_941:
	s_delay_alu instid0(SALU_CYCLE_1)
	s_and_b32 vcc_lo, exec_lo, s28
	s_cbranch_vccz .LBB174_974
; %bb.942:
	v_cmp_lt_i16_e32 vcc_lo, 22, v5
	s_cbranch_vccz .LBB174_950
; %bb.943:
	v_cmp_gt_i16_e32 vcc_lo, 24, v5
	s_cbranch_vccnz .LBB174_953
; %bb.944:
	v_cmp_lt_i16_e32 vcc_lo, 24, v5
	s_cbranch_vccz .LBB174_954
; %bb.945:
	global_load_u8 v3, v[0:1], off
	s_mov_b32 s28, 0
	s_mov_b32 s0, exec_lo
                                        ; implicit-def: $sgpr29
	s_waitcnt vmcnt(0)
	v_cmpx_lt_i16_e32 0x7f, v3
	s_xor_b32 s0, exec_lo, s0
	s_cbranch_execz .LBB174_966
; %bb.946:
	v_cmp_ne_u16_e32 vcc_lo, 0x80, v3
	s_mov_b32 s29, 0
	s_and_b32 s28, vcc_lo, exec_lo
	s_or_saveexec_b32 s0, s0
	v_mov_b32_e32 v2, s29
	s_xor_b32 exec_lo, exec_lo, s0
	s_cbranch_execnz .LBB174_967
.LBB174_947:
	s_or_b32 exec_lo, exec_lo, s0
	s_and_saveexec_b32 s0, s28
	s_cbranch_execz .LBB174_949
.LBB174_948:
	v_and_b32_e32 v2, 0xffff, v3
	s_delay_alu instid0(VALU_DEP_1) | instskip(NEXT) | instid1(VALU_DEP_1)
	v_and_b32_e32 v6, 3, v2
	v_clz_i32_u32_e32 v8, v6
	s_delay_alu instid0(VALU_DEP_1) | instskip(NEXT) | instid1(VALU_DEP_1)
	v_min_u32_e32 v8, 32, v8
	v_subrev_nc_u32_e32 v9, 29, v8
	v_sub_nc_u32_e32 v8, 30, v8
	s_delay_alu instid0(VALU_DEP_2) | instskip(SKIP_1) | instid1(VALU_DEP_1)
	v_lshlrev_b32_e32 v9, v9, v2
	v_bfe_u32 v2, v2, 2, 5
	v_cmp_eq_u32_e32 vcc_lo, 0, v2
	s_delay_alu instid0(VALU_DEP_3) | instskip(SKIP_1) | instid1(VALU_DEP_2)
	v_dual_cndmask_b32 v2, v2, v8 :: v_dual_and_b32 v9, 3, v9
	v_lshlrev_b32_e32 v3, 24, v3
	v_lshl_add_u32 v2, v2, 23, 0x37800000
	s_delay_alu instid0(VALU_DEP_2) | instskip(NEXT) | instid1(VALU_DEP_1)
	v_dual_cndmask_b32 v6, v6, v9 :: v_dual_and_b32 v3, 0x80000000, v3
	v_lshlrev_b32_e32 v6, 21, v6
	s_delay_alu instid0(VALU_DEP_1) | instskip(NEXT) | instid1(VALU_DEP_1)
	v_or3_b32 v2, v3, v2, v6
	v_trunc_f32_e32 v2, v2
	s_delay_alu instid0(VALU_DEP_1) | instskip(NEXT) | instid1(VALU_DEP_1)
	v_mul_f32_e64 v3, 0x2f800000, |v2|
	v_floor_f32_e32 v3, v3
	s_delay_alu instid0(VALU_DEP_1) | instskip(SKIP_1) | instid1(VALU_DEP_2)
	v_fma_f32 v3, 0xcf800000, v3, |v2|
	v_ashrrev_i32_e32 v2, 31, v2
	v_cvt_u32_f32_e32 v3, v3
	s_delay_alu instid0(VALU_DEP_1) | instskip(NEXT) | instid1(VALU_DEP_1)
	v_xor_b32_e32 v3, v3, v2
	v_sub_nc_u32_e32 v2, v3, v2
.LBB174_949:
	s_or_b32 exec_lo, exec_lo, s0
	s_mov_b32 s0, 0
	s_branch .LBB174_955
.LBB174_950:
	s_mov_b32 s28, -1
                                        ; implicit-def: $vgpr2
	s_branch .LBB174_961
.LBB174_951:
	s_or_saveexec_b32 s0, s0
	v_mov_b32_e32 v2, s29
	s_xor_b32 exec_lo, exec_lo, s0
	s_cbranch_execz .LBB174_936
.LBB174_952:
	v_cmp_ne_u16_e32 vcc_lo, 0, v3
	v_mov_b32_e32 v2, 0
	s_and_not1_b32 s28, s28, exec_lo
	s_and_b32 s29, vcc_lo, exec_lo
	s_delay_alu instid0(SALU_CYCLE_1)
	s_or_b32 s28, s28, s29
	s_or_b32 exec_lo, exec_lo, s0
	s_and_saveexec_b32 s0, s28
	s_cbranch_execnz .LBB174_937
	s_branch .LBB174_938
.LBB174_953:
	s_mov_b32 s0, -1
                                        ; implicit-def: $vgpr2
	s_branch .LBB174_958
.LBB174_954:
	s_mov_b32 s0, -1
                                        ; implicit-def: $vgpr2
.LBB174_955:
	s_delay_alu instid0(SALU_CYCLE_1)
	s_and_b32 vcc_lo, exec_lo, s0
	s_cbranch_vccz .LBB174_957
; %bb.956:
	global_load_u8 v2, v[0:1], off
	s_waitcnt vmcnt(0)
	v_lshlrev_b32_e32 v2, 24, v2
	s_delay_alu instid0(VALU_DEP_1) | instskip(NEXT) | instid1(VALU_DEP_1)
	v_and_b32_e32 v3, 0x7f000000, v2
	v_clz_i32_u32_e32 v6, v3
	v_cmp_ne_u32_e32 vcc_lo, 0, v3
	v_add_nc_u32_e32 v9, 0x1000000, v3
	s_delay_alu instid0(VALU_DEP_3) | instskip(NEXT) | instid1(VALU_DEP_1)
	v_min_u32_e32 v6, 32, v6
	v_sub_nc_u32_e64 v6, v6, 4 clamp
	s_delay_alu instid0(VALU_DEP_1) | instskip(SKIP_1) | instid1(VALU_DEP_2)
	v_lshlrev_b32_e32 v8, v6, v3
	v_lshlrev_b32_e32 v6, 23, v6
	v_lshrrev_b32_e32 v8, 4, v8
	s_delay_alu instid0(VALU_DEP_1) | instskip(SKIP_1) | instid1(VALU_DEP_2)
	v_sub_nc_u32_e32 v6, v8, v6
	v_ashrrev_i32_e32 v8, 8, v9
	v_add_nc_u32_e32 v6, 0x3c000000, v6
	s_delay_alu instid0(VALU_DEP_1) | instskip(NEXT) | instid1(VALU_DEP_1)
	v_and_or_b32 v6, 0x7f800000, v8, v6
	v_cndmask_b32_e32 v3, 0, v6, vcc_lo
	s_delay_alu instid0(VALU_DEP_1) | instskip(NEXT) | instid1(VALU_DEP_1)
	v_and_or_b32 v2, 0x80000000, v2, v3
	v_trunc_f32_e32 v2, v2
	s_delay_alu instid0(VALU_DEP_1) | instskip(NEXT) | instid1(VALU_DEP_1)
	v_mul_f32_e64 v3, 0x2f800000, |v2|
	v_floor_f32_e32 v3, v3
	s_delay_alu instid0(VALU_DEP_1) | instskip(SKIP_1) | instid1(VALU_DEP_2)
	v_fma_f32 v3, 0xcf800000, v3, |v2|
	v_ashrrev_i32_e32 v2, 31, v2
	v_cvt_u32_f32_e32 v3, v3
	s_delay_alu instid0(VALU_DEP_1) | instskip(NEXT) | instid1(VALU_DEP_1)
	v_xor_b32_e32 v3, v3, v2
	v_sub_nc_u32_e32 v2, v3, v2
.LBB174_957:
	s_mov_b32 s0, 0
.LBB174_958:
	s_delay_alu instid0(SALU_CYCLE_1)
	s_and_not1_b32 vcc_lo, exec_lo, s0
	s_cbranch_vccnz .LBB174_960
; %bb.959:
	global_load_u8 v2, v[0:1], off
	s_waitcnt vmcnt(0)
	v_lshlrev_b32_e32 v3, 25, v2
	v_lshlrev_b16 v2, 8, v2
	s_delay_alu instid0(VALU_DEP_1) | instskip(SKIP_1) | instid1(VALU_DEP_2)
	v_and_or_b32 v8, 0x7f00, v2, 0.5
	v_bfe_i32 v2, v2, 0, 16
	v_add_f32_e32 v8, -0.5, v8
	v_lshrrev_b32_e32 v6, 4, v3
	v_cmp_gt_u32_e32 vcc_lo, 0x8000000, v3
	s_delay_alu instid0(VALU_DEP_2) | instskip(NEXT) | instid1(VALU_DEP_1)
	v_or_b32_e32 v6, 0x70000000, v6
	v_mul_f32_e32 v6, 0x7800000, v6
	s_delay_alu instid0(VALU_DEP_1) | instskip(NEXT) | instid1(VALU_DEP_1)
	v_cndmask_b32_e32 v3, v6, v8, vcc_lo
	v_and_or_b32 v2, 0x80000000, v2, v3
	s_delay_alu instid0(VALU_DEP_1) | instskip(NEXT) | instid1(VALU_DEP_1)
	v_trunc_f32_e32 v2, v2
	v_mul_f32_e64 v3, 0x2f800000, |v2|
	s_delay_alu instid0(VALU_DEP_1) | instskip(NEXT) | instid1(VALU_DEP_1)
	v_floor_f32_e32 v3, v3
	v_fma_f32 v3, 0xcf800000, v3, |v2|
	v_ashrrev_i32_e32 v2, 31, v2
	s_delay_alu instid0(VALU_DEP_2) | instskip(NEXT) | instid1(VALU_DEP_1)
	v_cvt_u32_f32_e32 v3, v3
	v_xor_b32_e32 v3, v3, v2
	s_delay_alu instid0(VALU_DEP_1)
	v_sub_nc_u32_e32 v2, v3, v2
.LBB174_960:
	s_mov_b32 s28, 0
	s_mov_b32 s0, -1
.LBB174_961:
	s_and_not1_b32 vcc_lo, exec_lo, s28
	s_cbranch_vccnz .LBB174_974
; %bb.962:
	v_cmp_lt_i16_e32 vcc_lo, 14, v5
	s_cbranch_vccz .LBB174_965
; %bb.963:
	v_cmp_eq_u16_e32 vcc_lo, 15, v5
	s_cbranch_vccz .LBB174_968
; %bb.964:
	global_load_u16 v2, v[0:1], off
	s_mov_b32 s0, -1
	s_mov_b32 s27, 0
	s_waitcnt vmcnt(0)
	v_lshlrev_b32_e32 v2, 16, v2
	s_delay_alu instid0(VALU_DEP_1) | instskip(NEXT) | instid1(VALU_DEP_1)
	v_trunc_f32_e32 v2, v2
	v_mul_f32_e64 v3, 0x2f800000, |v2|
	s_delay_alu instid0(VALU_DEP_1) | instskip(NEXT) | instid1(VALU_DEP_1)
	v_floor_f32_e32 v3, v3
	v_fma_f32 v3, 0xcf800000, v3, |v2|
	v_ashrrev_i32_e32 v2, 31, v2
	s_delay_alu instid0(VALU_DEP_2) | instskip(NEXT) | instid1(VALU_DEP_1)
	v_cvt_u32_f32_e32 v3, v3
	v_xor_b32_e32 v3, v3, v2
	s_delay_alu instid0(VALU_DEP_1)
	v_sub_nc_u32_e32 v2, v3, v2
	s_branch .LBB174_969
.LBB174_965:
	s_mov_b32 s28, -1
                                        ; implicit-def: $vgpr2
	s_branch .LBB174_970
.LBB174_966:
	s_or_saveexec_b32 s0, s0
	v_mov_b32_e32 v2, s29
	s_xor_b32 exec_lo, exec_lo, s0
	s_cbranch_execz .LBB174_947
.LBB174_967:
	v_cmp_ne_u16_e32 vcc_lo, 0, v3
	v_mov_b32_e32 v2, 0
	s_and_not1_b32 s28, s28, exec_lo
	s_and_b32 s29, vcc_lo, exec_lo
	s_delay_alu instid0(SALU_CYCLE_1)
	s_or_b32 s28, s28, s29
	s_or_b32 exec_lo, exec_lo, s0
	s_and_saveexec_b32 s0, s28
	s_cbranch_execnz .LBB174_948
	s_branch .LBB174_949
.LBB174_968:
	s_mov_b32 s27, -1
                                        ; implicit-def: $vgpr2
.LBB174_969:
	s_mov_b32 s28, 0
.LBB174_970:
	s_delay_alu instid0(SALU_CYCLE_1)
	s_and_b32 vcc_lo, exec_lo, s28
	s_cbranch_vccz .LBB174_974
; %bb.971:
	v_cmp_eq_u16_e32 vcc_lo, 11, v5
	s_cbranch_vccz .LBB174_973
; %bb.972:
	global_load_u8 v2, v[0:1], off
	s_mov_b32 s27, 0
	s_mov_b32 s0, -1
	s_waitcnt vmcnt(0)
	v_cmp_ne_u16_e32 vcc_lo, 0, v2
	v_cndmask_b32_e64 v2, 0, 1, vcc_lo
	s_branch .LBB174_974
.LBB174_973:
	s_mov_b32 s27, -1
                                        ; implicit-def: $vgpr2
.LBB174_974:
	s_mov_b32 s28, 0
.LBB174_975:
	s_delay_alu instid0(SALU_CYCLE_1)
	s_and_b32 vcc_lo, exec_lo, s28
	s_cbranch_vccz .LBB174_1024
; %bb.976:
	v_cmp_gt_i16_e32 vcc_lo, 5, v5
	s_cbranch_vccnz .LBB174_981
; %bb.977:
	v_cmp_gt_i16_e32 vcc_lo, 8, v5
	s_cbranch_vccnz .LBB174_982
	;; [unrolled: 3-line block ×3, first 2 shown]
; %bb.979:
	v_cmp_lt_i16_e32 vcc_lo, 9, v5
	s_cbranch_vccz .LBB174_984
; %bb.980:
	global_load_b64 v[2:3], v[0:1], off
	s_mov_b32 s0, 0
	s_waitcnt vmcnt(0)
	v_trunc_f64_e32 v[2:3], v[2:3]
	s_delay_alu instid0(VALU_DEP_1) | instskip(NEXT) | instid1(VALU_DEP_1)
	v_ldexp_f64 v[8:9], v[2:3], 0xffffffe0
	v_floor_f64_e32 v[8:9], v[8:9]
	s_delay_alu instid0(VALU_DEP_1) | instskip(NEXT) | instid1(VALU_DEP_1)
	v_fma_f64 v[2:3], 0xc1f00000, v[8:9], v[2:3]
	v_cvt_u32_f64_e32 v2, v[2:3]
	s_branch .LBB174_985
.LBB174_981:
	s_mov_b32 s0, -1
                                        ; implicit-def: $vgpr2
	s_branch .LBB174_1003
.LBB174_982:
	s_mov_b32 s0, -1
                                        ; implicit-def: $vgpr2
	s_branch .LBB174_991
.LBB174_983:
	s_mov_b32 s0, -1
                                        ; implicit-def: $vgpr2
	s_branch .LBB174_988
.LBB174_984:
	s_mov_b32 s0, -1
                                        ; implicit-def: $vgpr2
.LBB174_985:
	s_delay_alu instid0(SALU_CYCLE_1)
	s_and_not1_b32 vcc_lo, exec_lo, s0
	s_cbranch_vccnz .LBB174_987
; %bb.986:
	global_load_b32 v2, v[0:1], off
	s_waitcnt vmcnt(0)
	v_trunc_f32_e32 v2, v2
	s_delay_alu instid0(VALU_DEP_1) | instskip(NEXT) | instid1(VALU_DEP_1)
	v_mul_f32_e64 v3, 0x2f800000, |v2|
	v_floor_f32_e32 v3, v3
	s_delay_alu instid0(VALU_DEP_1) | instskip(SKIP_1) | instid1(VALU_DEP_2)
	v_fma_f32 v3, 0xcf800000, v3, |v2|
	v_ashrrev_i32_e32 v2, 31, v2
	v_cvt_u32_f32_e32 v3, v3
	s_delay_alu instid0(VALU_DEP_1) | instskip(NEXT) | instid1(VALU_DEP_1)
	v_xor_b32_e32 v3, v3, v2
	v_sub_nc_u32_e32 v2, v3, v2
.LBB174_987:
	s_mov_b32 s0, 0
.LBB174_988:
	s_delay_alu instid0(SALU_CYCLE_1)
	s_and_not1_b32 vcc_lo, exec_lo, s0
	s_cbranch_vccnz .LBB174_990
; %bb.989:
	global_load_b32 v2, v[0:1], off
	s_waitcnt vmcnt(0)
	v_cvt_f32_f16_e32 v2, v2
	s_delay_alu instid0(VALU_DEP_1)
	v_cvt_i32_f32_e32 v2, v2
.LBB174_990:
	s_mov_b32 s0, 0
.LBB174_991:
	s_delay_alu instid0(SALU_CYCLE_1)
	s_and_not1_b32 vcc_lo, exec_lo, s0
	s_cbranch_vccnz .LBB174_1002
; %bb.992:
	v_cmp_gt_i16_e32 vcc_lo, 6, v5
	s_cbranch_vccnz .LBB174_995
; %bb.993:
	v_cmp_lt_i16_e32 vcc_lo, 6, v5
	s_cbranch_vccz .LBB174_996
; %bb.994:
	global_load_b64 v[2:3], v[0:1], off
	s_mov_b32 s0, 0
	s_waitcnt vmcnt(0)
	v_trunc_f64_e32 v[2:3], v[2:3]
	s_delay_alu instid0(VALU_DEP_1) | instskip(NEXT) | instid1(VALU_DEP_1)
	v_ldexp_f64 v[8:9], v[2:3], 0xffffffe0
	v_floor_f64_e32 v[8:9], v[8:9]
	s_delay_alu instid0(VALU_DEP_1) | instskip(NEXT) | instid1(VALU_DEP_1)
	v_fma_f64 v[2:3], 0xc1f00000, v[8:9], v[2:3]
	v_cvt_u32_f64_e32 v2, v[2:3]
	s_branch .LBB174_997
.LBB174_995:
	s_mov_b32 s0, -1
                                        ; implicit-def: $vgpr2
	s_branch .LBB174_1000
.LBB174_996:
	s_mov_b32 s0, -1
                                        ; implicit-def: $vgpr2
.LBB174_997:
	s_delay_alu instid0(SALU_CYCLE_1)
	s_and_not1_b32 vcc_lo, exec_lo, s0
	s_cbranch_vccnz .LBB174_999
; %bb.998:
	global_load_b32 v2, v[0:1], off
	s_waitcnt vmcnt(0)
	v_trunc_f32_e32 v2, v2
	s_delay_alu instid0(VALU_DEP_1) | instskip(NEXT) | instid1(VALU_DEP_1)
	v_mul_f32_e64 v3, 0x2f800000, |v2|
	v_floor_f32_e32 v3, v3
	s_delay_alu instid0(VALU_DEP_1) | instskip(SKIP_1) | instid1(VALU_DEP_2)
	v_fma_f32 v3, 0xcf800000, v3, |v2|
	v_ashrrev_i32_e32 v2, 31, v2
	v_cvt_u32_f32_e32 v3, v3
	s_delay_alu instid0(VALU_DEP_1) | instskip(NEXT) | instid1(VALU_DEP_1)
	v_xor_b32_e32 v3, v3, v2
	v_sub_nc_u32_e32 v2, v3, v2
.LBB174_999:
	s_mov_b32 s0, 0
.LBB174_1000:
	s_delay_alu instid0(SALU_CYCLE_1)
	s_and_not1_b32 vcc_lo, exec_lo, s0
	s_cbranch_vccnz .LBB174_1002
; %bb.1001:
	global_load_u16 v2, v[0:1], off
	s_waitcnt vmcnt(0)
	v_cvt_f32_f16_e32 v2, v2
	s_delay_alu instid0(VALU_DEP_1)
	v_cvt_i32_f32_e32 v2, v2
.LBB174_1002:
	s_mov_b32 s0, 0
.LBB174_1003:
	s_delay_alu instid0(SALU_CYCLE_1)
	s_and_not1_b32 vcc_lo, exec_lo, s0
	s_cbranch_vccnz .LBB174_1023
; %bb.1004:
	v_cmp_gt_i16_e32 vcc_lo, 2, v5
	s_cbranch_vccnz .LBB174_1008
; %bb.1005:
	v_cmp_gt_i16_e32 vcc_lo, 3, v5
	s_cbranch_vccnz .LBB174_1009
; %bb.1006:
	v_cmp_lt_i16_e32 vcc_lo, 3, v5
	s_cbranch_vccz .LBB174_1010
; %bb.1007:
	global_load_b64 v[2:3], v[0:1], off
	s_mov_b32 s0, 0
	s_branch .LBB174_1011
.LBB174_1008:
	s_mov_b32 s0, -1
                                        ; implicit-def: $vgpr2
	s_branch .LBB174_1017
.LBB174_1009:
	s_mov_b32 s0, -1
                                        ; implicit-def: $vgpr2
	s_branch .LBB174_1014
.LBB174_1010:
	s_mov_b32 s0, -1
                                        ; implicit-def: $vgpr2
.LBB174_1011:
	s_delay_alu instid0(SALU_CYCLE_1)
	s_and_not1_b32 vcc_lo, exec_lo, s0
	s_cbranch_vccnz .LBB174_1013
; %bb.1012:
	global_load_b32 v2, v[0:1], off
.LBB174_1013:
	s_mov_b32 s0, 0
.LBB174_1014:
	s_delay_alu instid0(SALU_CYCLE_1)
	s_and_not1_b32 vcc_lo, exec_lo, s0
	s_cbranch_vccnz .LBB174_1016
; %bb.1015:
	global_load_u16 v2, v[0:1], off
.LBB174_1016:
	s_mov_b32 s0, 0
.LBB174_1017:
	s_delay_alu instid0(SALU_CYCLE_1)
	s_and_not1_b32 vcc_lo, exec_lo, s0
	s_cbranch_vccnz .LBB174_1023
; %bb.1018:
	v_cmp_lt_i16_e32 vcc_lo, 0, v5
	s_mov_b32 s0, 0
	s_cbranch_vccz .LBB174_1020
; %bb.1019:
	global_load_u8 v2, v[0:1], off
	s_branch .LBB174_1021
.LBB174_1020:
	s_mov_b32 s0, -1
                                        ; implicit-def: $vgpr2
.LBB174_1021:
	s_delay_alu instid0(SALU_CYCLE_1)
	s_and_not1_b32 vcc_lo, exec_lo, s0
	s_cbranch_vccnz .LBB174_1023
; %bb.1022:
	global_load_u8 v2, v[0:1], off
.LBB174_1023:
	s_mov_b32 s0, -1
.LBB174_1024:
	s_delay_alu instid0(SALU_CYCLE_1)
	s_and_not1_b32 vcc_lo, exec_lo, s0
	s_cbranch_vccnz .LBB174_1032
; %bb.1025:
	s_waitcnt vmcnt(0)
	s_delay_alu instid0(VALU_DEP_1) | instskip(SKIP_2) | instid1(VALU_DEP_2)
	v_cvt_f32_ubyte0_e32 v0, v2
	v_lshlrev_b32_e32 v1, 16, v4
	v_and_b32_e64 v3, 0xff, s12
	v_mul_f32_e32 v0, v1, v0
	v_mul_lo_u32 v1, v7, s8
	s_delay_alu instid0(VALU_DEP_3) | instskip(NEXT) | instid1(VALU_DEP_3)
	v_cmp_gt_i16_e32 vcc_lo, 11, v3
	v_mul_f32_e32 v2, s11, v0
	s_and_b32 vcc_lo, exec_lo, vcc_lo
	s_delay_alu instid0(VALU_DEP_3) | instskip(NEXT) | instid1(VALU_DEP_2)
	v_ashrrev_i32_e32 v4, 31, v1
	v_bfe_u32 v0, v2, 16, 1
	s_delay_alu instid0(VALU_DEP_1) | instskip(NEXT) | instid1(VALU_DEP_1)
	v_add3_u32 v0, v2, v0, 0x7fff
	v_lshrrev_b32_e32 v5, 16, v0
	v_add_co_u32 v0, s0, s4, v1
	s_delay_alu instid0(VALU_DEP_1) | instskip(SKIP_1) | instid1(VALU_DEP_1)
	v_add_co_ci_u32_e64 v1, s0, s5, v4, s0
	v_cmp_o_f32_e64 s0, v2, v2
	v_cndmask_b32_e64 v2, 0x7fc0, v5, s0
	s_cbranch_vccnz .LBB174_1033
; %bb.1026:
	v_cmp_lt_i16_e32 vcc_lo, 25, v3
	s_cbranch_vccz .LBB174_1034
; %bb.1027:
	v_cmp_lt_i16_e32 vcc_lo, 28, v3
	s_cbranch_vccz .LBB174_1035
; %bb.1028:
	v_cmp_lt_i16_e32 vcc_lo, 43, v3
	s_cbranch_vccz .LBB174_1036
; %bb.1029:
	v_cmp_lt_i16_e32 vcc_lo, 45, v3
	s_cbranch_vccz .LBB174_1037
; %bb.1030:
	v_cmp_eq_u16_e32 vcc_lo, 46, v3
	s_mov_b32 s29, 0
	s_mov_b32 s0, -1
	s_mov_b32 s28, 0
	s_cbranch_vccz .LBB174_1038
; %bb.1031:
	v_and_b32_e32 v4, 0xffff, v2
	s_mov_b32 s28, -1
	s_mov_b32 s0, 0
	global_store_b32 v[0:1], v4, off
	s_branch .LBB174_1038
.LBB174_1032:
	s_mov_b32 s29, 0
	s_mov_b32 s0, s22
	s_branch .LBB174_1149
.LBB174_1033:
	s_mov_b32 s29, -1
	s_mov_b32 s28, 0
	s_mov_b32 s0, s22
	s_branch .LBB174_1107
.LBB174_1034:
	s_mov_b32 s29, -1
	s_mov_b32 s28, 0
	s_mov_b32 s0, s22
	s_branch .LBB174_1065
.LBB174_1035:
	s_mov_b32 s29, -1
	s_mov_b32 s28, 0
	s_mov_b32 s0, s22
	s_branch .LBB174_1048
.LBB174_1036:
	s_mov_b32 s29, -1
	s_mov_b32 s28, 0
	s_mov_b32 s0, s22
	s_branch .LBB174_1044
.LBB174_1037:
	s_mov_b32 s29, -1
	s_mov_b32 s28, 0
	s_mov_b32 s0, s22
.LBB174_1038:
	s_and_b32 vcc_lo, exec_lo, s29
	s_cbranch_vccz .LBB174_1043
; %bb.1039:
	v_cmp_eq_u16_e32 vcc_lo, 44, v3
	s_mov_b32 s0, -1
	s_cbranch_vccz .LBB174_1043
; %bb.1040:
	v_and_b32_e32 v4, 0xffff, v2
	v_mov_b32_e32 v5, 0xff
	s_mov_b32 s28, exec_lo
	s_delay_alu instid0(VALU_DEP_2) | instskip(NEXT) | instid1(VALU_DEP_1)
	v_bfe_u32 v6, v4, 7, 8
	v_cmpx_ne_u32_e32 0xff, v6
; %bb.1041:
	v_lshlrev_b32_e32 v5, 16, v4
	v_and_b32_e32 v8, 64, v4
	v_lshrrev_b32_e32 v4, 7, v4
	s_delay_alu instid0(VALU_DEP_3) | instskip(NEXT) | instid1(VALU_DEP_3)
	v_and_or_b32 v5, 0x3f0000, v5, v6
	v_cmp_ne_u32_e32 vcc_lo, 0, v8
	s_delay_alu instid0(VALU_DEP_2) | instskip(NEXT) | instid1(VALU_DEP_1)
	v_cmp_ne_u32_e64 s0, 0, v5
	s_and_b32 s0, vcc_lo, s0
	s_delay_alu instid0(SALU_CYCLE_1) | instskip(NEXT) | instid1(VALU_DEP_1)
	v_cndmask_b32_e64 v5, 0, 1, s0
	v_add_nc_u32_e32 v5, v4, v5
; %bb.1042:
	s_or_b32 exec_lo, exec_lo, s28
	s_mov_b32 s28, -1
	s_mov_b32 s0, 0
	global_store_b8 v[0:1], v5, off
.LBB174_1043:
	s_mov_b32 s29, 0
.LBB174_1044:
	s_delay_alu instid0(SALU_CYCLE_1)
	s_and_b32 vcc_lo, exec_lo, s29
	s_cbranch_vccz .LBB174_1047
; %bb.1045:
	v_cmp_eq_u16_e32 vcc_lo, 29, v3
	s_mov_b32 s0, -1
	s_cbranch_vccz .LBB174_1047
; %bb.1046:
	v_lshlrev_b32_e32 v4, 16, v2
	s_mov_b32 s28, -1
	s_mov_b32 s0, 0
	s_mov_b32 s29, 0
	s_delay_alu instid0(VALU_DEP_1) | instskip(NEXT) | instid1(VALU_DEP_1)
	v_trunc_f32_e32 v4, v4
	v_mul_f32_e32 v5, 0x2f800000, v4
	s_delay_alu instid0(VALU_DEP_1) | instskip(NEXT) | instid1(VALU_DEP_1)
	v_floor_f32_e32 v5, v5
	v_fmamk_f32 v4, v5, 0xcf800000, v4
	v_cvt_u32_f32_e32 v5, v5
	s_delay_alu instid0(VALU_DEP_2)
	v_cvt_u32_f32_e32 v4, v4
	global_store_b64 v[0:1], v[4:5], off
	s_branch .LBB174_1048
.LBB174_1047:
	s_mov_b32 s29, 0
.LBB174_1048:
	s_delay_alu instid0(SALU_CYCLE_1)
	s_and_b32 vcc_lo, exec_lo, s29
	s_cbranch_vccz .LBB174_1064
; %bb.1049:
	v_cmp_gt_i16_e32 vcc_lo, 27, v3
	s_mov_b32 s28, -1
	s_cbranch_vccnz .LBB174_1055
; %bb.1050:
	v_cmp_lt_i16_e32 vcc_lo, 27, v3
	s_cbranch_vccz .LBB174_1052
; %bb.1051:
	v_lshlrev_b32_e32 v4, 16, v2
	s_mov_b32 s28, 0
	s_delay_alu instid0(VALU_DEP_1)
	v_cvt_u32_f32_e32 v4, v4
	global_store_b32 v[0:1], v4, off
.LBB174_1052:
	s_and_not1_b32 vcc_lo, exec_lo, s28
	s_cbranch_vccnz .LBB174_1054
; %bb.1053:
	v_lshlrev_b32_e32 v4, 16, v2
	s_delay_alu instid0(VALU_DEP_1)
	v_cvt_u32_f32_e32 v4, v4
	global_store_b16 v[0:1], v4, off
.LBB174_1054:
	s_mov_b32 s28, 0
.LBB174_1055:
	s_delay_alu instid0(SALU_CYCLE_1)
	s_and_not1_b32 vcc_lo, exec_lo, s28
	s_cbranch_vccnz .LBB174_1063
; %bb.1056:
	v_lshlrev_b32_e32 v6, 16, v2
	v_mov_b32_e32 v8, 0x80
	s_mov_b32 s28, exec_lo
	s_delay_alu instid0(VALU_DEP_2) | instskip(NEXT) | instid1(VALU_DEP_1)
	v_and_b32_e32 v5, 0x7fffffff, v6
	v_cmpx_gt_u32_e32 0x43800000, v5
	s_cbranch_execz .LBB174_1062
; %bb.1057:
	v_and_b32_e32 v4, 0xffff, v2
	v_cmp_lt_u32_e32 vcc_lo, 0x3bffffff, v5
	s_mov_b32 s29, 0
                                        ; implicit-def: $vgpr5
	s_and_saveexec_b32 s30, vcc_lo
	s_delay_alu instid0(SALU_CYCLE_1)
	s_xor_b32 s30, exec_lo, s30
	s_cbranch_execz .LBB174_1165
; %bb.1058:
	v_bfe_u32 v5, v4, 4, 1
	s_mov_b32 s29, exec_lo
	s_delay_alu instid0(VALU_DEP_1) | instskip(NEXT) | instid1(VALU_DEP_1)
	v_add3_u32 v5, v6, v5, 0x487ffff
                                        ; implicit-def: $vgpr6
	v_lshrrev_b32_e32 v5, 20, v5
	s_or_saveexec_b32 s30, s30
                                        ; implicit-def: $sgpr31
	s_delay_alu instid0(SALU_CYCLE_1)
	s_xor_b32 exec_lo, exec_lo, s30
	s_cbranch_execnz .LBB174_1166
.LBB174_1059:
	s_or_b32 exec_lo, exec_lo, s30
	v_mov_b32_e32 v8, s31
	s_and_saveexec_b32 s30, s29
.LBB174_1060:
	v_lshrrev_b32_e32 v4, 8, v4
	s_delay_alu instid0(VALU_DEP_1)
	v_and_or_b32 v8, 0x80, v4, v5
.LBB174_1061:
	s_or_b32 exec_lo, exec_lo, s30
.LBB174_1062:
	s_delay_alu instid0(SALU_CYCLE_1)
	s_or_b32 exec_lo, exec_lo, s28
	global_store_b8 v[0:1], v8, off
.LBB174_1063:
	s_mov_b32 s28, -1
.LBB174_1064:
	s_mov_b32 s29, 0
.LBB174_1065:
	s_delay_alu instid0(SALU_CYCLE_1)
	s_and_b32 vcc_lo, exec_lo, s29
	s_cbranch_vccz .LBB174_1106
; %bb.1066:
	v_cmp_lt_i16_e32 vcc_lo, 22, v3
	s_mov_b32 s29, -1
	s_cbranch_vccz .LBB174_1098
; %bb.1067:
	v_cmp_gt_i16_e32 vcc_lo, 24, v3
	s_mov_b32 s28, -1
	s_cbranch_vccnz .LBB174_1087
; %bb.1068:
	v_cmp_lt_i16_e32 vcc_lo, 24, v3
	s_cbranch_vccz .LBB174_1076
; %bb.1069:
	v_lshlrev_b32_e32 v6, 16, v2
	v_mov_b32_e32 v8, 0x80
	s_mov_b32 s28, exec_lo
	s_delay_alu instid0(VALU_DEP_2) | instskip(NEXT) | instid1(VALU_DEP_1)
	v_and_b32_e32 v5, 0x7fffffff, v6
	v_cmpx_gt_u32_e32 0x47800000, v5
	s_cbranch_execz .LBB174_1075
; %bb.1070:
	v_and_b32_e32 v4, 0xffff, v2
	v_cmp_lt_u32_e32 vcc_lo, 0x37ffffff, v5
	s_mov_b32 s29, 0
                                        ; implicit-def: $vgpr5
	s_and_saveexec_b32 s30, vcc_lo
	s_delay_alu instid0(SALU_CYCLE_1)
	s_xor_b32 s30, exec_lo, s30
	s_cbranch_execz .LBB174_2208
; %bb.1071:
	v_bfe_u32 v5, v4, 5, 1
	s_mov_b32 s29, exec_lo
	s_delay_alu instid0(VALU_DEP_1) | instskip(NEXT) | instid1(VALU_DEP_1)
	v_add3_u32 v5, v6, v5, 0x88fffff
                                        ; implicit-def: $vgpr6
	v_lshrrev_b32_e32 v5, 21, v5
	s_or_saveexec_b32 s30, s30
                                        ; implicit-def: $sgpr31
	s_delay_alu instid0(SALU_CYCLE_1)
	s_xor_b32 exec_lo, exec_lo, s30
	s_cbranch_execnz .LBB174_2209
.LBB174_1072:
	s_or_b32 exec_lo, exec_lo, s30
	v_mov_b32_e32 v8, s31
	s_and_saveexec_b32 s30, s29
.LBB174_1073:
	v_lshrrev_b32_e32 v4, 8, v4
	s_delay_alu instid0(VALU_DEP_1)
	v_and_or_b32 v8, 0x80, v4, v5
.LBB174_1074:
	s_or_b32 exec_lo, exec_lo, s30
.LBB174_1075:
	s_delay_alu instid0(SALU_CYCLE_1)
	s_or_b32 exec_lo, exec_lo, s28
	s_mov_b32 s28, 0
	global_store_b8 v[0:1], v8, off
.LBB174_1076:
	s_and_b32 vcc_lo, exec_lo, s28
	s_cbranch_vccz .LBB174_1086
; %bb.1077:
	v_lshlrev_b32_e32 v6, 16, v2
	v_and_b32_e32 v4, 0xffff, v2
	s_mov_b32 s28, exec_lo
                                        ; implicit-def: $vgpr5
	s_delay_alu instid0(VALU_DEP_2) | instskip(NEXT) | instid1(VALU_DEP_1)
	v_and_b32_e32 v8, 0x7fffffff, v6
	v_cmpx_gt_u32_e32 0x43f00000, v8
	s_xor_b32 s28, exec_lo, s28
	s_cbranch_execz .LBB174_1083
; %bb.1078:
	s_mov_b32 s29, exec_lo
                                        ; implicit-def: $vgpr5
	v_cmpx_lt_u32_e32 0x3c7fffff, v8
	s_xor_b32 s29, exec_lo, s29
; %bb.1079:
	v_bfe_u32 v5, v4, 4, 1
	s_delay_alu instid0(VALU_DEP_1) | instskip(NEXT) | instid1(VALU_DEP_1)
	v_add3_u32 v5, v6, v5, 0x407ffff
	v_and_b32_e32 v6, 0xff00000, v5
	v_lshrrev_b32_e32 v5, 20, v5
	s_delay_alu instid0(VALU_DEP_2) | instskip(NEXT) | instid1(VALU_DEP_2)
	v_cmp_ne_u32_e32 vcc_lo, 0x7f00000, v6
                                        ; implicit-def: $vgpr6
	v_cndmask_b32_e32 v5, 0x7e, v5, vcc_lo
; %bb.1080:
	s_and_not1_saveexec_b32 s29, s29
; %bb.1081:
	v_add_f32_e64 v5, 0x46800000, |v6|
; %bb.1082:
	s_or_b32 exec_lo, exec_lo, s29
                                        ; implicit-def: $vgpr8
.LBB174_1083:
	s_and_not1_saveexec_b32 s28, s28
; %bb.1084:
	v_mov_b32_e32 v5, 0x7f
	v_cmp_lt_u32_e32 vcc_lo, 0x7f800000, v8
	s_delay_alu instid0(VALU_DEP_2)
	v_cndmask_b32_e32 v5, 0x7e, v5, vcc_lo
; %bb.1085:
	s_or_b32 exec_lo, exec_lo, s28
	v_lshrrev_b32_e32 v4, 8, v4
	s_delay_alu instid0(VALU_DEP_1)
	v_and_or_b32 v4, 0x80, v4, v5
	global_store_b8 v[0:1], v4, off
.LBB174_1086:
	s_mov_b32 s28, 0
.LBB174_1087:
	s_delay_alu instid0(SALU_CYCLE_1)
	s_and_not1_b32 vcc_lo, exec_lo, s28
	s_cbranch_vccnz .LBB174_1097
; %bb.1088:
	v_lshlrev_b32_e32 v6, 16, v2
	v_and_b32_e32 v4, 0xffff, v2
	s_mov_b32 s28, exec_lo
                                        ; implicit-def: $vgpr5
	s_delay_alu instid0(VALU_DEP_2) | instskip(NEXT) | instid1(VALU_DEP_1)
	v_and_b32_e32 v8, 0x7fffffff, v6
	v_cmpx_gt_u32_e32 0x47800000, v8
	s_xor_b32 s28, exec_lo, s28
	s_cbranch_execz .LBB174_1094
; %bb.1089:
	s_mov_b32 s29, exec_lo
                                        ; implicit-def: $vgpr5
	v_cmpx_lt_u32_e32 0x387fffff, v8
	s_xor_b32 s29, exec_lo, s29
; %bb.1090:
	v_bfe_u32 v5, v4, 5, 1
	s_delay_alu instid0(VALU_DEP_1) | instskip(NEXT) | instid1(VALU_DEP_1)
	v_add3_u32 v5, v6, v5, 0x80fffff
                                        ; implicit-def: $vgpr6
	v_lshrrev_b32_e32 v5, 21, v5
; %bb.1091:
	s_and_not1_saveexec_b32 s29, s29
; %bb.1092:
	v_add_f32_e64 v5, 0x43000000, |v6|
; %bb.1093:
	s_or_b32 exec_lo, exec_lo, s29
                                        ; implicit-def: $vgpr8
.LBB174_1094:
	s_and_not1_saveexec_b32 s28, s28
; %bb.1095:
	v_mov_b32_e32 v5, 0x7f
	v_cmp_lt_u32_e32 vcc_lo, 0x7f800000, v8
	s_delay_alu instid0(VALU_DEP_2)
	v_cndmask_b32_e32 v5, 0x7c, v5, vcc_lo
; %bb.1096:
	s_or_b32 exec_lo, exec_lo, s28
	v_lshrrev_b32_e32 v4, 8, v4
	s_delay_alu instid0(VALU_DEP_1)
	v_and_or_b32 v4, 0x80, v4, v5
	global_store_b8 v[0:1], v4, off
.LBB174_1097:
	s_mov_b32 s29, 0
	s_mov_b32 s28, -1
.LBB174_1098:
	s_and_not1_b32 vcc_lo, exec_lo, s29
	s_cbranch_vccnz .LBB174_1106
; %bb.1099:
	v_cmp_lt_i16_e32 vcc_lo, 14, v3
	s_mov_b32 s29, -1
	s_cbranch_vccz .LBB174_1103
; %bb.1100:
	v_cmp_eq_u16_e32 vcc_lo, 15, v3
	s_mov_b32 s0, -1
	s_cbranch_vccz .LBB174_1102
; %bb.1101:
	s_mov_b32 s28, -1
	s_mov_b32 s0, 0
	global_store_b16 v[0:1], v2, off
.LBB174_1102:
	s_mov_b32 s29, 0
.LBB174_1103:
	s_delay_alu instid0(SALU_CYCLE_1)
	s_and_b32 vcc_lo, exec_lo, s29
	s_cbranch_vccz .LBB174_1106
; %bb.1104:
	v_cmp_eq_u16_e32 vcc_lo, 11, v3
	s_mov_b32 s0, -1
	s_cbranch_vccz .LBB174_1106
; %bb.1105:
	v_and_b32_e32 v4, 0x7fff, v2
	s_mov_b32 s0, 0
	s_mov_b32 s28, -1
	s_delay_alu instid0(VALU_DEP_1)
	v_cmp_ne_u16_e32 vcc_lo, 0, v4
	v_cndmask_b32_e64 v4, 0, 1, vcc_lo
	global_store_b8 v[0:1], v4, off
.LBB174_1106:
	s_mov_b32 s29, 0
.LBB174_1107:
	s_delay_alu instid0(SALU_CYCLE_1)
	s_and_b32 vcc_lo, exec_lo, s29
	s_cbranch_vccz .LBB174_1146
; %bb.1108:
	v_cmp_gt_i16_e32 vcc_lo, 5, v3
	s_mov_b32 s28, -1
	s_cbranch_vccnz .LBB174_1129
; %bb.1109:
	v_cmp_gt_i16_e32 vcc_lo, 8, v3
	s_cbranch_vccnz .LBB174_1119
; %bb.1110:
	v_cmp_gt_i16_e32 vcc_lo, 9, v3
	s_cbranch_vccnz .LBB174_1116
; %bb.1111:
	v_cmp_lt_i16_e32 vcc_lo, 9, v3
	s_cbranch_vccz .LBB174_1113
; %bb.1112:
	v_mov_b32_e32 v10, 0
	v_lshlrev_b32_e32 v4, 16, v2
	s_mov_b32 s28, 0
	s_delay_alu instid0(VALU_DEP_2) | instskip(NEXT) | instid1(VALU_DEP_2)
	v_mov_b32_e32 v11, v10
	v_cvt_f64_f32_e32 v[8:9], v4
	global_store_b128 v[0:1], v[8:11], off
.LBB174_1113:
	s_and_not1_b32 vcc_lo, exec_lo, s28
	s_cbranch_vccnz .LBB174_1115
; %bb.1114:
	v_dual_mov_b32 v5, 0 :: v_dual_lshlrev_b32 v4, 16, v2
	global_store_b64 v[0:1], v[4:5], off
.LBB174_1115:
	s_mov_b32 s28, 0
.LBB174_1116:
	s_delay_alu instid0(SALU_CYCLE_1)
	s_and_not1_b32 vcc_lo, exec_lo, s28
	s_cbranch_vccnz .LBB174_1118
; %bb.1117:
	v_lshlrev_b32_e32 v4, 16, v2
	s_delay_alu instid0(VALU_DEP_1) | instskip(NEXT) | instid1(VALU_DEP_1)
	v_cvt_f16_f32_e32 v4, v4
	v_and_b32_e32 v4, 0xffff, v4
	global_store_b32 v[0:1], v4, off
.LBB174_1118:
	s_mov_b32 s28, 0
.LBB174_1119:
	s_delay_alu instid0(SALU_CYCLE_1)
	s_and_not1_b32 vcc_lo, exec_lo, s28
	s_cbranch_vccnz .LBB174_1128
; %bb.1120:
	v_cmp_gt_i16_e32 vcc_lo, 6, v3
	s_mov_b32 s28, -1
	s_cbranch_vccnz .LBB174_1126
; %bb.1121:
	v_cmp_lt_i16_e32 vcc_lo, 6, v3
	s_cbranch_vccz .LBB174_1123
; %bb.1122:
	v_lshlrev_b32_e32 v4, 16, v2
	s_mov_b32 s28, 0
	s_delay_alu instid0(VALU_DEP_1)
	v_cvt_f64_f32_e32 v[4:5], v4
	global_store_b64 v[0:1], v[4:5], off
.LBB174_1123:
	s_and_not1_b32 vcc_lo, exec_lo, s28
	s_cbranch_vccnz .LBB174_1125
; %bb.1124:
	v_lshlrev_b32_e32 v4, 16, v2
	global_store_b32 v[0:1], v4, off
.LBB174_1125:
	s_mov_b32 s28, 0
.LBB174_1126:
	s_delay_alu instid0(SALU_CYCLE_1)
	s_and_not1_b32 vcc_lo, exec_lo, s28
	s_cbranch_vccnz .LBB174_1128
; %bb.1127:
	v_lshlrev_b32_e32 v4, 16, v2
	s_delay_alu instid0(VALU_DEP_1)
	v_cvt_f16_f32_e32 v4, v4
	global_store_b16 v[0:1], v4, off
.LBB174_1128:
	s_mov_b32 s28, 0
.LBB174_1129:
	s_delay_alu instid0(SALU_CYCLE_1)
	s_and_not1_b32 vcc_lo, exec_lo, s28
	s_cbranch_vccnz .LBB174_1145
; %bb.1130:
	v_cmp_gt_i16_e32 vcc_lo, 2, v3
	s_mov_b32 s28, -1
	s_cbranch_vccnz .LBB174_1140
; %bb.1131:
	v_cmp_gt_i16_e32 vcc_lo, 3, v3
	s_cbranch_vccnz .LBB174_1137
; %bb.1132:
	v_cmp_lt_i16_e32 vcc_lo, 3, v3
	s_cbranch_vccz .LBB174_1134
; %bb.1133:
	v_lshlrev_b32_e32 v4, 16, v2
	s_mov_b32 s28, 0
	s_delay_alu instid0(VALU_DEP_1) | instskip(NEXT) | instid1(VALU_DEP_1)
	v_trunc_f32_e32 v4, v4
	v_mul_f32_e64 v5, 0x2f800000, |v4|
	v_ashrrev_i32_e32 v8, 31, v4
	s_delay_alu instid0(VALU_DEP_2) | instskip(NEXT) | instid1(VALU_DEP_1)
	v_floor_f32_e32 v5, v5
	v_fma_f32 v6, 0xcf800000, v5, |v4|
	v_cvt_u32_f32_e32 v5, v5
	s_delay_alu instid0(VALU_DEP_2) | instskip(NEXT) | instid1(VALU_DEP_2)
	v_cvt_u32_f32_e32 v4, v6
	v_xor_b32_e32 v5, v5, v8
	s_delay_alu instid0(VALU_DEP_2) | instskip(NEXT) | instid1(VALU_DEP_1)
	v_xor_b32_e32 v4, v4, v8
	v_sub_co_u32 v4, vcc_lo, v4, v8
	s_delay_alu instid0(VALU_DEP_3)
	v_sub_co_ci_u32_e32 v5, vcc_lo, v5, v8, vcc_lo
	global_store_b64 v[0:1], v[4:5], off
.LBB174_1134:
	s_and_not1_b32 vcc_lo, exec_lo, s28
	s_cbranch_vccnz .LBB174_1136
; %bb.1135:
	v_lshlrev_b32_e32 v4, 16, v2
	s_delay_alu instid0(VALU_DEP_1)
	v_cvt_i32_f32_e32 v4, v4
	global_store_b32 v[0:1], v4, off
.LBB174_1136:
	s_mov_b32 s28, 0
.LBB174_1137:
	s_delay_alu instid0(SALU_CYCLE_1)
	s_and_not1_b32 vcc_lo, exec_lo, s28
	s_cbranch_vccnz .LBB174_1139
; %bb.1138:
	v_lshlrev_b32_e32 v4, 16, v2
	s_delay_alu instid0(VALU_DEP_1)
	v_cvt_i32_f32_e32 v4, v4
	global_store_b16 v[0:1], v4, off
.LBB174_1139:
	s_mov_b32 s28, 0
.LBB174_1140:
	s_delay_alu instid0(SALU_CYCLE_1)
	s_and_not1_b32 vcc_lo, exec_lo, s28
	s_cbranch_vccnz .LBB174_1145
; %bb.1141:
	v_cmp_lt_i16_e32 vcc_lo, 0, v3
	s_mov_b32 s28, -1
	s_cbranch_vccz .LBB174_1143
; %bb.1142:
	v_lshlrev_b32_e32 v3, 16, v2
	s_mov_b32 s28, 0
	s_delay_alu instid0(VALU_DEP_1)
	v_cvt_i32_f32_e32 v3, v3
	global_store_b8 v[0:1], v3, off
.LBB174_1143:
	s_and_not1_b32 vcc_lo, exec_lo, s28
	s_cbranch_vccnz .LBB174_1145
; %bb.1144:
	v_lshlrev_b32_e32 v2, 16, v2
	s_delay_alu instid0(VALU_DEP_1) | instskip(NEXT) | instid1(VALU_DEP_1)
	v_trunc_f32_e32 v2, v2
	v_mul_f32_e64 v3, 0x2f800000, |v2|
	s_delay_alu instid0(VALU_DEP_1) | instskip(NEXT) | instid1(VALU_DEP_1)
	v_floor_f32_e32 v3, v3
	v_fma_f32 v3, 0xcf800000, v3, |v2|
	v_ashrrev_i32_e32 v2, 31, v2
	s_delay_alu instid0(VALU_DEP_2) | instskip(NEXT) | instid1(VALU_DEP_1)
	v_cvt_u32_f32_e32 v3, v3
	v_xor_b32_e32 v3, v3, v2
	s_delay_alu instid0(VALU_DEP_1)
	v_sub_nc_u32_e32 v2, v3, v2
	global_store_b8 v[0:1], v2, off
.LBB174_1145:
	s_mov_b32 s28, -1
.LBB174_1146:
	s_delay_alu instid0(SALU_CYCLE_1)
	s_and_not1_b32 vcc_lo, exec_lo, s28
	s_cbranch_vccnz .LBB174_1148
; %bb.1147:
	v_add_nc_u32_e32 v7, 0x80, v7
	s_mov_b32 s29, -1
	s_branch .LBB174_1150
.LBB174_1148:
	s_mov_b32 s29, 0
.LBB174_1149:
                                        ; implicit-def: $vgpr7
.LBB174_1150:
	s_and_not1_b32 s28, s22, exec_lo
	s_and_b32 s0, s0, exec_lo
	s_and_b32 s27, s27, exec_lo
	s_or_b32 s28, s28, s0
	s_and_not1_b32 s0, s23, exec_lo
	s_and_not1_b32 s30, s21, exec_lo
	s_and_b32 s26, s26, exec_lo
	s_or_b32 s27, s0, s27
	s_or_b32 s26, s30, s26
	s_or_not1_b32 s31, s29, exec_lo
.LBB174_1151:
	s_or_b32 exec_lo, exec_lo, s25
	s_mov_b32 s29, 0
	s_mov_b32 s30, 0
	;; [unrolled: 1-line block ×3, first 2 shown]
                                        ; implicit-def: $vgpr2
                                        ; implicit-def: $vgpr0_vgpr1
                                        ; implicit-def: $vgpr4
	s_and_saveexec_b32 s25, s31
	s_cbranch_execz .LBB174_1234
; %bb.1152:
	v_cmp_gt_i32_e32 vcc_lo, s17, v7
	s_mov_b32 s31, s26
	s_mov_b32 s33, 0
                                        ; implicit-def: $vgpr2
                                        ; implicit-def: $vgpr0_vgpr1
                                        ; implicit-def: $vgpr4
	s_and_saveexec_b32 s17, vcc_lo
	s_cbranch_execz .LBB174_1233
; %bb.1153:
	v_mul_lo_u32 v0, v7, s9
	s_waitcnt vmcnt(0)
	v_and_b32_e64 v2, 0xff, s14
	s_delay_alu instid0(VALU_DEP_1) | instskip(NEXT) | instid1(VALU_DEP_3)
	v_cmp_gt_i16_e32 vcc_lo, 11, v2
	v_ashrrev_i32_e32 v1, 31, v0
	v_add_co_u32 v0, s0, s6, v0
	s_delay_alu instid0(VALU_DEP_1)
	v_add_co_ci_u32_e64 v1, s0, s7, v1, s0
	s_cbranch_vccnz .LBB174_1160
; %bb.1154:
	v_cmp_lt_i16_e32 vcc_lo, 25, v2
	s_cbranch_vccz .LBB174_1161
; %bb.1155:
	v_cmp_lt_i16_e32 vcc_lo, 28, v2
	s_cbranch_vccz .LBB174_1162
	;; [unrolled: 3-line block ×4, first 2 shown]
; %bb.1158:
	v_cmp_eq_u16_e32 vcc_lo, 46, v2
	s_mov_b32 s31, 0
	s_cbranch_vccz .LBB174_1167
; %bb.1159:
	global_load_b32 v4, v[0:1], off
	s_mov_b32 s0, 0
	s_mov_b32 s30, -1
	s_branch .LBB174_1169
.LBB174_1160:
	s_mov_b32 s31, -1
	s_mov_b32 s0, s26
                                        ; implicit-def: $vgpr4
	s_branch .LBB174_1232
.LBB174_1161:
	s_mov_b32 s31, -1
	s_mov_b32 s0, s26
                                        ; implicit-def: $vgpr4
	s_branch .LBB174_1198
.LBB174_1162:
	s_mov_b32 s31, -1
	s_mov_b32 s0, s26
                                        ; implicit-def: $vgpr4
	s_branch .LBB174_1179
.LBB174_1163:
	s_mov_b32 s31, -1
	s_mov_b32 s0, s26
                                        ; implicit-def: $vgpr4
	s_branch .LBB174_1174
.LBB174_1164:
	s_mov_b32 s31, -1
	s_mov_b32 s0, s26
	s_branch .LBB174_1168
.LBB174_1165:
	s_or_saveexec_b32 s30, s30
                                        ; implicit-def: $sgpr31
	s_delay_alu instid0(SALU_CYCLE_1)
	s_xor_b32 exec_lo, exec_lo, s30
	s_cbranch_execz .LBB174_1059
.LBB174_1166:
	v_add_f32_e64 v5, 0x46000000, |v6|
	s_and_not1_b32 s29, s29, exec_lo
	s_mov_b32 s31, 0
	s_delay_alu instid0(VALU_DEP_1) | instskip(NEXT) | instid1(VALU_DEP_1)
	v_and_b32_e32 v5, 0xff, v5
	v_cmp_ne_u32_e32 vcc_lo, 0, v5
	s_and_b32 s33, vcc_lo, exec_lo
	s_delay_alu instid0(SALU_CYCLE_1)
	s_or_b32 s29, s29, s33
	s_or_b32 exec_lo, exec_lo, s30
	v_mov_b32_e32 v8, s31
	s_and_saveexec_b32 s30, s29
	s_cbranch_execnz .LBB174_1060
	s_branch .LBB174_1061
.LBB174_1167:
	s_mov_b32 s0, -1
.LBB174_1168:
                                        ; implicit-def: $vgpr4
.LBB174_1169:
	s_and_b32 vcc_lo, exec_lo, s31
	s_cbranch_vccz .LBB174_1173
; %bb.1170:
	v_cmp_eq_u16_e32 vcc_lo, 44, v2
	s_cbranch_vccz .LBB174_1172
; %bb.1171:
	global_load_u8 v3, v[0:1], off
	s_mov_b32 s0, 0
	s_mov_b32 s30, -1
	s_waitcnt vmcnt(0)
	v_lshlrev_b32_e32 v4, 23, v3
	v_cmp_ne_u32_e32 vcc_lo, 0xff, v3
	s_delay_alu instid0(VALU_DEP_2) | instskip(SKIP_1) | instid1(VALU_DEP_2)
	v_cndmask_b32_e32 v4, 0x7f800001, v4, vcc_lo
	v_cmp_ne_u32_e32 vcc_lo, 0, v3
	v_cndmask_b32_e32 v3, 0x400000, v4, vcc_lo
	s_delay_alu instid0(VALU_DEP_1) | instskip(SKIP_1) | instid1(VALU_DEP_2)
	v_add_nc_u32_e32 v4, 0x7fff, v3
	v_cmp_o_f32_e32 vcc_lo, v3, v3
	v_lshrrev_b32_e32 v4, 16, v4
	s_delay_alu instid0(VALU_DEP_1)
	v_cndmask_b32_e32 v4, 0x7fc0, v4, vcc_lo
	s_branch .LBB174_1173
.LBB174_1172:
	s_mov_b32 s0, -1
                                        ; implicit-def: $vgpr4
.LBB174_1173:
	s_mov_b32 s31, 0
.LBB174_1174:
	s_delay_alu instid0(SALU_CYCLE_1)
	s_and_b32 vcc_lo, exec_lo, s31
	s_cbranch_vccz .LBB174_1178
; %bb.1175:
	v_cmp_eq_u16_e32 vcc_lo, 29, v2
	s_cbranch_vccz .LBB174_1177
; %bb.1176:
	global_load_b64 v[3:4], v[0:1], off
	s_mov_b32 s0, 0
	s_mov_b32 s30, -1
	s_mov_b32 s31, 0
	s_waitcnt vmcnt(0)
	v_clz_i32_u32_e32 v5, v4
	s_delay_alu instid0(VALU_DEP_1) | instskip(NEXT) | instid1(VALU_DEP_1)
	v_min_u32_e32 v5, 32, v5
	v_lshlrev_b64 v[3:4], v5, v[3:4]
	s_delay_alu instid0(VALU_DEP_1) | instskip(NEXT) | instid1(VALU_DEP_1)
	v_min_u32_e32 v3, 1, v3
	v_or_b32_e32 v3, v4, v3
	v_sub_nc_u32_e32 v4, 32, v5
	s_delay_alu instid0(VALU_DEP_2) | instskip(NEXT) | instid1(VALU_DEP_1)
	v_cvt_f32_u32_e32 v3, v3
	v_ldexp_f32 v3, v3, v4
	s_delay_alu instid0(VALU_DEP_1) | instskip(NEXT) | instid1(VALU_DEP_1)
	v_bfe_u32 v4, v3, 16, 1
	v_add3_u32 v3, v3, v4, 0x7fff
	s_delay_alu instid0(VALU_DEP_1)
	v_lshrrev_b32_e32 v4, 16, v3
	s_branch .LBB174_1179
.LBB174_1177:
	s_mov_b32 s0, -1
                                        ; implicit-def: $vgpr4
.LBB174_1178:
	s_mov_b32 s31, 0
.LBB174_1179:
	s_delay_alu instid0(SALU_CYCLE_1)
	s_and_b32 vcc_lo, exec_lo, s31
	s_cbranch_vccz .LBB174_1197
; %bb.1180:
	v_cmp_gt_i16_e32 vcc_lo, 27, v2
	s_cbranch_vccnz .LBB174_1183
; %bb.1181:
	v_cmp_lt_i16_e32 vcc_lo, 27, v2
	s_cbranch_vccz .LBB174_1184
; %bb.1182:
	global_load_b32 v3, v[0:1], off
	s_mov_b32 s30, 0
	s_waitcnt vmcnt(0)
	v_cvt_f32_u32_e32 v3, v3
	s_delay_alu instid0(VALU_DEP_1) | instskip(NEXT) | instid1(VALU_DEP_1)
	v_bfe_u32 v4, v3, 16, 1
	v_add3_u32 v3, v3, v4, 0x7fff
	s_delay_alu instid0(VALU_DEP_1)
	v_lshrrev_b32_e32 v4, 16, v3
	s_branch .LBB174_1185
.LBB174_1183:
	s_mov_b32 s30, -1
                                        ; implicit-def: $vgpr4
	s_branch .LBB174_1188
.LBB174_1184:
	s_mov_b32 s30, -1
                                        ; implicit-def: $vgpr4
.LBB174_1185:
	s_delay_alu instid0(SALU_CYCLE_1)
	s_and_not1_b32 vcc_lo, exec_lo, s30
	s_cbranch_vccnz .LBB174_1187
; %bb.1186:
	global_load_u16 v3, v[0:1], off
	s_waitcnt vmcnt(0)
	v_cvt_f32_u32_e32 v3, v3
	s_delay_alu instid0(VALU_DEP_1) | instskip(NEXT) | instid1(VALU_DEP_1)
	v_bfe_u32 v4, v3, 16, 1
	v_add3_u32 v3, v3, v4, 0x7fff
	s_delay_alu instid0(VALU_DEP_1)
	v_lshrrev_b32_e32 v4, 16, v3
.LBB174_1187:
	s_mov_b32 s30, 0
.LBB174_1188:
	s_delay_alu instid0(SALU_CYCLE_1)
	s_and_not1_b32 vcc_lo, exec_lo, s30
	s_cbranch_vccnz .LBB174_1196
; %bb.1189:
	global_load_u8 v3, v[0:1], off
	s_mov_b32 s30, 0
	s_mov_b32 s33, exec_lo
                                        ; implicit-def: $sgpr31
	s_waitcnt vmcnt(0)
	v_cmpx_lt_i16_e32 0x7f, v3
	s_xor_b32 s33, exec_lo, s33
	s_cbranch_execz .LBB174_1210
; %bb.1190:
	s_mov_b32 s30, -1
	s_mov_b32 s34, exec_lo
                                        ; implicit-def: $sgpr31
	v_cmpx_eq_u16_e32 0x80, v3
; %bb.1191:
	s_mov_b32 s31, 0x7f800001
	s_xor_b32 s30, exec_lo, -1
; %bb.1192:
	s_or_b32 exec_lo, exec_lo, s34
	s_delay_alu instid0(SALU_CYCLE_1)
	s_and_b32 s30, s30, exec_lo
	s_or_saveexec_b32 s33, s33
	v_mov_b32_e32 v4, s31
	s_xor_b32 exec_lo, exec_lo, s33
	s_cbranch_execnz .LBB174_1211
.LBB174_1193:
	s_or_b32 exec_lo, exec_lo, s33
	s_and_saveexec_b32 s31, s30
	s_cbranch_execz .LBB174_1195
.LBB174_1194:
	v_and_b32_e32 v4, 0xffff, v3
	v_lshlrev_b32_e32 v3, 24, v3
	s_delay_alu instid0(VALU_DEP_2) | instskip(NEXT) | instid1(VALU_DEP_2)
	v_and_b32_e32 v5, 7, v4
	v_and_b32_e32 v3, 0x80000000, v3
	s_delay_alu instid0(VALU_DEP_2) | instskip(NEXT) | instid1(VALU_DEP_1)
	v_clz_i32_u32_e32 v6, v5
	v_min_u32_e32 v6, 32, v6
	s_delay_alu instid0(VALU_DEP_1) | instskip(SKIP_1) | instid1(VALU_DEP_2)
	v_subrev_nc_u32_e32 v8, 28, v6
	v_sub_nc_u32_e32 v6, 29, v6
	v_lshlrev_b32_e32 v8, v8, v4
	v_bfe_u32 v4, v4, 3, 4
	s_delay_alu instid0(VALU_DEP_2) | instskip(NEXT) | instid1(VALU_DEP_2)
	v_and_b32_e32 v8, 7, v8
	v_cmp_eq_u32_e32 vcc_lo, 0, v4
	s_delay_alu instid0(VALU_DEP_2) | instskip(NEXT) | instid1(VALU_DEP_1)
	v_dual_cndmask_b32 v4, v4, v6 :: v_dual_cndmask_b32 v5, v5, v8
	v_lshl_add_u32 v4, v4, 23, 0x3b800000
	s_delay_alu instid0(VALU_DEP_2) | instskip(NEXT) | instid1(VALU_DEP_1)
	v_lshlrev_b32_e32 v5, 20, v5
	v_or3_b32 v4, v3, v4, v5
.LBB174_1195:
	s_or_b32 exec_lo, exec_lo, s31
	s_delay_alu instid0(VALU_DEP_1) | instskip(SKIP_1) | instid1(VALU_DEP_2)
	v_bfe_u32 v3, v4, 16, 1
	v_cmp_o_f32_e32 vcc_lo, v4, v4
	v_add3_u32 v3, v4, v3, 0x7fff
	s_delay_alu instid0(VALU_DEP_1) | instskip(NEXT) | instid1(VALU_DEP_1)
	v_lshrrev_b32_e32 v3, 16, v3
	v_cndmask_b32_e32 v4, 0x7fc0, v3, vcc_lo
.LBB174_1196:
	s_mov_b32 s30, -1
.LBB174_1197:
	s_mov_b32 s31, 0
.LBB174_1198:
	s_delay_alu instid0(SALU_CYCLE_1)
	s_and_b32 vcc_lo, exec_lo, s31
	s_cbranch_vccz .LBB174_1231
; %bb.1199:
	v_cmp_lt_i16_e32 vcc_lo, 22, v2
	s_cbranch_vccz .LBB174_1209
; %bb.1200:
	v_cmp_gt_i16_e32 vcc_lo, 24, v2
	s_cbranch_vccnz .LBB174_1212
; %bb.1201:
	v_cmp_lt_i16_e32 vcc_lo, 24, v2
	s_cbranch_vccz .LBB174_1213
; %bb.1202:
	global_load_u8 v3, v[0:1], off
	s_mov_b32 s31, exec_lo
                                        ; implicit-def: $sgpr30
	s_waitcnt vmcnt(0)
	v_cmpx_lt_i16_e32 0x7f, v3
	s_xor_b32 s31, exec_lo, s31
	s_cbranch_execz .LBB174_1225
; %bb.1203:
	s_mov_b32 s29, -1
	s_mov_b32 s33, exec_lo
                                        ; implicit-def: $sgpr30
	v_cmpx_eq_u16_e32 0x80, v3
; %bb.1204:
	s_mov_b32 s30, 0x7f800001
	s_xor_b32 s29, exec_lo, -1
; %bb.1205:
	s_or_b32 exec_lo, exec_lo, s33
	s_delay_alu instid0(SALU_CYCLE_1)
	s_and_b32 s29, s29, exec_lo
	s_or_saveexec_b32 s31, s31
	v_mov_b32_e32 v4, s30
	s_xor_b32 exec_lo, exec_lo, s31
	s_cbranch_execnz .LBB174_1226
.LBB174_1206:
	s_or_b32 exec_lo, exec_lo, s31
	s_and_saveexec_b32 s30, s29
	s_cbranch_execz .LBB174_1208
.LBB174_1207:
	v_and_b32_e32 v4, 0xffff, v3
	v_lshlrev_b32_e32 v3, 24, v3
	s_delay_alu instid0(VALU_DEP_2) | instskip(NEXT) | instid1(VALU_DEP_2)
	v_and_b32_e32 v5, 3, v4
	v_and_b32_e32 v3, 0x80000000, v3
	s_delay_alu instid0(VALU_DEP_2) | instskip(NEXT) | instid1(VALU_DEP_1)
	v_clz_i32_u32_e32 v6, v5
	v_min_u32_e32 v6, 32, v6
	s_delay_alu instid0(VALU_DEP_1) | instskip(SKIP_1) | instid1(VALU_DEP_2)
	v_subrev_nc_u32_e32 v8, 29, v6
	v_sub_nc_u32_e32 v6, 30, v6
	v_lshlrev_b32_e32 v8, v8, v4
	v_bfe_u32 v4, v4, 2, 5
	s_delay_alu instid0(VALU_DEP_2) | instskip(NEXT) | instid1(VALU_DEP_2)
	v_and_b32_e32 v8, 3, v8
	v_cmp_eq_u32_e32 vcc_lo, 0, v4
	s_delay_alu instid0(VALU_DEP_2) | instskip(NEXT) | instid1(VALU_DEP_1)
	v_dual_cndmask_b32 v4, v4, v6 :: v_dual_cndmask_b32 v5, v5, v8
	v_lshl_add_u32 v4, v4, 23, 0x37800000
	s_delay_alu instid0(VALU_DEP_2) | instskip(NEXT) | instid1(VALU_DEP_1)
	v_lshlrev_b32_e32 v5, 21, v5
	v_or3_b32 v4, v3, v4, v5
.LBB174_1208:
	s_or_b32 exec_lo, exec_lo, s30
	s_delay_alu instid0(VALU_DEP_1) | instskip(SKIP_2) | instid1(VALU_DEP_2)
	v_bfe_u32 v3, v4, 16, 1
	v_cmp_o_f32_e32 vcc_lo, v4, v4
	s_mov_b32 s29, 0
	v_add3_u32 v3, v4, v3, 0x7fff
	s_delay_alu instid0(VALU_DEP_1) | instskip(NEXT) | instid1(VALU_DEP_1)
	v_lshrrev_b32_e32 v3, 16, v3
	v_cndmask_b32_e32 v4, 0x7fc0, v3, vcc_lo
	s_branch .LBB174_1214
.LBB174_1209:
	s_mov_b32 s29, -1
                                        ; implicit-def: $vgpr4
	s_branch .LBB174_1220
.LBB174_1210:
	s_or_saveexec_b32 s33, s33
	v_mov_b32_e32 v4, s31
	s_xor_b32 exec_lo, exec_lo, s33
	s_cbranch_execz .LBB174_1193
.LBB174_1211:
	v_cmp_ne_u16_e32 vcc_lo, 0, v3
	v_mov_b32_e32 v4, 0
	s_and_not1_b32 s30, s30, exec_lo
	s_and_b32 s31, vcc_lo, exec_lo
	s_delay_alu instid0(SALU_CYCLE_1)
	s_or_b32 s30, s30, s31
	s_or_b32 exec_lo, exec_lo, s33
	s_and_saveexec_b32 s31, s30
	s_cbranch_execnz .LBB174_1194
	s_branch .LBB174_1195
.LBB174_1212:
	s_mov_b32 s29, -1
                                        ; implicit-def: $vgpr4
	s_branch .LBB174_1217
.LBB174_1213:
	s_mov_b32 s29, -1
                                        ; implicit-def: $vgpr4
.LBB174_1214:
	s_delay_alu instid0(SALU_CYCLE_1)
	s_and_b32 vcc_lo, exec_lo, s29
	s_cbranch_vccz .LBB174_1216
; %bb.1215:
	global_load_u8 v3, v[0:1], off
	s_waitcnt vmcnt(0)
	v_lshlrev_b32_e32 v3, 24, v3
	s_delay_alu instid0(VALU_DEP_1) | instskip(NEXT) | instid1(VALU_DEP_1)
	v_and_b32_e32 v4, 0x7f000000, v3
	v_clz_i32_u32_e32 v5, v4
	v_add_nc_u32_e32 v8, 0x1000000, v4
	v_cmp_ne_u32_e32 vcc_lo, 0, v4
	s_delay_alu instid0(VALU_DEP_3) | instskip(NEXT) | instid1(VALU_DEP_1)
	v_min_u32_e32 v5, 32, v5
	v_sub_nc_u32_e64 v5, v5, 4 clamp
	s_delay_alu instid0(VALU_DEP_1) | instskip(SKIP_1) | instid1(VALU_DEP_2)
	v_lshlrev_b32_e32 v6, v5, v4
	v_lshlrev_b32_e32 v5, 23, v5
	v_lshrrev_b32_e32 v6, 4, v6
	s_delay_alu instid0(VALU_DEP_1) | instskip(SKIP_1) | instid1(VALU_DEP_2)
	v_sub_nc_u32_e32 v5, v6, v5
	v_ashrrev_i32_e32 v6, 8, v8
	v_add_nc_u32_e32 v5, 0x3c000000, v5
	s_delay_alu instid0(VALU_DEP_1) | instskip(NEXT) | instid1(VALU_DEP_1)
	v_and_or_b32 v5, 0x7f800000, v6, v5
	v_cndmask_b32_e32 v4, 0, v5, vcc_lo
	s_delay_alu instid0(VALU_DEP_1) | instskip(SKIP_1) | instid1(VALU_DEP_2)
	v_and_or_b32 v3, 0x80000000, v3, v4
	v_bfe_u32 v4, v4, 16, 1
	v_cmp_o_f32_e32 vcc_lo, v3, v3
	s_delay_alu instid0(VALU_DEP_2) | instskip(NEXT) | instid1(VALU_DEP_1)
	v_add3_u32 v4, v3, v4, 0x7fff
	v_lshrrev_b32_e32 v4, 16, v4
	s_delay_alu instid0(VALU_DEP_1)
	v_cndmask_b32_e32 v4, 0x7fc0, v4, vcc_lo
.LBB174_1216:
	s_mov_b32 s29, 0
.LBB174_1217:
	s_delay_alu instid0(SALU_CYCLE_1)
	s_and_not1_b32 vcc_lo, exec_lo, s29
	s_cbranch_vccnz .LBB174_1219
; %bb.1218:
	global_load_u8 v3, v[0:1], off
	s_waitcnt vmcnt(0)
	v_lshlrev_b32_e32 v4, 25, v3
	v_lshlrev_b16 v3, 8, v3
	s_delay_alu instid0(VALU_DEP_2) | instskip(NEXT) | instid1(VALU_DEP_2)
	v_lshrrev_b32_e32 v5, 4, v4
	v_and_or_b32 v6, 0x7f00, v3, 0.5
	v_bfe_i32 v3, v3, 0, 16
	s_delay_alu instid0(VALU_DEP_3) | instskip(NEXT) | instid1(VALU_DEP_1)
	v_or_b32_e32 v5, 0x70000000, v5
	v_dual_add_f32 v6, -0.5, v6 :: v_dual_mul_f32 v5, 0x7800000, v5
	v_cmp_gt_u32_e32 vcc_lo, 0x8000000, v4
	s_delay_alu instid0(VALU_DEP_2) | instskip(NEXT) | instid1(VALU_DEP_1)
	v_cndmask_b32_e32 v4, v5, v6, vcc_lo
	v_and_or_b32 v3, 0x80000000, v3, v4
	v_bfe_u32 v4, v4, 16, 1
	s_delay_alu instid0(VALU_DEP_2) | instskip(NEXT) | instid1(VALU_DEP_2)
	v_cmp_o_f32_e32 vcc_lo, v3, v3
	v_add3_u32 v4, v3, v4, 0x7fff
	s_delay_alu instid0(VALU_DEP_1) | instskip(NEXT) | instid1(VALU_DEP_1)
	v_lshrrev_b32_e32 v4, 16, v4
	v_cndmask_b32_e32 v4, 0x7fc0, v4, vcc_lo
.LBB174_1219:
	s_mov_b32 s29, 0
	s_mov_b32 s30, -1
.LBB174_1220:
	s_and_not1_b32 vcc_lo, exec_lo, s29
	s_mov_b32 s29, 0
	s_cbranch_vccnz .LBB174_1231
; %bb.1221:
	v_cmp_lt_i16_e32 vcc_lo, 14, v2
	s_cbranch_vccz .LBB174_1224
; %bb.1222:
	v_cmp_eq_u16_e32 vcc_lo, 15, v2
	s_cbranch_vccz .LBB174_1227
; %bb.1223:
	global_load_u16 v4, v[0:1], off
	s_mov_b32 s0, 0
	s_mov_b32 s30, -1
	s_branch .LBB174_1229
.LBB174_1224:
	s_mov_b32 s29, -1
	s_branch .LBB174_1228
.LBB174_1225:
	s_or_saveexec_b32 s31, s31
	v_mov_b32_e32 v4, s30
	s_xor_b32 exec_lo, exec_lo, s31
	s_cbranch_execz .LBB174_1206
.LBB174_1226:
	v_cmp_ne_u16_e32 vcc_lo, 0, v3
	v_mov_b32_e32 v4, 0
	s_and_not1_b32 s29, s29, exec_lo
	s_and_b32 s30, vcc_lo, exec_lo
	s_delay_alu instid0(SALU_CYCLE_1)
	s_or_b32 s29, s29, s30
	s_or_b32 exec_lo, exec_lo, s31
	s_and_saveexec_b32 s30, s29
	s_cbranch_execnz .LBB174_1207
	s_branch .LBB174_1208
.LBB174_1227:
	s_mov_b32 s0, -1
.LBB174_1228:
                                        ; implicit-def: $vgpr4
.LBB174_1229:
	s_and_b32 vcc_lo, exec_lo, s29
	s_mov_b32 s29, 0
	s_cbranch_vccz .LBB174_1231
; %bb.1230:
	v_cmp_ne_u16_e32 vcc_lo, 11, v2
	s_and_not1_b32 s0, s0, exec_lo
	s_mov_b32 s29, -1
                                        ; implicit-def: $vgpr4
	s_and_b32 s31, vcc_lo, exec_lo
	s_delay_alu instid0(SALU_CYCLE_1)
	s_or_b32 s0, s0, s31
.LBB174_1231:
	s_mov_b32 s31, 0
.LBB174_1232:
	s_and_b32 s33, s30, exec_lo
	s_and_b32 s30, s31, exec_lo
	s_and_not1_b32 s31, s26, exec_lo
	s_and_b32 s0, s0, exec_lo
	s_and_b32 s29, s29, exec_lo
	s_or_b32 s31, s31, s0
.LBB174_1233:
	s_or_b32 exec_lo, exec_lo, s17
	s_delay_alu instid0(SALU_CYCLE_1)
	s_and_not1_b32 s17, s26, exec_lo
	s_and_b32 s26, s31, exec_lo
	s_and_b32 s0, s33, exec_lo
	;; [unrolled: 1-line block ×4, first 2 shown]
	s_or_b32 s26, s17, s26
.LBB174_1234:
	s_or_b32 exec_lo, exec_lo, s25
	s_delay_alu instid0(SALU_CYCLE_1)
	s_and_not1_b32 s17, s22, exec_lo
	s_and_b32 s22, s28, exec_lo
	s_and_not1_b32 s23, s23, exec_lo
	s_and_b32 s25, s27, exec_lo
	s_or_b32 s22, s17, s22
	s_and_not1_b32 s17, s21, exec_lo
	s_and_b32 s21, s26, exec_lo
	s_or_b32 s23, s23, s25
	s_and_b32 s0, s0, exec_lo
	s_and_b32 s27, s30, exec_lo
	;; [unrolled: 1-line block ×3, first 2 shown]
	s_or_b32 s21, s17, s21
.LBB174_1235:
	s_or_b32 exec_lo, exec_lo, s24
	s_delay_alu instid0(SALU_CYCLE_1)
	s_and_not1_b32 s16, s16, exec_lo
	s_and_b32 s17, s22, exec_lo
	s_and_not1_b32 s18, s18, exec_lo
	s_and_b32 s22, s23, exec_lo
	s_or_b32 s16, s16, s17
	s_and_not1_b32 s17, s19, exec_lo
	s_and_b32 s19, s21, exec_lo
	s_or_b32 s18, s18, s22
	s_and_b32 s0, s0, exec_lo
	s_and_b32 s22, s27, exec_lo
	;; [unrolled: 1-line block ×3, first 2 shown]
	s_or_b32 s19, s17, s19
.LBB174_1236:
	s_or_b32 exec_lo, exec_lo, s20
	s_mov_b32 s17, 0
	s_and_saveexec_b32 s20, s19
	s_cbranch_execnz .LBB174_1248
; %bb.1237:
	s_or_b32 exec_lo, exec_lo, s20
	s_and_saveexec_b32 s19, s21
	s_delay_alu instid0(SALU_CYCLE_1)
	s_xor_b32 s19, exec_lo, s19
	s_cbranch_execz .LBB174_1239
.LBB174_1238:
	global_load_u8 v3, v[0:1], off
	s_or_b32 s0, s0, exec_lo
	s_waitcnt vmcnt(0)
	v_cmp_ne_u16_e32 vcc_lo, 0, v3
	v_cndmask_b32_e64 v3, 0, 1.0, vcc_lo
	s_delay_alu instid0(VALU_DEP_1)
	v_lshrrev_b32_e32 v4, 16, v3
.LBB174_1239:
	s_or_b32 exec_lo, exec_lo, s19
	s_and_saveexec_b32 s19, s22
	s_cbranch_execz .LBB174_1287
; %bb.1240:
	s_waitcnt vmcnt(0)
	v_cmp_gt_i16_e32 vcc_lo, 5, v2
	s_cbranch_vccnz .LBB174_1245
; %bb.1241:
	v_cmp_gt_i16_e32 vcc_lo, 8, v2
	s_cbranch_vccnz .LBB174_1246
; %bb.1242:
	;; [unrolled: 3-line block ×3, first 2 shown]
	v_cmp_lt_i16_e32 vcc_lo, 9, v2
	s_cbranch_vccz .LBB174_1250
; %bb.1244:
	global_load_b64 v[3:4], v[0:1], off
	s_mov_b32 s20, 0
	s_waitcnt vmcnt(0)
	v_cvt_f32_f64_e32 v3, v[3:4]
	s_delay_alu instid0(VALU_DEP_1) | instskip(SKIP_1) | instid1(VALU_DEP_2)
	v_bfe_u32 v4, v3, 16, 1
	v_cmp_o_f32_e32 vcc_lo, v3, v3
	v_add3_u32 v4, v3, v4, 0x7fff
	s_delay_alu instid0(VALU_DEP_1) | instskip(NEXT) | instid1(VALU_DEP_1)
	v_lshrrev_b32_e32 v4, 16, v4
	v_cndmask_b32_e32 v4, 0x7fc0, v4, vcc_lo
	s_branch .LBB174_1251
.LBB174_1245:
                                        ; implicit-def: $vgpr4
	s_branch .LBB174_1268
.LBB174_1246:
                                        ; implicit-def: $vgpr4
	s_branch .LBB174_1257
.LBB174_1247:
	s_mov_b32 s20, -1
                                        ; implicit-def: $vgpr4
	s_branch .LBB174_1254
.LBB174_1248:
	s_cbranch_execnz .LBB174_1299
; %bb.1249:
	s_mov_b32 s17, exec_lo
	s_and_not1_b32 s21, s21, exec_lo
                                        ; implicit-def: $vgpr4
	s_or_b32 exec_lo, exec_lo, s20
	s_and_saveexec_b32 s19, s21
	s_delay_alu instid0(SALU_CYCLE_1)
	s_xor_b32 s19, exec_lo, s19
	s_cbranch_execnz .LBB174_1238
	s_branch .LBB174_1239
.LBB174_1250:
	s_mov_b32 s20, -1
                                        ; implicit-def: $vgpr4
.LBB174_1251:
	s_delay_alu instid0(SALU_CYCLE_1)
	s_and_not1_b32 vcc_lo, exec_lo, s20
	s_cbranch_vccnz .LBB174_1253
; %bb.1252:
	global_load_b32 v3, v[0:1], off
	s_waitcnt vmcnt(0)
	v_bfe_u32 v4, v3, 16, 1
	v_cmp_o_f32_e32 vcc_lo, v3, v3
	s_delay_alu instid0(VALU_DEP_2) | instskip(NEXT) | instid1(VALU_DEP_1)
	v_add3_u32 v4, v3, v4, 0x7fff
	v_lshrrev_b32_e32 v4, 16, v4
	s_delay_alu instid0(VALU_DEP_1)
	v_cndmask_b32_e32 v4, 0x7fc0, v4, vcc_lo
.LBB174_1253:
	s_mov_b32 s20, 0
.LBB174_1254:
	s_delay_alu instid0(SALU_CYCLE_1)
	s_and_not1_b32 vcc_lo, exec_lo, s20
	s_cbranch_vccnz .LBB174_1256
; %bb.1255:
	global_load_b32 v3, v[0:1], off
	s_waitcnt vmcnt(0)
	v_cvt_f32_f16_e32 v4, v3
	v_cmp_o_f16_e32 vcc_lo, v3, v3
	s_delay_alu instid0(VALU_DEP_2) | instskip(NEXT) | instid1(VALU_DEP_1)
	v_bfe_u32 v5, v4, 16, 1
	v_add3_u32 v4, v4, v5, 0x7fff
	s_delay_alu instid0(VALU_DEP_1) | instskip(NEXT) | instid1(VALU_DEP_1)
	v_lshrrev_b32_e32 v4, 16, v4
	v_cndmask_b32_e32 v4, 0x7fc0, v4, vcc_lo
.LBB174_1256:
	s_cbranch_execnz .LBB174_1267
.LBB174_1257:
	v_cmp_gt_i16_e32 vcc_lo, 6, v2
	s_cbranch_vccnz .LBB174_1260
; %bb.1258:
	v_cmp_lt_i16_e32 vcc_lo, 6, v2
	s_cbranch_vccz .LBB174_1261
; %bb.1259:
	global_load_b64 v[3:4], v[0:1], off
	s_mov_b32 s20, 0
	s_waitcnt vmcnt(0)
	v_cvt_f32_f64_e32 v3, v[3:4]
	s_delay_alu instid0(VALU_DEP_1) | instskip(SKIP_1) | instid1(VALU_DEP_2)
	v_bfe_u32 v4, v3, 16, 1
	v_cmp_o_f32_e32 vcc_lo, v3, v3
	v_add3_u32 v4, v3, v4, 0x7fff
	s_delay_alu instid0(VALU_DEP_1) | instskip(NEXT) | instid1(VALU_DEP_1)
	v_lshrrev_b32_e32 v4, 16, v4
	v_cndmask_b32_e32 v4, 0x7fc0, v4, vcc_lo
	s_branch .LBB174_1262
.LBB174_1260:
	s_mov_b32 s20, -1
                                        ; implicit-def: $vgpr4
	s_branch .LBB174_1265
.LBB174_1261:
	s_mov_b32 s20, -1
                                        ; implicit-def: $vgpr4
.LBB174_1262:
	s_delay_alu instid0(SALU_CYCLE_1)
	s_and_not1_b32 vcc_lo, exec_lo, s20
	s_cbranch_vccnz .LBB174_1264
; %bb.1263:
	global_load_b32 v3, v[0:1], off
	s_waitcnt vmcnt(0)
	v_bfe_u32 v4, v3, 16, 1
	v_cmp_o_f32_e32 vcc_lo, v3, v3
	s_delay_alu instid0(VALU_DEP_2) | instskip(NEXT) | instid1(VALU_DEP_1)
	v_add3_u32 v4, v3, v4, 0x7fff
	v_lshrrev_b32_e32 v4, 16, v4
	s_delay_alu instid0(VALU_DEP_1)
	v_cndmask_b32_e32 v4, 0x7fc0, v4, vcc_lo
.LBB174_1264:
	s_mov_b32 s20, 0
.LBB174_1265:
	s_delay_alu instid0(SALU_CYCLE_1)
	s_and_not1_b32 vcc_lo, exec_lo, s20
	s_cbranch_vccnz .LBB174_1267
; %bb.1266:
	global_load_u16 v3, v[0:1], off
	s_waitcnt vmcnt(0)
	v_cvt_f32_f16_e32 v4, v3
	v_cmp_o_f16_e32 vcc_lo, v3, v3
	s_delay_alu instid0(VALU_DEP_2) | instskip(NEXT) | instid1(VALU_DEP_1)
	v_bfe_u32 v5, v4, 16, 1
	v_add3_u32 v4, v4, v5, 0x7fff
	s_delay_alu instid0(VALU_DEP_1) | instskip(NEXT) | instid1(VALU_DEP_1)
	v_lshrrev_b32_e32 v4, 16, v4
	v_cndmask_b32_e32 v4, 0x7fc0, v4, vcc_lo
.LBB174_1267:
	s_cbranch_execnz .LBB174_1286
.LBB174_1268:
	v_cmp_gt_i16_e32 vcc_lo, 2, v2
	s_cbranch_vccnz .LBB174_1272
; %bb.1269:
	v_cmp_gt_i16_e32 vcc_lo, 3, v2
	s_cbranch_vccnz .LBB174_1273
; %bb.1270:
	v_cmp_lt_i16_e32 vcc_lo, 3, v2
	s_cbranch_vccz .LBB174_1274
; %bb.1271:
	global_load_b64 v[3:4], v[0:1], off
	s_mov_b32 s20, 0
	s_waitcnt vmcnt(0)
	v_xor_b32_e32 v5, v3, v4
	v_cls_i32_e32 v6, v4
	s_delay_alu instid0(VALU_DEP_2) | instskip(NEXT) | instid1(VALU_DEP_2)
	v_ashrrev_i32_e32 v5, 31, v5
	v_add_nc_u32_e32 v6, -1, v6
	s_delay_alu instid0(VALU_DEP_2) | instskip(NEXT) | instid1(VALU_DEP_1)
	v_add_nc_u32_e32 v5, 32, v5
	v_min_u32_e32 v5, v6, v5
	s_delay_alu instid0(VALU_DEP_1) | instskip(NEXT) | instid1(VALU_DEP_1)
	v_lshlrev_b64 v[3:4], v5, v[3:4]
	v_min_u32_e32 v3, 1, v3
	s_delay_alu instid0(VALU_DEP_1) | instskip(SKIP_1) | instid1(VALU_DEP_2)
	v_or_b32_e32 v3, v4, v3
	v_sub_nc_u32_e32 v4, 32, v5
	v_cvt_f32_i32_e32 v3, v3
	s_delay_alu instid0(VALU_DEP_1) | instskip(NEXT) | instid1(VALU_DEP_1)
	v_ldexp_f32 v3, v3, v4
	v_bfe_u32 v4, v3, 16, 1
	s_delay_alu instid0(VALU_DEP_1) | instskip(NEXT) | instid1(VALU_DEP_1)
	v_add3_u32 v3, v3, v4, 0x7fff
	v_lshrrev_b32_e32 v4, 16, v3
	s_branch .LBB174_1275
.LBB174_1272:
                                        ; implicit-def: $vgpr4
	s_branch .LBB174_1281
.LBB174_1273:
	s_mov_b32 s20, -1
                                        ; implicit-def: $vgpr4
	s_branch .LBB174_1278
.LBB174_1274:
	s_mov_b32 s20, -1
                                        ; implicit-def: $vgpr4
.LBB174_1275:
	s_delay_alu instid0(SALU_CYCLE_1)
	s_and_not1_b32 vcc_lo, exec_lo, s20
	s_cbranch_vccnz .LBB174_1277
; %bb.1276:
	global_load_b32 v3, v[0:1], off
	s_waitcnt vmcnt(0)
	v_cvt_f32_i32_e32 v3, v3
	s_delay_alu instid0(VALU_DEP_1) | instskip(NEXT) | instid1(VALU_DEP_1)
	v_bfe_u32 v4, v3, 16, 1
	v_add3_u32 v3, v3, v4, 0x7fff
	s_delay_alu instid0(VALU_DEP_1)
	v_lshrrev_b32_e32 v4, 16, v3
.LBB174_1277:
	s_mov_b32 s20, 0
.LBB174_1278:
	s_delay_alu instid0(SALU_CYCLE_1)
	s_and_not1_b32 vcc_lo, exec_lo, s20
	s_cbranch_vccnz .LBB174_1280
; %bb.1279:
	global_load_i16 v3, v[0:1], off
	s_waitcnt vmcnt(0)
	v_cvt_f32_i32_e32 v3, v3
	s_delay_alu instid0(VALU_DEP_1) | instskip(NEXT) | instid1(VALU_DEP_1)
	v_bfe_u32 v4, v3, 16, 1
	v_add3_u32 v3, v3, v4, 0x7fff
	s_delay_alu instid0(VALU_DEP_1)
	v_lshrrev_b32_e32 v4, 16, v3
.LBB174_1280:
	s_cbranch_execnz .LBB174_1286
.LBB174_1281:
	v_cmp_lt_i16_e32 vcc_lo, 0, v2
	s_mov_b32 s20, 0
	s_cbranch_vccz .LBB174_1283
; %bb.1282:
	global_load_i8 v2, v[0:1], off
	s_waitcnt vmcnt(0)
	v_cvt_f32_i32_e32 v2, v2
	s_delay_alu instid0(VALU_DEP_1) | instskip(NEXT) | instid1(VALU_DEP_1)
	v_bfe_u32 v3, v2, 16, 1
	v_add3_u32 v2, v2, v3, 0x7fff
	s_delay_alu instid0(VALU_DEP_1)
	v_lshrrev_b32_e32 v4, 16, v2
	s_branch .LBB174_1284
.LBB174_1283:
	s_mov_b32 s20, -1
                                        ; implicit-def: $vgpr4
.LBB174_1284:
	s_delay_alu instid0(SALU_CYCLE_1)
	s_and_not1_b32 vcc_lo, exec_lo, s20
	s_cbranch_vccnz .LBB174_1286
; %bb.1285:
	global_load_u8 v0, v[0:1], off
	s_waitcnt vmcnt(0)
	v_cvt_f32_ubyte0_e32 v0, v0
	s_delay_alu instid0(VALU_DEP_1) | instskip(NEXT) | instid1(VALU_DEP_1)
	v_bfe_u32 v1, v0, 16, 1
	v_add3_u32 v0, v0, v1, 0x7fff
	s_delay_alu instid0(VALU_DEP_1)
	v_lshrrev_b32_e32 v4, 16, v0
.LBB174_1286:
	s_or_b32 s0, s0, exec_lo
.LBB174_1287:
	s_or_b32 exec_lo, exec_lo, s19
	s_mov_b32 s21, 0
	s_mov_b32 s22, 0
	s_mov_b32 s20, 0
                                        ; implicit-def: $vgpr5
                                        ; implicit-def: $vgpr0_vgpr1
                                        ; implicit-def: $vgpr2
	s_and_saveexec_b32 s19, s0
	s_cbranch_execz .LBB174_1363
; %bb.1288:
	v_mul_lo_u32 v0, v7, s10
	v_and_b32_e64 v5, 0xff, s1
	s_delay_alu instid0(VALU_DEP_1) | instskip(NEXT) | instid1(VALU_DEP_3)
	v_cmp_gt_i16_e32 vcc_lo, 11, v5
	v_ashrrev_i32_e32 v1, 31, v0
	v_add_co_u32 v0, s0, s2, v0
	s_delay_alu instid0(VALU_DEP_1)
	v_add_co_ci_u32_e64 v1, s0, s3, v1, s0
	s_cbranch_vccnz .LBB174_1295
; %bb.1289:
	v_cmp_lt_i16_e32 vcc_lo, 25, v5
	s_cbranch_vccz .LBB174_1296
; %bb.1290:
	v_cmp_lt_i16_e32 vcc_lo, 28, v5
	s_cbranch_vccz .LBB174_1297
	;; [unrolled: 3-line block ×4, first 2 shown]
; %bb.1293:
	v_cmp_eq_u16_e32 vcc_lo, 46, v5
	s_cbranch_vccz .LBB174_1302
; %bb.1294:
	global_load_b32 v2, v[0:1], off
	s_mov_b32 s0, 0
	s_mov_b32 s20, -1
	s_waitcnt vmcnt(0)
	v_lshlrev_b32_e32 v2, 16, v2
	s_delay_alu instid0(VALU_DEP_1) | instskip(NEXT) | instid1(VALU_DEP_1)
	v_trunc_f32_e32 v2, v2
	v_mul_f32_e64 v3, 0x2f800000, |v2|
	s_delay_alu instid0(VALU_DEP_1) | instskip(NEXT) | instid1(VALU_DEP_1)
	v_floor_f32_e32 v3, v3
	v_fma_f32 v3, 0xcf800000, v3, |v2|
	v_ashrrev_i32_e32 v2, 31, v2
	s_delay_alu instid0(VALU_DEP_2) | instskip(NEXT) | instid1(VALU_DEP_1)
	v_cvt_u32_f32_e32 v3, v3
	v_xor_b32_e32 v3, v3, v2
	s_delay_alu instid0(VALU_DEP_1)
	v_sub_nc_u32_e32 v2, v3, v2
	s_branch .LBB174_1304
.LBB174_1295:
	s_mov_b32 s22, -1
	s_mov_b32 s0, s18
                                        ; implicit-def: $vgpr2
	s_branch .LBB174_1362
.LBB174_1296:
	s_mov_b32 s0, s18
                                        ; implicit-def: $vgpr2
	s_cbranch_execnz .LBB174_1331
	s_branch .LBB174_1361
.LBB174_1297:
	s_mov_b32 s22, -1
	s_mov_b32 s0, s18
                                        ; implicit-def: $vgpr2
	s_branch .LBB174_1314
.LBB174_1298:
	s_mov_b32 s22, -1
	s_mov_b32 s0, s18
                                        ; implicit-def: $vgpr2
	s_branch .LBB174_1309
.LBB174_1299:
	s_trap 2
	s_sendmsg_rtn_b32 s0, sendmsg(MSG_RTN_GET_DOORBELL)
	s_mov_b32 ttmp2, m0
	s_waitcnt lgkmcnt(0)
	s_and_b32 s0, s0, 0x3ff
	s_delay_alu instid0(SALU_CYCLE_1) | instskip(NEXT) | instid1(SALU_CYCLE_1)
	s_bitset1_b32 s0, 10
	s_mov_b32 m0, s0
	s_sendmsg sendmsg(MSG_INTERRUPT)
	s_mov_b32 m0, ttmp2
.LBB174_1300:                           ; =>This Inner Loop Header: Depth=1
	s_sethalt 5
	s_branch .LBB174_1300
.LBB174_1301:
	s_mov_b32 s22, -1
	s_mov_b32 s0, s18
	s_branch .LBB174_1303
.LBB174_1302:
	s_mov_b32 s0, -1
.LBB174_1303:
                                        ; implicit-def: $vgpr2
.LBB174_1304:
	s_and_b32 vcc_lo, exec_lo, s22
	s_cbranch_vccz .LBB174_1308
; %bb.1305:
	v_cmp_eq_u16_e32 vcc_lo, 44, v5
	s_cbranch_vccz .LBB174_1307
; %bb.1306:
	global_load_u8 v2, v[0:1], off
	s_mov_b32 s0, 0
	s_mov_b32 s20, -1
	s_waitcnt vmcnt(0)
	v_lshlrev_b32_e32 v3, 23, v2
	v_cmp_ne_u32_e32 vcc_lo, 0, v2
	s_delay_alu instid0(VALU_DEP_2) | instskip(NEXT) | instid1(VALU_DEP_1)
	v_trunc_f32_e32 v3, v3
	v_mul_f32_e64 v6, 0x2f800000, |v3|
	s_delay_alu instid0(VALU_DEP_1) | instskip(NEXT) | instid1(VALU_DEP_1)
	v_floor_f32_e32 v6, v6
	v_fma_f32 v6, 0xcf800000, v6, |v3|
	v_ashrrev_i32_e32 v3, 31, v3
	s_delay_alu instid0(VALU_DEP_2) | instskip(NEXT) | instid1(VALU_DEP_1)
	v_cvt_u32_f32_e32 v6, v6
	v_xor_b32_e32 v6, v6, v3
	s_delay_alu instid0(VALU_DEP_1) | instskip(NEXT) | instid1(VALU_DEP_1)
	v_sub_nc_u32_e32 v3, v6, v3
	v_cndmask_b32_e32 v2, 0, v3, vcc_lo
	s_branch .LBB174_1308
.LBB174_1307:
	s_mov_b32 s0, -1
                                        ; implicit-def: $vgpr2
.LBB174_1308:
	s_mov_b32 s22, 0
.LBB174_1309:
	s_delay_alu instid0(SALU_CYCLE_1)
	s_and_b32 vcc_lo, exec_lo, s22
	s_cbranch_vccz .LBB174_1313
; %bb.1310:
	v_cmp_eq_u16_e32 vcc_lo, 29, v5
	s_cbranch_vccz .LBB174_1312
; %bb.1311:
	global_load_b64 v[2:3], v[0:1], off
	s_mov_b32 s0, 0
	s_mov_b32 s20, -1
	s_branch .LBB174_1313
.LBB174_1312:
	s_mov_b32 s0, -1
                                        ; implicit-def: $vgpr2
.LBB174_1313:
	s_mov_b32 s22, 0
.LBB174_1314:
	s_delay_alu instid0(SALU_CYCLE_1)
	s_and_b32 vcc_lo, exec_lo, s22
	s_cbranch_vccz .LBB174_1330
; %bb.1315:
	v_cmp_gt_i16_e32 vcc_lo, 27, v5
	s_cbranch_vccnz .LBB174_1318
; %bb.1316:
	v_cmp_lt_i16_e32 vcc_lo, 27, v5
	s_cbranch_vccz .LBB174_1319
; %bb.1317:
	global_load_b32 v2, v[0:1], off
	s_mov_b32 s20, 0
	s_branch .LBB174_1320
.LBB174_1318:
	s_mov_b32 s20, -1
                                        ; implicit-def: $vgpr2
	s_branch .LBB174_1323
.LBB174_1319:
	s_mov_b32 s20, -1
                                        ; implicit-def: $vgpr2
.LBB174_1320:
	s_delay_alu instid0(SALU_CYCLE_1)
	s_and_not1_b32 vcc_lo, exec_lo, s20
	s_cbranch_vccnz .LBB174_1322
; %bb.1321:
	global_load_u16 v2, v[0:1], off
.LBB174_1322:
	s_mov_b32 s20, 0
.LBB174_1323:
	s_delay_alu instid0(SALU_CYCLE_1)
	s_and_not1_b32 vcc_lo, exec_lo, s20
	s_cbranch_vccnz .LBB174_1329
; %bb.1324:
	global_load_u8 v3, v[0:1], off
	s_mov_b32 s22, 0
	s_mov_b32 s20, exec_lo
                                        ; implicit-def: $sgpr23
	s_waitcnt vmcnt(0)
	v_cmpx_lt_i16_e32 0x7f, v3
	s_xor_b32 s20, exec_lo, s20
	s_cbranch_execz .LBB174_1340
; %bb.1325:
	v_cmp_ne_u16_e32 vcc_lo, 0x80, v3
	s_mov_b32 s23, 0
	s_and_b32 s22, vcc_lo, exec_lo
	s_or_saveexec_b32 s20, s20
	v_mov_b32_e32 v2, s23
	s_xor_b32 exec_lo, exec_lo, s20
	s_cbranch_execnz .LBB174_1341
.LBB174_1326:
	s_or_b32 exec_lo, exec_lo, s20
	s_and_saveexec_b32 s20, s22
	s_cbranch_execz .LBB174_1328
.LBB174_1327:
	v_and_b32_e32 v2, 0xffff, v3
	s_delay_alu instid0(VALU_DEP_1) | instskip(NEXT) | instid1(VALU_DEP_1)
	v_and_b32_e32 v6, 7, v2
	v_clz_i32_u32_e32 v8, v6
	s_delay_alu instid0(VALU_DEP_1) | instskip(NEXT) | instid1(VALU_DEP_1)
	v_min_u32_e32 v8, 32, v8
	v_subrev_nc_u32_e32 v9, 28, v8
	v_sub_nc_u32_e32 v8, 29, v8
	s_delay_alu instid0(VALU_DEP_2) | instskip(SKIP_1) | instid1(VALU_DEP_1)
	v_lshlrev_b32_e32 v9, v9, v2
	v_bfe_u32 v2, v2, 3, 4
	v_cmp_eq_u32_e32 vcc_lo, 0, v2
	s_delay_alu instid0(VALU_DEP_3) | instskip(SKIP_1) | instid1(VALU_DEP_2)
	v_dual_cndmask_b32 v2, v2, v8 :: v_dual_and_b32 v9, 7, v9
	v_lshlrev_b32_e32 v3, 24, v3
	v_lshl_add_u32 v2, v2, 23, 0x3b800000
	s_delay_alu instid0(VALU_DEP_2) | instskip(NEXT) | instid1(VALU_DEP_1)
	v_dual_cndmask_b32 v6, v6, v9 :: v_dual_and_b32 v3, 0x80000000, v3
	v_lshlrev_b32_e32 v6, 20, v6
	s_delay_alu instid0(VALU_DEP_1) | instskip(NEXT) | instid1(VALU_DEP_1)
	v_or3_b32 v2, v3, v2, v6
	v_trunc_f32_e32 v2, v2
	s_delay_alu instid0(VALU_DEP_1) | instskip(NEXT) | instid1(VALU_DEP_1)
	v_mul_f32_e64 v3, 0x2f800000, |v2|
	v_floor_f32_e32 v3, v3
	s_delay_alu instid0(VALU_DEP_1) | instskip(SKIP_1) | instid1(VALU_DEP_2)
	v_fma_f32 v3, 0xcf800000, v3, |v2|
	v_ashrrev_i32_e32 v2, 31, v2
	v_cvt_u32_f32_e32 v3, v3
	s_delay_alu instid0(VALU_DEP_1) | instskip(NEXT) | instid1(VALU_DEP_1)
	v_xor_b32_e32 v3, v3, v2
	v_sub_nc_u32_e32 v2, v3, v2
.LBB174_1328:
	s_or_b32 exec_lo, exec_lo, s20
.LBB174_1329:
	s_mov_b32 s20, -1
.LBB174_1330:
	s_branch .LBB174_1361
.LBB174_1331:
	v_cmp_lt_i16_e32 vcc_lo, 22, v5
	s_cbranch_vccz .LBB174_1339
; %bb.1332:
	v_cmp_gt_i16_e32 vcc_lo, 24, v5
	s_cbranch_vccnz .LBB174_1342
; %bb.1333:
	v_cmp_lt_i16_e32 vcc_lo, 24, v5
	s_cbranch_vccz .LBB174_1343
; %bb.1334:
	global_load_u8 v3, v[0:1], off
	s_mov_b32 s20, exec_lo
                                        ; implicit-def: $sgpr22
	s_waitcnt vmcnt(0)
	v_cmpx_lt_i16_e32 0x7f, v3
	s_xor_b32 s20, exec_lo, s20
	s_cbranch_execz .LBB174_1355
; %bb.1335:
	v_cmp_ne_u16_e32 vcc_lo, 0x80, v3
	s_mov_b32 s22, 0
	s_and_b32 s21, vcc_lo, exec_lo
	s_or_saveexec_b32 s20, s20
	v_mov_b32_e32 v2, s22
	s_xor_b32 exec_lo, exec_lo, s20
	s_cbranch_execnz .LBB174_1356
.LBB174_1336:
	s_or_b32 exec_lo, exec_lo, s20
	s_and_saveexec_b32 s20, s21
	s_cbranch_execz .LBB174_1338
.LBB174_1337:
	v_and_b32_e32 v2, 0xffff, v3
	s_delay_alu instid0(VALU_DEP_1) | instskip(NEXT) | instid1(VALU_DEP_1)
	v_and_b32_e32 v6, 3, v2
	v_clz_i32_u32_e32 v8, v6
	s_delay_alu instid0(VALU_DEP_1) | instskip(NEXT) | instid1(VALU_DEP_1)
	v_min_u32_e32 v8, 32, v8
	v_subrev_nc_u32_e32 v9, 29, v8
	v_sub_nc_u32_e32 v8, 30, v8
	s_delay_alu instid0(VALU_DEP_2) | instskip(SKIP_1) | instid1(VALU_DEP_1)
	v_lshlrev_b32_e32 v9, v9, v2
	v_bfe_u32 v2, v2, 2, 5
	v_cmp_eq_u32_e32 vcc_lo, 0, v2
	s_delay_alu instid0(VALU_DEP_3) | instskip(SKIP_1) | instid1(VALU_DEP_2)
	v_dual_cndmask_b32 v2, v2, v8 :: v_dual_and_b32 v9, 3, v9
	v_lshlrev_b32_e32 v3, 24, v3
	v_lshl_add_u32 v2, v2, 23, 0x37800000
	s_delay_alu instid0(VALU_DEP_2) | instskip(NEXT) | instid1(VALU_DEP_1)
	v_dual_cndmask_b32 v6, v6, v9 :: v_dual_and_b32 v3, 0x80000000, v3
	v_lshlrev_b32_e32 v6, 21, v6
	s_delay_alu instid0(VALU_DEP_1) | instskip(NEXT) | instid1(VALU_DEP_1)
	v_or3_b32 v2, v3, v2, v6
	v_trunc_f32_e32 v2, v2
	s_delay_alu instid0(VALU_DEP_1) | instskip(NEXT) | instid1(VALU_DEP_1)
	v_mul_f32_e64 v3, 0x2f800000, |v2|
	v_floor_f32_e32 v3, v3
	s_delay_alu instid0(VALU_DEP_1) | instskip(SKIP_1) | instid1(VALU_DEP_2)
	v_fma_f32 v3, 0xcf800000, v3, |v2|
	v_ashrrev_i32_e32 v2, 31, v2
	v_cvt_u32_f32_e32 v3, v3
	s_delay_alu instid0(VALU_DEP_1) | instskip(NEXT) | instid1(VALU_DEP_1)
	v_xor_b32_e32 v3, v3, v2
	v_sub_nc_u32_e32 v2, v3, v2
.LBB174_1338:
	s_or_b32 exec_lo, exec_lo, s20
	s_mov_b32 s20, 0
	s_branch .LBB174_1344
.LBB174_1339:
	s_mov_b32 s21, -1
                                        ; implicit-def: $vgpr2
	s_branch .LBB174_1350
.LBB174_1340:
	s_or_saveexec_b32 s20, s20
	v_mov_b32_e32 v2, s23
	s_xor_b32 exec_lo, exec_lo, s20
	s_cbranch_execz .LBB174_1326
.LBB174_1341:
	v_cmp_ne_u16_e32 vcc_lo, 0, v3
	v_mov_b32_e32 v2, 0
	s_and_not1_b32 s22, s22, exec_lo
	s_and_b32 s23, vcc_lo, exec_lo
	s_delay_alu instid0(SALU_CYCLE_1)
	s_or_b32 s22, s22, s23
	s_or_b32 exec_lo, exec_lo, s20
	s_and_saveexec_b32 s20, s22
	s_cbranch_execnz .LBB174_1327
	s_branch .LBB174_1328
.LBB174_1342:
	s_mov_b32 s20, -1
                                        ; implicit-def: $vgpr2
	s_branch .LBB174_1347
.LBB174_1343:
	s_mov_b32 s20, -1
                                        ; implicit-def: $vgpr2
.LBB174_1344:
	s_delay_alu instid0(SALU_CYCLE_1)
	s_and_b32 vcc_lo, exec_lo, s20
	s_cbranch_vccz .LBB174_1346
; %bb.1345:
	global_load_u8 v2, v[0:1], off
	s_waitcnt vmcnt(0)
	v_lshlrev_b32_e32 v2, 24, v2
	s_delay_alu instid0(VALU_DEP_1) | instskip(NEXT) | instid1(VALU_DEP_1)
	v_and_b32_e32 v3, 0x7f000000, v2
	v_clz_i32_u32_e32 v6, v3
	v_cmp_ne_u32_e32 vcc_lo, 0, v3
	v_add_nc_u32_e32 v9, 0x1000000, v3
	s_delay_alu instid0(VALU_DEP_3) | instskip(NEXT) | instid1(VALU_DEP_1)
	v_min_u32_e32 v6, 32, v6
	v_sub_nc_u32_e64 v6, v6, 4 clamp
	s_delay_alu instid0(VALU_DEP_1) | instskip(SKIP_1) | instid1(VALU_DEP_2)
	v_lshlrev_b32_e32 v8, v6, v3
	v_lshlrev_b32_e32 v6, 23, v6
	v_lshrrev_b32_e32 v8, 4, v8
	s_delay_alu instid0(VALU_DEP_1) | instskip(SKIP_1) | instid1(VALU_DEP_2)
	v_sub_nc_u32_e32 v6, v8, v6
	v_ashrrev_i32_e32 v8, 8, v9
	v_add_nc_u32_e32 v6, 0x3c000000, v6
	s_delay_alu instid0(VALU_DEP_1) | instskip(NEXT) | instid1(VALU_DEP_1)
	v_and_or_b32 v6, 0x7f800000, v8, v6
	v_cndmask_b32_e32 v3, 0, v6, vcc_lo
	s_delay_alu instid0(VALU_DEP_1) | instskip(NEXT) | instid1(VALU_DEP_1)
	v_and_or_b32 v2, 0x80000000, v2, v3
	v_trunc_f32_e32 v2, v2
	s_delay_alu instid0(VALU_DEP_1) | instskip(NEXT) | instid1(VALU_DEP_1)
	v_mul_f32_e64 v3, 0x2f800000, |v2|
	v_floor_f32_e32 v3, v3
	s_delay_alu instid0(VALU_DEP_1) | instskip(SKIP_1) | instid1(VALU_DEP_2)
	v_fma_f32 v3, 0xcf800000, v3, |v2|
	v_ashrrev_i32_e32 v2, 31, v2
	v_cvt_u32_f32_e32 v3, v3
	s_delay_alu instid0(VALU_DEP_1) | instskip(NEXT) | instid1(VALU_DEP_1)
	v_xor_b32_e32 v3, v3, v2
	v_sub_nc_u32_e32 v2, v3, v2
.LBB174_1346:
	s_mov_b32 s20, 0
.LBB174_1347:
	s_delay_alu instid0(SALU_CYCLE_1)
	s_and_not1_b32 vcc_lo, exec_lo, s20
	s_cbranch_vccnz .LBB174_1349
; %bb.1348:
	global_load_u8 v2, v[0:1], off
	s_waitcnt vmcnt(0)
	v_lshlrev_b32_e32 v3, 25, v2
	v_lshlrev_b16 v2, 8, v2
	s_delay_alu instid0(VALU_DEP_1) | instskip(SKIP_1) | instid1(VALU_DEP_2)
	v_and_or_b32 v8, 0x7f00, v2, 0.5
	v_bfe_i32 v2, v2, 0, 16
	v_add_f32_e32 v8, -0.5, v8
	v_lshrrev_b32_e32 v6, 4, v3
	v_cmp_gt_u32_e32 vcc_lo, 0x8000000, v3
	s_delay_alu instid0(VALU_DEP_2) | instskip(NEXT) | instid1(VALU_DEP_1)
	v_or_b32_e32 v6, 0x70000000, v6
	v_mul_f32_e32 v6, 0x7800000, v6
	s_delay_alu instid0(VALU_DEP_1) | instskip(NEXT) | instid1(VALU_DEP_1)
	v_cndmask_b32_e32 v3, v6, v8, vcc_lo
	v_and_or_b32 v2, 0x80000000, v2, v3
	s_delay_alu instid0(VALU_DEP_1) | instskip(NEXT) | instid1(VALU_DEP_1)
	v_trunc_f32_e32 v2, v2
	v_mul_f32_e64 v3, 0x2f800000, |v2|
	s_delay_alu instid0(VALU_DEP_1) | instskip(NEXT) | instid1(VALU_DEP_1)
	v_floor_f32_e32 v3, v3
	v_fma_f32 v3, 0xcf800000, v3, |v2|
	v_ashrrev_i32_e32 v2, 31, v2
	s_delay_alu instid0(VALU_DEP_2) | instskip(NEXT) | instid1(VALU_DEP_1)
	v_cvt_u32_f32_e32 v3, v3
	v_xor_b32_e32 v3, v3, v2
	s_delay_alu instid0(VALU_DEP_1)
	v_sub_nc_u32_e32 v2, v3, v2
.LBB174_1349:
	s_mov_b32 s21, 0
	s_mov_b32 s20, -1
.LBB174_1350:
	s_and_not1_b32 vcc_lo, exec_lo, s21
	s_mov_b32 s21, 0
	s_cbranch_vccnz .LBB174_1361
; %bb.1351:
	v_cmp_lt_i16_e32 vcc_lo, 14, v5
	s_cbranch_vccz .LBB174_1354
; %bb.1352:
	v_cmp_eq_u16_e32 vcc_lo, 15, v5
	s_cbranch_vccz .LBB174_1357
; %bb.1353:
	global_load_u16 v2, v[0:1], off
	s_mov_b32 s0, 0
	s_mov_b32 s20, -1
	s_waitcnt vmcnt(0)
	v_lshlrev_b32_e32 v2, 16, v2
	s_delay_alu instid0(VALU_DEP_1) | instskip(NEXT) | instid1(VALU_DEP_1)
	v_trunc_f32_e32 v2, v2
	v_mul_f32_e64 v3, 0x2f800000, |v2|
	s_delay_alu instid0(VALU_DEP_1) | instskip(NEXT) | instid1(VALU_DEP_1)
	v_floor_f32_e32 v3, v3
	v_fma_f32 v3, 0xcf800000, v3, |v2|
	v_ashrrev_i32_e32 v2, 31, v2
	s_delay_alu instid0(VALU_DEP_2) | instskip(NEXT) | instid1(VALU_DEP_1)
	v_cvt_u32_f32_e32 v3, v3
	v_xor_b32_e32 v3, v3, v2
	s_delay_alu instid0(VALU_DEP_1)
	v_sub_nc_u32_e32 v2, v3, v2
	s_branch .LBB174_1359
.LBB174_1354:
	s_mov_b32 s21, -1
	s_branch .LBB174_1358
.LBB174_1355:
	s_or_saveexec_b32 s20, s20
	v_mov_b32_e32 v2, s22
	s_xor_b32 exec_lo, exec_lo, s20
	s_cbranch_execz .LBB174_1336
.LBB174_1356:
	v_cmp_ne_u16_e32 vcc_lo, 0, v3
	v_mov_b32_e32 v2, 0
	s_and_not1_b32 s21, s21, exec_lo
	s_and_b32 s22, vcc_lo, exec_lo
	s_delay_alu instid0(SALU_CYCLE_1)
	s_or_b32 s21, s21, s22
	s_or_b32 exec_lo, exec_lo, s20
	s_and_saveexec_b32 s20, s21
	s_cbranch_execnz .LBB174_1337
	s_branch .LBB174_1338
.LBB174_1357:
	s_mov_b32 s0, -1
.LBB174_1358:
                                        ; implicit-def: $vgpr2
.LBB174_1359:
	s_and_b32 vcc_lo, exec_lo, s21
	s_mov_b32 s21, 0
	s_cbranch_vccz .LBB174_1361
; %bb.1360:
	v_cmp_ne_u16_e32 vcc_lo, 11, v5
	s_and_not1_b32 s0, s0, exec_lo
	s_mov_b32 s21, -1
                                        ; implicit-def: $vgpr2
	s_and_b32 s22, vcc_lo, exec_lo
	s_delay_alu instid0(SALU_CYCLE_1)
	s_or_b32 s0, s0, s22
.LBB174_1361:
	s_mov_b32 s22, 0
.LBB174_1362:
	s_and_not1_b32 s18, s18, exec_lo
	s_and_b32 s0, s0, exec_lo
	s_and_b32 s20, s20, exec_lo
	;; [unrolled: 1-line block ×4, first 2 shown]
	s_or_b32 s18, s18, s0
.LBB174_1363:
	s_or_b32 exec_lo, exec_lo, s19
	s_and_saveexec_b32 s0, s18
	s_cbranch_execnz .LBB174_1375
; %bb.1364:
	s_or_b32 exec_lo, exec_lo, s0
	s_and_saveexec_b32 s0, s21
	s_delay_alu instid0(SALU_CYCLE_1)
	s_xor_b32 s0, exec_lo, s0
	s_cbranch_execz .LBB174_1366
.LBB174_1365:
	global_load_u8 v2, v[0:1], off
	s_or_b32 s20, s20, exec_lo
	s_waitcnt vmcnt(0)
	v_cmp_ne_u16_e32 vcc_lo, 0, v2
	v_cndmask_b32_e64 v2, 0, 1, vcc_lo
.LBB174_1366:
	s_or_b32 exec_lo, exec_lo, s0
	s_and_saveexec_b32 s0, s22
	s_cbranch_execz .LBB174_1414
; %bb.1367:
	v_cmp_gt_i16_e32 vcc_lo, 5, v5
	s_cbranch_vccnz .LBB174_1372
; %bb.1368:
	v_cmp_gt_i16_e32 vcc_lo, 8, v5
	s_cbranch_vccnz .LBB174_1373
	;; [unrolled: 3-line block ×3, first 2 shown]
; %bb.1370:
	v_cmp_lt_i16_e32 vcc_lo, 9, v5
	s_cbranch_vccz .LBB174_1377
; %bb.1371:
	global_load_b64 v[2:3], v[0:1], off
	s_mov_b32 s18, 0
	s_waitcnt vmcnt(0)
	v_trunc_f64_e32 v[2:3], v[2:3]
	s_delay_alu instid0(VALU_DEP_1) | instskip(NEXT) | instid1(VALU_DEP_1)
	v_ldexp_f64 v[8:9], v[2:3], 0xffffffe0
	v_floor_f64_e32 v[8:9], v[8:9]
	s_delay_alu instid0(VALU_DEP_1) | instskip(NEXT) | instid1(VALU_DEP_1)
	v_fma_f64 v[2:3], 0xc1f00000, v[8:9], v[2:3]
	v_cvt_u32_f64_e32 v2, v[2:3]
	s_branch .LBB174_1378
.LBB174_1372:
                                        ; implicit-def: $vgpr2
	s_branch .LBB174_1395
.LBB174_1373:
                                        ; implicit-def: $vgpr2
	s_branch .LBB174_1384
.LBB174_1374:
	s_mov_b32 s18, -1
                                        ; implicit-def: $vgpr2
	s_branch .LBB174_1381
.LBB174_1375:
	s_cbranch_execnz .LBB174_1423
; %bb.1376:
	s_or_b32 s17, s17, exec_lo
	s_and_not1_b32 s21, s21, exec_lo
                                        ; implicit-def: $vgpr2
	s_or_b32 exec_lo, exec_lo, s0
	s_and_saveexec_b32 s0, s21
	s_delay_alu instid0(SALU_CYCLE_1)
	s_xor_b32 s0, exec_lo, s0
	s_cbranch_execnz .LBB174_1365
	s_branch .LBB174_1366
.LBB174_1377:
	s_mov_b32 s18, -1
                                        ; implicit-def: $vgpr2
.LBB174_1378:
	s_delay_alu instid0(SALU_CYCLE_1)
	s_and_not1_b32 vcc_lo, exec_lo, s18
	s_cbranch_vccnz .LBB174_1380
; %bb.1379:
	global_load_b32 v2, v[0:1], off
	s_waitcnt vmcnt(0)
	v_trunc_f32_e32 v2, v2
	s_delay_alu instid0(VALU_DEP_1) | instskip(NEXT) | instid1(VALU_DEP_1)
	v_mul_f32_e64 v3, 0x2f800000, |v2|
	v_floor_f32_e32 v3, v3
	s_delay_alu instid0(VALU_DEP_1) | instskip(SKIP_1) | instid1(VALU_DEP_2)
	v_fma_f32 v3, 0xcf800000, v3, |v2|
	v_ashrrev_i32_e32 v2, 31, v2
	v_cvt_u32_f32_e32 v3, v3
	s_delay_alu instid0(VALU_DEP_1) | instskip(NEXT) | instid1(VALU_DEP_1)
	v_xor_b32_e32 v3, v3, v2
	v_sub_nc_u32_e32 v2, v3, v2
.LBB174_1380:
	s_mov_b32 s18, 0
.LBB174_1381:
	s_delay_alu instid0(SALU_CYCLE_1)
	s_and_not1_b32 vcc_lo, exec_lo, s18
	s_cbranch_vccnz .LBB174_1383
; %bb.1382:
	global_load_b32 v2, v[0:1], off
	s_waitcnt vmcnt(0)
	v_cvt_f32_f16_e32 v2, v2
	s_delay_alu instid0(VALU_DEP_1)
	v_cvt_i32_f32_e32 v2, v2
.LBB174_1383:
	s_cbranch_execnz .LBB174_1394
.LBB174_1384:
	v_cmp_gt_i16_e32 vcc_lo, 6, v5
	s_cbranch_vccnz .LBB174_1387
; %bb.1385:
	v_cmp_lt_i16_e32 vcc_lo, 6, v5
	s_cbranch_vccz .LBB174_1388
; %bb.1386:
	global_load_b64 v[2:3], v[0:1], off
	s_mov_b32 s18, 0
	s_waitcnt vmcnt(0)
	v_trunc_f64_e32 v[2:3], v[2:3]
	s_delay_alu instid0(VALU_DEP_1) | instskip(NEXT) | instid1(VALU_DEP_1)
	v_ldexp_f64 v[8:9], v[2:3], 0xffffffe0
	v_floor_f64_e32 v[8:9], v[8:9]
	s_delay_alu instid0(VALU_DEP_1) | instskip(NEXT) | instid1(VALU_DEP_1)
	v_fma_f64 v[2:3], 0xc1f00000, v[8:9], v[2:3]
	v_cvt_u32_f64_e32 v2, v[2:3]
	s_branch .LBB174_1389
.LBB174_1387:
	s_mov_b32 s18, -1
                                        ; implicit-def: $vgpr2
	s_branch .LBB174_1392
.LBB174_1388:
	s_mov_b32 s18, -1
                                        ; implicit-def: $vgpr2
.LBB174_1389:
	s_delay_alu instid0(SALU_CYCLE_1)
	s_and_not1_b32 vcc_lo, exec_lo, s18
	s_cbranch_vccnz .LBB174_1391
; %bb.1390:
	global_load_b32 v2, v[0:1], off
	s_waitcnt vmcnt(0)
	v_trunc_f32_e32 v2, v2
	s_delay_alu instid0(VALU_DEP_1) | instskip(NEXT) | instid1(VALU_DEP_1)
	v_mul_f32_e64 v3, 0x2f800000, |v2|
	v_floor_f32_e32 v3, v3
	s_delay_alu instid0(VALU_DEP_1) | instskip(SKIP_1) | instid1(VALU_DEP_2)
	v_fma_f32 v3, 0xcf800000, v3, |v2|
	v_ashrrev_i32_e32 v2, 31, v2
	v_cvt_u32_f32_e32 v3, v3
	s_delay_alu instid0(VALU_DEP_1) | instskip(NEXT) | instid1(VALU_DEP_1)
	v_xor_b32_e32 v3, v3, v2
	v_sub_nc_u32_e32 v2, v3, v2
.LBB174_1391:
	s_mov_b32 s18, 0
.LBB174_1392:
	s_delay_alu instid0(SALU_CYCLE_1)
	s_and_not1_b32 vcc_lo, exec_lo, s18
	s_cbranch_vccnz .LBB174_1394
; %bb.1393:
	global_load_u16 v2, v[0:1], off
	s_waitcnt vmcnt(0)
	v_cvt_f32_f16_e32 v2, v2
	s_delay_alu instid0(VALU_DEP_1)
	v_cvt_i32_f32_e32 v2, v2
.LBB174_1394:
	s_cbranch_execnz .LBB174_1413
.LBB174_1395:
	v_cmp_gt_i16_e32 vcc_lo, 2, v5
	s_cbranch_vccnz .LBB174_1399
; %bb.1396:
	v_cmp_gt_i16_e32 vcc_lo, 3, v5
	s_cbranch_vccnz .LBB174_1400
; %bb.1397:
	v_cmp_lt_i16_e32 vcc_lo, 3, v5
	s_cbranch_vccz .LBB174_1401
; %bb.1398:
	global_load_b64 v[2:3], v[0:1], off
	s_mov_b32 s18, 0
	s_branch .LBB174_1402
.LBB174_1399:
                                        ; implicit-def: $vgpr2
	s_branch .LBB174_1408
.LBB174_1400:
	s_mov_b32 s18, -1
                                        ; implicit-def: $vgpr2
	s_branch .LBB174_1405
.LBB174_1401:
	s_mov_b32 s18, -1
                                        ; implicit-def: $vgpr2
.LBB174_1402:
	s_delay_alu instid0(SALU_CYCLE_1)
	s_and_not1_b32 vcc_lo, exec_lo, s18
	s_cbranch_vccnz .LBB174_1404
; %bb.1403:
	global_load_b32 v2, v[0:1], off
.LBB174_1404:
	s_mov_b32 s18, 0
.LBB174_1405:
	s_delay_alu instid0(SALU_CYCLE_1)
	s_and_not1_b32 vcc_lo, exec_lo, s18
	s_cbranch_vccnz .LBB174_1407
; %bb.1406:
	global_load_u16 v2, v[0:1], off
.LBB174_1407:
	s_cbranch_execnz .LBB174_1413
.LBB174_1408:
	v_cmp_lt_i16_e32 vcc_lo, 0, v5
	s_mov_b32 s18, 0
	s_cbranch_vccz .LBB174_1410
; %bb.1409:
	global_load_u8 v2, v[0:1], off
	s_branch .LBB174_1411
.LBB174_1410:
	s_mov_b32 s18, -1
                                        ; implicit-def: $vgpr2
.LBB174_1411:
	s_delay_alu instid0(SALU_CYCLE_1)
	s_and_not1_b32 vcc_lo, exec_lo, s18
	s_cbranch_vccnz .LBB174_1413
; %bb.1412:
	global_load_u8 v2, v[0:1], off
.LBB174_1413:
	s_or_b32 s20, s20, exec_lo
.LBB174_1414:
	s_or_b32 exec_lo, exec_lo, s0
	s_mov_b32 s0, 0
	s_mov_b32 s19, 0
                                        ; implicit-def: $vgpr3
                                        ; implicit-def: $vgpr0_vgpr1
                                        ; implicit-def: $vgpr5
	s_and_saveexec_b32 s18, s20
	s_cbranch_execz .LBB174_1494
; %bb.1415:
	s_waitcnt vmcnt(0)
	s_delay_alu instid0(VALU_DEP_1) | instskip(SKIP_2) | instid1(VALU_DEP_2)
	v_cvt_f32_ubyte0_e32 v0, v2
	v_lshlrev_b32_e32 v1, 16, v4
	v_and_b32_e64 v3, 0xff, s12
	v_mul_f32_e32 v0, v1, v0
	v_mul_lo_u32 v1, v7, s8
	s_delay_alu instid0(VALU_DEP_3) | instskip(NEXT) | instid1(VALU_DEP_3)
	v_cmp_gt_i16_e32 vcc_lo, 11, v3
	v_mul_f32_e32 v2, s11, v0
	s_and_b32 vcc_lo, exec_lo, vcc_lo
	s_delay_alu instid0(VALU_DEP_3) | instskip(NEXT) | instid1(VALU_DEP_2)
	v_ashrrev_i32_e32 v4, 31, v1
	v_bfe_u32 v0, v2, 16, 1
	s_delay_alu instid0(VALU_DEP_1) | instskip(NEXT) | instid1(VALU_DEP_1)
	v_add3_u32 v0, v2, v0, 0x7fff
	v_lshrrev_b32_e32 v5, 16, v0
	v_add_co_u32 v0, s0, s4, v1
	s_delay_alu instid0(VALU_DEP_1) | instskip(SKIP_1) | instid1(VALU_DEP_1)
	v_add_co_ci_u32_e64 v1, s0, s5, v4, s0
	v_cmp_o_f32_e64 s0, v2, v2
	v_cndmask_b32_e64 v5, 0x7fc0, v5, s0
	s_cbranch_vccnz .LBB174_1422
; %bb.1416:
	v_cmp_lt_i16_e32 vcc_lo, 25, v3
	s_mov_b32 s19, -1
	s_mov_b32 s0, s16
	s_cbranch_vccz .LBB174_1452
; %bb.1417:
	v_cmp_lt_i16_e32 vcc_lo, 28, v3
	s_mov_b32 s0, s16
	s_cbranch_vccz .LBB174_1436
; %bb.1418:
	v_cmp_lt_i16_e32 vcc_lo, 43, v3
	;; [unrolled: 4-line block ×3, first 2 shown]
	s_mov_b32 s0, s16
	s_cbranch_vccz .LBB174_1426
; %bb.1420:
	v_cmp_eq_u16_e32 vcc_lo, 46, v3
	s_mov_b32 s0, -1
	s_cbranch_vccz .LBB174_1425
; %bb.1421:
	v_and_b32_e32 v2, 0xffff, v5
	s_mov_b32 s0, 0
	s_mov_b32 s19, 0
	global_store_b32 v[0:1], v2, off
	s_branch .LBB174_1426
.LBB174_1422:
	s_mov_b32 s20, 0
	s_mov_b32 s19, -1
	s_mov_b32 s0, s16
	s_branch .LBB174_1493
.LBB174_1423:
	s_trap 2
	s_sendmsg_rtn_b32 s0, sendmsg(MSG_RTN_GET_DOORBELL)
	s_mov_b32 ttmp2, m0
	s_waitcnt lgkmcnt(0)
	s_and_b32 s0, s0, 0x3ff
	s_delay_alu instid0(SALU_CYCLE_1) | instskip(NEXT) | instid1(SALU_CYCLE_1)
	s_bitset1_b32 s0, 10
	s_mov_b32 m0, s0
	s_sendmsg sendmsg(MSG_INTERRUPT)
	s_mov_b32 m0, ttmp2
.LBB174_1424:                           ; =>This Inner Loop Header: Depth=1
	s_sethalt 5
	s_branch .LBB174_1424
.LBB174_1425:
	s_mov_b32 s19, 0
.LBB174_1426:
	s_delay_alu instid0(SALU_CYCLE_1)
	s_and_b32 vcc_lo, exec_lo, s19
	s_cbranch_vccz .LBB174_1431
; %bb.1427:
	v_cmp_eq_u16_e32 vcc_lo, 44, v3
	s_mov_b32 s0, -1
	s_cbranch_vccz .LBB174_1431
; %bb.1428:
	v_and_b32_e32 v2, 0xffff, v5
	v_mov_b32_e32 v4, 0xff
	s_mov_b32 s19, exec_lo
	s_delay_alu instid0(VALU_DEP_2) | instskip(NEXT) | instid1(VALU_DEP_1)
	v_bfe_u32 v6, v2, 7, 8
	v_cmpx_ne_u32_e32 0xff, v6
; %bb.1429:
	v_lshlrev_b32_e32 v4, 16, v2
	v_and_b32_e32 v7, 64, v2
	v_lshrrev_b32_e32 v2, 7, v2
	s_delay_alu instid0(VALU_DEP_3) | instskip(NEXT) | instid1(VALU_DEP_3)
	v_and_or_b32 v4, 0x3f0000, v4, v6
	v_cmp_ne_u32_e32 vcc_lo, 0, v7
	s_delay_alu instid0(VALU_DEP_2) | instskip(NEXT) | instid1(VALU_DEP_1)
	v_cmp_ne_u32_e64 s0, 0, v4
	s_and_b32 s0, vcc_lo, s0
	s_delay_alu instid0(SALU_CYCLE_1) | instskip(NEXT) | instid1(VALU_DEP_1)
	v_cndmask_b32_e64 v4, 0, 1, s0
	v_add_nc_u32_e32 v4, v2, v4
; %bb.1430:
	s_or_b32 exec_lo, exec_lo, s19
	s_mov_b32 s0, 0
	global_store_b8 v[0:1], v4, off
.LBB174_1431:
	s_mov_b32 s19, 0
.LBB174_1432:
	s_delay_alu instid0(SALU_CYCLE_1)
	s_and_b32 vcc_lo, exec_lo, s19
	s_cbranch_vccz .LBB174_1435
; %bb.1433:
	v_cmp_eq_u16_e32 vcc_lo, 29, v3
	s_mov_b32 s0, -1
	s_cbranch_vccz .LBB174_1435
; %bb.1434:
	v_lshlrev_b32_e32 v2, 16, v5
	s_mov_b32 s0, 0
	s_mov_b32 s19, 0
	s_delay_alu instid0(VALU_DEP_1) | instskip(NEXT) | instid1(VALU_DEP_1)
	v_trunc_f32_e32 v2, v2
	v_mul_f32_e32 v4, 0x2f800000, v2
	s_delay_alu instid0(VALU_DEP_1) | instskip(NEXT) | instid1(VALU_DEP_1)
	v_floor_f32_e32 v4, v4
	v_fmamk_f32 v2, v4, 0xcf800000, v2
	v_cvt_u32_f32_e32 v7, v4
	s_delay_alu instid0(VALU_DEP_2)
	v_cvt_u32_f32_e32 v6, v2
	global_store_b64 v[0:1], v[6:7], off
	s_branch .LBB174_1436
.LBB174_1435:
	s_mov_b32 s19, 0
.LBB174_1436:
	s_delay_alu instid0(SALU_CYCLE_1)
	s_and_b32 vcc_lo, exec_lo, s19
	s_cbranch_vccz .LBB174_1451
; %bb.1437:
	v_cmp_gt_i16_e32 vcc_lo, 27, v3
	s_mov_b32 s19, -1
	s_cbranch_vccnz .LBB174_1443
; %bb.1438:
	v_cmp_lt_i16_e32 vcc_lo, 27, v3
	s_cbranch_vccz .LBB174_1440
; %bb.1439:
	v_lshlrev_b32_e32 v2, 16, v5
	s_mov_b32 s19, 0
	s_delay_alu instid0(VALU_DEP_1)
	v_cvt_u32_f32_e32 v2, v2
	global_store_b32 v[0:1], v2, off
.LBB174_1440:
	s_and_not1_b32 vcc_lo, exec_lo, s19
	s_cbranch_vccnz .LBB174_1442
; %bb.1441:
	v_lshlrev_b32_e32 v2, 16, v5
	s_delay_alu instid0(VALU_DEP_1)
	v_cvt_u32_f32_e32 v2, v2
	global_store_b16 v[0:1], v2, off
.LBB174_1442:
	s_mov_b32 s19, 0
.LBB174_1443:
	s_delay_alu instid0(SALU_CYCLE_1)
	s_and_not1_b32 vcc_lo, exec_lo, s19
	s_cbranch_vccnz .LBB174_1451
; %bb.1444:
	v_dual_mov_b32 v7, 0x80 :: v_dual_lshlrev_b32 v6, 16, v5
	s_mov_b32 s19, exec_lo
	s_delay_alu instid0(VALU_DEP_1) | instskip(NEXT) | instid1(VALU_DEP_1)
	v_and_b32_e32 v4, 0x7fffffff, v6
	v_cmpx_gt_u32_e32 0x43800000, v4
	s_cbranch_execz .LBB174_1450
; %bb.1445:
	v_and_b32_e32 v2, 0xffff, v5
	v_cmp_lt_u32_e32 vcc_lo, 0x3bffffff, v4
	s_mov_b32 s20, 0
                                        ; implicit-def: $vgpr4
	s_and_saveexec_b32 s21, vcc_lo
	s_delay_alu instid0(SALU_CYCLE_1)
	s_xor_b32 s21, exec_lo, s21
	s_cbranch_execz .LBB174_1686
; %bb.1446:
	v_bfe_u32 v4, v2, 4, 1
	s_mov_b32 s20, exec_lo
	s_delay_alu instid0(VALU_DEP_1) | instskip(NEXT) | instid1(VALU_DEP_1)
	v_add3_u32 v4, v6, v4, 0x487ffff
                                        ; implicit-def: $vgpr6
	v_lshrrev_b32_e32 v4, 20, v4
	s_or_saveexec_b32 s21, s21
                                        ; implicit-def: $sgpr22
	s_delay_alu instid0(SALU_CYCLE_1)
	s_xor_b32 exec_lo, exec_lo, s21
	s_cbranch_execnz .LBB174_1687
.LBB174_1447:
	s_or_b32 exec_lo, exec_lo, s21
	v_mov_b32_e32 v7, s22
	s_and_saveexec_b32 s21, s20
.LBB174_1448:
	v_lshrrev_b32_e32 v2, 8, v2
	s_delay_alu instid0(VALU_DEP_1)
	v_and_or_b32 v7, 0x80, v2, v4
.LBB174_1449:
	s_or_b32 exec_lo, exec_lo, s21
.LBB174_1450:
	s_delay_alu instid0(SALU_CYCLE_1)
	s_or_b32 exec_lo, exec_lo, s19
	global_store_b8 v[0:1], v7, off
.LBB174_1451:
	s_mov_b32 s19, 0
.LBB174_1452:
	s_delay_alu instid0(SALU_CYCLE_1)
	s_and_b32 vcc_lo, exec_lo, s19
	s_mov_b32 s19, 0
	s_cbranch_vccz .LBB174_1492
; %bb.1453:
	v_cmp_lt_i16_e32 vcc_lo, 22, v3
	s_mov_b32 s20, -1
	s_cbranch_vccz .LBB174_1485
; %bb.1454:
	v_cmp_gt_i16_e32 vcc_lo, 24, v3
	s_cbranch_vccnz .LBB174_1474
; %bb.1455:
	v_cmp_lt_i16_e32 vcc_lo, 24, v3
	s_cbranch_vccz .LBB174_1463
; %bb.1456:
	v_dual_mov_b32 v7, 0x80 :: v_dual_lshlrev_b32 v6, 16, v5
	s_mov_b32 s20, exec_lo
	s_delay_alu instid0(VALU_DEP_1) | instskip(NEXT) | instid1(VALU_DEP_1)
	v_and_b32_e32 v4, 0x7fffffff, v6
	v_cmpx_gt_u32_e32 0x47800000, v4
	s_cbranch_execz .LBB174_1462
; %bb.1457:
	v_and_b32_e32 v2, 0xffff, v5
	v_cmp_lt_u32_e32 vcc_lo, 0x37ffffff, v4
	s_mov_b32 s21, 0
                                        ; implicit-def: $vgpr4
	s_and_saveexec_b32 s22, vcc_lo
	s_delay_alu instid0(SALU_CYCLE_1)
	s_xor_b32 s22, exec_lo, s22
	s_cbranch_execz .LBB174_1814
; %bb.1458:
	v_bfe_u32 v4, v2, 5, 1
	s_mov_b32 s21, exec_lo
	s_delay_alu instid0(VALU_DEP_1) | instskip(NEXT) | instid1(VALU_DEP_1)
	v_add3_u32 v4, v6, v4, 0x88fffff
                                        ; implicit-def: $vgpr6
	v_lshrrev_b32_e32 v4, 21, v4
	s_or_saveexec_b32 s22, s22
                                        ; implicit-def: $sgpr23
	s_delay_alu instid0(SALU_CYCLE_1)
	s_xor_b32 exec_lo, exec_lo, s22
	s_cbranch_execnz .LBB174_1815
.LBB174_1459:
	s_or_b32 exec_lo, exec_lo, s22
	v_mov_b32_e32 v7, s23
	s_and_saveexec_b32 s22, s21
.LBB174_1460:
	v_lshrrev_b32_e32 v2, 8, v2
	s_delay_alu instid0(VALU_DEP_1)
	v_and_or_b32 v7, 0x80, v2, v4
.LBB174_1461:
	s_or_b32 exec_lo, exec_lo, s22
.LBB174_1462:
	s_delay_alu instid0(SALU_CYCLE_1)
	s_or_b32 exec_lo, exec_lo, s20
	s_mov_b32 s20, 0
	global_store_b8 v[0:1], v7, off
.LBB174_1463:
	s_and_b32 vcc_lo, exec_lo, s20
	s_cbranch_vccz .LBB174_1473
; %bb.1464:
	v_lshlrev_b32_e32 v6, 16, v5
	v_and_b32_e32 v2, 0xffff, v5
	s_mov_b32 s20, exec_lo
                                        ; implicit-def: $vgpr4
	s_delay_alu instid0(VALU_DEP_2) | instskip(NEXT) | instid1(VALU_DEP_1)
	v_and_b32_e32 v7, 0x7fffffff, v6
	v_cmpx_gt_u32_e32 0x43f00000, v7
	s_xor_b32 s20, exec_lo, s20
	s_cbranch_execz .LBB174_1470
; %bb.1465:
	s_mov_b32 s21, exec_lo
                                        ; implicit-def: $vgpr4
	v_cmpx_lt_u32_e32 0x3c7fffff, v7
	s_xor_b32 s21, exec_lo, s21
; %bb.1466:
	v_bfe_u32 v4, v2, 4, 1
	s_delay_alu instid0(VALU_DEP_1) | instskip(NEXT) | instid1(VALU_DEP_1)
	v_add3_u32 v4, v6, v4, 0x407ffff
	v_and_b32_e32 v6, 0xff00000, v4
	v_lshrrev_b32_e32 v4, 20, v4
	s_delay_alu instid0(VALU_DEP_2) | instskip(NEXT) | instid1(VALU_DEP_2)
	v_cmp_ne_u32_e32 vcc_lo, 0x7f00000, v6
                                        ; implicit-def: $vgpr6
	v_cndmask_b32_e32 v4, 0x7e, v4, vcc_lo
; %bb.1467:
	s_and_not1_saveexec_b32 s21, s21
; %bb.1468:
	v_add_f32_e64 v4, 0x46800000, |v6|
; %bb.1469:
	s_or_b32 exec_lo, exec_lo, s21
                                        ; implicit-def: $vgpr7
.LBB174_1470:
	s_and_not1_saveexec_b32 s20, s20
; %bb.1471:
	v_mov_b32_e32 v4, 0x7f
	v_cmp_lt_u32_e32 vcc_lo, 0x7f800000, v7
	s_delay_alu instid0(VALU_DEP_2)
	v_cndmask_b32_e32 v4, 0x7e, v4, vcc_lo
; %bb.1472:
	s_or_b32 exec_lo, exec_lo, s20
	v_lshrrev_b32_e32 v2, 8, v2
	s_delay_alu instid0(VALU_DEP_1)
	v_and_or_b32 v2, 0x80, v2, v4
	global_store_b8 v[0:1], v2, off
.LBB174_1473:
	s_mov_b32 s20, 0
.LBB174_1474:
	s_delay_alu instid0(SALU_CYCLE_1)
	s_and_not1_b32 vcc_lo, exec_lo, s20
	s_cbranch_vccnz .LBB174_1484
; %bb.1475:
	v_lshlrev_b32_e32 v6, 16, v5
	v_and_b32_e32 v2, 0xffff, v5
	s_mov_b32 s20, exec_lo
                                        ; implicit-def: $vgpr4
	s_delay_alu instid0(VALU_DEP_2) | instskip(NEXT) | instid1(VALU_DEP_1)
	v_and_b32_e32 v7, 0x7fffffff, v6
	v_cmpx_gt_u32_e32 0x47800000, v7
	s_xor_b32 s20, exec_lo, s20
	s_cbranch_execz .LBB174_1481
; %bb.1476:
	s_mov_b32 s21, exec_lo
                                        ; implicit-def: $vgpr4
	v_cmpx_lt_u32_e32 0x387fffff, v7
	s_xor_b32 s21, exec_lo, s21
; %bb.1477:
	v_bfe_u32 v4, v2, 5, 1
	s_delay_alu instid0(VALU_DEP_1) | instskip(NEXT) | instid1(VALU_DEP_1)
	v_add3_u32 v4, v6, v4, 0x80fffff
                                        ; implicit-def: $vgpr6
	v_lshrrev_b32_e32 v4, 21, v4
; %bb.1478:
	s_and_not1_saveexec_b32 s21, s21
; %bb.1479:
	v_add_f32_e64 v4, 0x43000000, |v6|
; %bb.1480:
	s_or_b32 exec_lo, exec_lo, s21
                                        ; implicit-def: $vgpr7
.LBB174_1481:
	s_and_not1_saveexec_b32 s20, s20
; %bb.1482:
	v_mov_b32_e32 v4, 0x7f
	v_cmp_lt_u32_e32 vcc_lo, 0x7f800000, v7
	s_delay_alu instid0(VALU_DEP_2)
	v_cndmask_b32_e32 v4, 0x7c, v4, vcc_lo
; %bb.1483:
	s_or_b32 exec_lo, exec_lo, s20
	v_lshrrev_b32_e32 v2, 8, v2
	s_delay_alu instid0(VALU_DEP_1)
	v_and_or_b32 v2, 0x80, v2, v4
	global_store_b8 v[0:1], v2, off
.LBB174_1484:
	s_mov_b32 s20, 0
.LBB174_1485:
	s_delay_alu instid0(SALU_CYCLE_1)
	s_and_not1_b32 vcc_lo, exec_lo, s20
	s_mov_b32 s20, 0
	s_cbranch_vccnz .LBB174_1493
; %bb.1486:
	v_cmp_lt_i16_e32 vcc_lo, 14, v3
	s_mov_b32 s20, -1
	s_cbranch_vccz .LBB174_1490
; %bb.1487:
	v_cmp_eq_u16_e32 vcc_lo, 15, v3
	s_mov_b32 s0, -1
	s_cbranch_vccz .LBB174_1489
; %bb.1488:
	s_mov_b32 s0, 0
	global_store_b16 v[0:1], v5, off
.LBB174_1489:
	s_mov_b32 s20, 0
.LBB174_1490:
	s_delay_alu instid0(SALU_CYCLE_1)
	s_and_b32 vcc_lo, exec_lo, s20
	s_mov_b32 s20, 0
	s_cbranch_vccz .LBB174_1493
; %bb.1491:
	v_cmp_ne_u16_e32 vcc_lo, 11, v3
	s_and_not1_b32 s0, s0, exec_lo
	s_mov_b32 s20, -1
	s_and_b32 s21, vcc_lo, exec_lo
	s_delay_alu instid0(SALU_CYCLE_1)
	s_or_b32 s0, s0, s21
	s_branch .LBB174_1493
.LBB174_1492:
	s_mov_b32 s20, 0
.LBB174_1493:
	s_and_not1_b32 s16, s16, exec_lo
	s_and_b32 s21, s0, exec_lo
	s_and_b32 s19, s19, exec_lo
	;; [unrolled: 1-line block ×3, first 2 shown]
	s_or_b32 s16, s16, s21
.LBB174_1494:
	s_or_b32 exec_lo, exec_lo, s18
	s_and_saveexec_b32 s18, s16
	s_cbranch_execnz .LBB174_1556
; %bb.1495:
	s_or_b32 exec_lo, exec_lo, s18
	s_and_saveexec_b32 s16, s0
	s_delay_alu instid0(SALU_CYCLE_1)
	s_xor_b32 s0, exec_lo, s16
	s_cbranch_execz .LBB174_1497
.LBB174_1496:
	s_waitcnt vmcnt(0)
	v_and_b32_e32 v2, 0x7fff, v5
	s_delay_alu instid0(VALU_DEP_1)
	v_cmp_ne_u16_e32 vcc_lo, 0, v2
	v_cndmask_b32_e64 v2, 0, 1, vcc_lo
	global_store_b8 v[0:1], v2, off
.LBB174_1497:
	s_or_b32 exec_lo, exec_lo, s0
	s_and_saveexec_b32 s0, s19
	s_delay_alu instid0(SALU_CYCLE_1)
	s_xor_b32 s0, exec_lo, s0
	s_cbranch_execz .LBB174_1535
; %bb.1498:
	s_waitcnt vmcnt(0)
	v_cmp_gt_i16_e32 vcc_lo, 5, v3
	s_mov_b32 s16, -1
	s_cbranch_vccnz .LBB174_1519
; %bb.1499:
	v_cmp_gt_i16_e32 vcc_lo, 8, v3
	s_cbranch_vccnz .LBB174_1509
; %bb.1500:
	v_cmp_gt_i16_e32 vcc_lo, 9, v3
	s_cbranch_vccnz .LBB174_1506
; %bb.1501:
	v_cmp_lt_i16_e32 vcc_lo, 9, v3
	s_cbranch_vccz .LBB174_1503
; %bb.1502:
	v_mov_b32_e32 v8, 0
	v_lshlrev_b32_e32 v2, 16, v5
	s_mov_b32 s16, 0
	s_delay_alu instid0(VALU_DEP_2) | instskip(NEXT) | instid1(VALU_DEP_2)
	v_mov_b32_e32 v9, v8
	v_cvt_f64_f32_e32 v[6:7], v2
	global_store_b128 v[0:1], v[6:9], off
.LBB174_1503:
	s_and_not1_b32 vcc_lo, exec_lo, s16
	s_cbranch_vccnz .LBB174_1505
; %bb.1504:
	v_dual_mov_b32 v7, 0 :: v_dual_lshlrev_b32 v6, 16, v5
	global_store_b64 v[0:1], v[6:7], off
.LBB174_1505:
	s_mov_b32 s16, 0
.LBB174_1506:
	s_delay_alu instid0(SALU_CYCLE_1)
	s_and_not1_b32 vcc_lo, exec_lo, s16
	s_cbranch_vccnz .LBB174_1508
; %bb.1507:
	v_lshlrev_b32_e32 v2, 16, v5
	s_delay_alu instid0(VALU_DEP_1) | instskip(NEXT) | instid1(VALU_DEP_1)
	v_cvt_f16_f32_e32 v2, v2
	v_and_b32_e32 v2, 0xffff, v2
	global_store_b32 v[0:1], v2, off
.LBB174_1508:
	s_mov_b32 s16, 0
.LBB174_1509:
	s_delay_alu instid0(SALU_CYCLE_1)
	s_and_not1_b32 vcc_lo, exec_lo, s16
	s_cbranch_vccnz .LBB174_1518
; %bb.1510:
	v_cmp_gt_i16_e32 vcc_lo, 6, v3
	s_mov_b32 s16, -1
	s_cbranch_vccnz .LBB174_1516
; %bb.1511:
	v_cmp_lt_i16_e32 vcc_lo, 6, v3
	s_cbranch_vccz .LBB174_1513
; %bb.1512:
	v_lshlrev_b32_e32 v2, 16, v5
	s_mov_b32 s16, 0
	s_delay_alu instid0(VALU_DEP_1)
	v_cvt_f64_f32_e32 v[6:7], v2
	global_store_b64 v[0:1], v[6:7], off
.LBB174_1513:
	s_and_not1_b32 vcc_lo, exec_lo, s16
	s_cbranch_vccnz .LBB174_1515
; %bb.1514:
	v_lshlrev_b32_e32 v2, 16, v5
	global_store_b32 v[0:1], v2, off
.LBB174_1515:
	s_mov_b32 s16, 0
.LBB174_1516:
	s_delay_alu instid0(SALU_CYCLE_1)
	s_and_not1_b32 vcc_lo, exec_lo, s16
	s_cbranch_vccnz .LBB174_1518
; %bb.1517:
	v_lshlrev_b32_e32 v2, 16, v5
	s_delay_alu instid0(VALU_DEP_1)
	v_cvt_f16_f32_e32 v2, v2
	global_store_b16 v[0:1], v2, off
.LBB174_1518:
	s_mov_b32 s16, 0
.LBB174_1519:
	s_delay_alu instid0(SALU_CYCLE_1)
	s_and_not1_b32 vcc_lo, exec_lo, s16
	s_cbranch_vccnz .LBB174_1535
; %bb.1520:
	v_cmp_gt_i16_e32 vcc_lo, 2, v3
	s_mov_b32 s16, -1
	s_cbranch_vccnz .LBB174_1530
; %bb.1521:
	v_cmp_gt_i16_e32 vcc_lo, 3, v3
	s_cbranch_vccnz .LBB174_1527
; %bb.1522:
	v_cmp_lt_i16_e32 vcc_lo, 3, v3
	s_cbranch_vccz .LBB174_1524
; %bb.1523:
	v_lshlrev_b32_e32 v2, 16, v5
	s_mov_b32 s16, 0
	s_delay_alu instid0(VALU_DEP_1) | instskip(NEXT) | instid1(VALU_DEP_1)
	v_trunc_f32_e32 v2, v2
	v_mul_f32_e64 v4, 0x2f800000, |v2|
	s_delay_alu instid0(VALU_DEP_1) | instskip(NEXT) | instid1(VALU_DEP_1)
	v_floor_f32_e32 v4, v4
	v_fma_f32 v6, 0xcf800000, v4, |v2|
	v_ashrrev_i32_e32 v2, 31, v2
	v_cvt_u32_f32_e32 v4, v4
	s_delay_alu instid0(VALU_DEP_3) | instskip(NEXT) | instid1(VALU_DEP_2)
	v_cvt_u32_f32_e32 v6, v6
	v_xor_b32_e32 v4, v4, v2
	s_delay_alu instid0(VALU_DEP_2) | instskip(NEXT) | instid1(VALU_DEP_1)
	v_xor_b32_e32 v6, v6, v2
	v_sub_co_u32 v6, vcc_lo, v6, v2
	s_delay_alu instid0(VALU_DEP_3)
	v_sub_co_ci_u32_e32 v7, vcc_lo, v4, v2, vcc_lo
	global_store_b64 v[0:1], v[6:7], off
.LBB174_1524:
	s_and_not1_b32 vcc_lo, exec_lo, s16
	s_cbranch_vccnz .LBB174_1526
; %bb.1525:
	v_lshlrev_b32_e32 v2, 16, v5
	s_delay_alu instid0(VALU_DEP_1)
	v_cvt_i32_f32_e32 v2, v2
	global_store_b32 v[0:1], v2, off
.LBB174_1526:
	s_mov_b32 s16, 0
.LBB174_1527:
	s_delay_alu instid0(SALU_CYCLE_1)
	s_and_not1_b32 vcc_lo, exec_lo, s16
	s_cbranch_vccnz .LBB174_1529
; %bb.1528:
	v_lshlrev_b32_e32 v2, 16, v5
	s_delay_alu instid0(VALU_DEP_1)
	v_cvt_i32_f32_e32 v2, v2
	global_store_b16 v[0:1], v2, off
.LBB174_1529:
	s_mov_b32 s16, 0
.LBB174_1530:
	s_delay_alu instid0(SALU_CYCLE_1)
	s_and_not1_b32 vcc_lo, exec_lo, s16
	s_cbranch_vccnz .LBB174_1535
; %bb.1531:
	v_cmp_lt_i16_e32 vcc_lo, 0, v3
	v_lshlrev_b32_e32 v2, 16, v5
	s_mov_b32 s16, -1
	s_cbranch_vccz .LBB174_1533
; %bb.1532:
	s_delay_alu instid0(VALU_DEP_1)
	v_cvt_i32_f32_e32 v3, v2
	s_mov_b32 s16, 0
	global_store_b8 v[0:1], v3, off
.LBB174_1533:
	s_and_not1_b32 vcc_lo, exec_lo, s16
	s_cbranch_vccnz .LBB174_1535
; %bb.1534:
	v_trunc_f32_e32 v2, v2
	s_delay_alu instid0(VALU_DEP_1) | instskip(NEXT) | instid1(VALU_DEP_1)
	v_mul_f32_e64 v3, 0x2f800000, |v2|
	v_floor_f32_e32 v3, v3
	s_delay_alu instid0(VALU_DEP_1) | instskip(SKIP_1) | instid1(VALU_DEP_2)
	v_fma_f32 v3, 0xcf800000, v3, |v2|
	v_ashrrev_i32_e32 v2, 31, v2
	v_cvt_u32_f32_e32 v3, v3
	s_delay_alu instid0(VALU_DEP_1) | instskip(NEXT) | instid1(VALU_DEP_1)
	v_xor_b32_e32 v3, v3, v2
	v_sub_nc_u32_e32 v2, v3, v2
	global_store_b8 v[0:1], v2, off
.LBB174_1535:
	s_or_b32 exec_lo, exec_lo, s0
	s_delay_alu instid0(SALU_CYCLE_1)
	s_and_b32 s16, s17, exec_lo
                                        ; implicit-def: $vgpr7
.LBB174_1536:
	s_or_saveexec_b32 s15, s15
	s_mov_b32 s0, 0
                                        ; implicit-def: $vgpr6
                                        ; implicit-def: $vgpr0_vgpr1
                                        ; implicit-def: $vgpr2
	s_xor_b32 exec_lo, exec_lo, s15
	s_cbranch_execz .LBB174_3023
; %bb.1537:
	s_waitcnt vmcnt(0)
	v_mul_lo_u32 v4, s9, v7
	v_and_b32_e64 v6, 0xff, s14
	s_delay_alu instid0(VALU_DEP_1) | instskip(NEXT) | instid1(VALU_DEP_3)
	v_cmp_gt_i16_e32 vcc_lo, 11, v6
	v_ashrrev_i32_e32 v1, 31, v4
	v_add_co_u32 v0, s0, s6, v4
	s_delay_alu instid0(VALU_DEP_1)
	v_add_co_ci_u32_e64 v1, s0, s7, v1, s0
	s_cbranch_vccnz .LBB174_1544
; %bb.1538:
	v_cmp_lt_i16_e32 vcc_lo, 25, v6
	s_mov_b32 s14, 0
	s_cbranch_vccz .LBB174_1550
; %bb.1539:
	v_cmp_lt_i16_e32 vcc_lo, 28, v6
	s_cbranch_vccz .LBB174_1552
; %bb.1540:
	v_cmp_lt_i16_e32 vcc_lo, 43, v6
	;; [unrolled: 3-line block ×3, first 2 shown]
	s_cbranch_vccz .LBB174_1558
; %bb.1542:
	v_cmp_eq_u16_e32 vcc_lo, 46, v6
	s_cbranch_vccz .LBB174_1598
; %bb.1543:
	global_load_b32 v8, v[0:1], off
	s_mov_b32 s0, 0
	s_mov_b32 s17, -1
	s_branch .LBB174_1600
.LBB174_1544:
	s_mov_b32 s17, 0
	s_mov_b32 s13, s16
                                        ; implicit-def: $vgpr8
	s_cbranch_execz .LBB174_1663
; %bb.1545:
	v_cmp_gt_i16_e32 vcc_lo, 5, v6
	s_cbranch_vccnz .LBB174_1551
; %bb.1546:
	v_cmp_gt_i16_e32 vcc_lo, 8, v6
	s_cbranch_vccnz .LBB174_1553
	;; [unrolled: 3-line block ×3, first 2 shown]
; %bb.1548:
	v_cmp_lt_i16_e32 vcc_lo, 9, v6
	s_cbranch_vccz .LBB174_1559
; %bb.1549:
	global_load_b64 v[2:3], v[0:1], off
	s_mov_b32 s0, 0
	s_waitcnt vmcnt(0)
	v_cvt_f32_f64_e32 v2, v[2:3]
	s_delay_alu instid0(VALU_DEP_1) | instskip(SKIP_1) | instid1(VALU_DEP_2)
	v_bfe_u32 v3, v2, 16, 1
	v_cmp_o_f32_e32 vcc_lo, v2, v2
	v_add3_u32 v3, v2, v3, 0x7fff
	s_delay_alu instid0(VALU_DEP_1) | instskip(NEXT) | instid1(VALU_DEP_1)
	v_lshrrev_b32_e32 v3, 16, v3
	v_cndmask_b32_e32 v8, 0x7fc0, v3, vcc_lo
	s_branch .LBB174_1560
.LBB174_1550:
	s_mov_b32 s17, 0
	s_mov_b32 s0, 0
                                        ; implicit-def: $vgpr8
	s_cbranch_execnz .LBB174_1628
	s_branch .LBB174_1659
.LBB174_1551:
                                        ; implicit-def: $vgpr8
	s_branch .LBB174_1577
.LBB174_1552:
	s_mov_b32 s13, -1
	s_mov_b32 s17, 0
	s_mov_b32 s0, 0
                                        ; implicit-def: $vgpr8
	s_branch .LBB174_1609
.LBB174_1553:
                                        ; implicit-def: $vgpr8
	s_branch .LBB174_1566
.LBB174_1554:
	s_mov_b32 s17, 0
	s_mov_b32 s0, 0
                                        ; implicit-def: $vgpr8
	s_cbranch_execnz .LBB174_1605
	s_branch .LBB174_1608
.LBB174_1555:
	s_mov_b32 s0, -1
                                        ; implicit-def: $vgpr8
	s_branch .LBB174_1563
.LBB174_1556:
	s_cbranch_execnz .LBB174_1596
; %bb.1557:
	s_or_b32 s17, s17, exec_lo
	s_and_not1_b32 s0, s0, exec_lo
	s_or_b32 exec_lo, exec_lo, s18
	s_and_saveexec_b32 s16, s0
	s_delay_alu instid0(SALU_CYCLE_1)
	s_xor_b32 s0, exec_lo, s16
	s_cbranch_execnz .LBB174_1496
	s_branch .LBB174_1497
.LBB174_1558:
	s_mov_b32 s13, -1
	s_mov_b32 s17, 0
	s_mov_b32 s0, 0
	s_branch .LBB174_1599
.LBB174_1559:
	s_mov_b32 s0, -1
                                        ; implicit-def: $vgpr8
.LBB174_1560:
	s_delay_alu instid0(SALU_CYCLE_1)
	s_and_not1_b32 vcc_lo, exec_lo, s0
	s_cbranch_vccnz .LBB174_1562
; %bb.1561:
	global_load_b32 v2, v[0:1], off
	s_waitcnt vmcnt(0)
	v_bfe_u32 v3, v2, 16, 1
	v_cmp_o_f32_e32 vcc_lo, v2, v2
	s_delay_alu instid0(VALU_DEP_2) | instskip(NEXT) | instid1(VALU_DEP_1)
	v_add3_u32 v3, v2, v3, 0x7fff
	v_lshrrev_b32_e32 v3, 16, v3
	s_delay_alu instid0(VALU_DEP_1)
	v_cndmask_b32_e32 v8, 0x7fc0, v3, vcc_lo
.LBB174_1562:
	s_mov_b32 s0, 0
.LBB174_1563:
	s_delay_alu instid0(SALU_CYCLE_1)
	s_and_not1_b32 vcc_lo, exec_lo, s0
	s_cbranch_vccnz .LBB174_1565
; %bb.1564:
	global_load_b32 v2, v[0:1], off
	s_waitcnt vmcnt(0)
	v_cvt_f32_f16_e32 v3, v2
	v_cmp_o_f16_e32 vcc_lo, v2, v2
	s_delay_alu instid0(VALU_DEP_2) | instskip(NEXT) | instid1(VALU_DEP_1)
	v_bfe_u32 v5, v3, 16, 1
	v_add3_u32 v3, v3, v5, 0x7fff
	s_delay_alu instid0(VALU_DEP_1) | instskip(NEXT) | instid1(VALU_DEP_1)
	v_lshrrev_b32_e32 v3, 16, v3
	v_cndmask_b32_e32 v8, 0x7fc0, v3, vcc_lo
.LBB174_1565:
	s_cbranch_execnz .LBB174_1576
.LBB174_1566:
	v_cmp_gt_i16_e32 vcc_lo, 6, v6
	s_cbranch_vccnz .LBB174_1569
; %bb.1567:
	v_cmp_lt_i16_e32 vcc_lo, 6, v6
	s_cbranch_vccz .LBB174_1570
; %bb.1568:
	global_load_b64 v[2:3], v[0:1], off
	s_mov_b32 s0, 0
	s_waitcnt vmcnt(0)
	v_cvt_f32_f64_e32 v2, v[2:3]
	s_delay_alu instid0(VALU_DEP_1) | instskip(SKIP_1) | instid1(VALU_DEP_2)
	v_bfe_u32 v3, v2, 16, 1
	v_cmp_o_f32_e32 vcc_lo, v2, v2
	v_add3_u32 v3, v2, v3, 0x7fff
	s_delay_alu instid0(VALU_DEP_1) | instskip(NEXT) | instid1(VALU_DEP_1)
	v_lshrrev_b32_e32 v3, 16, v3
	v_cndmask_b32_e32 v8, 0x7fc0, v3, vcc_lo
	s_branch .LBB174_1571
.LBB174_1569:
	s_mov_b32 s0, -1
                                        ; implicit-def: $vgpr8
	s_branch .LBB174_1574
.LBB174_1570:
	s_mov_b32 s0, -1
                                        ; implicit-def: $vgpr8
.LBB174_1571:
	s_delay_alu instid0(SALU_CYCLE_1)
	s_and_not1_b32 vcc_lo, exec_lo, s0
	s_cbranch_vccnz .LBB174_1573
; %bb.1572:
	global_load_b32 v2, v[0:1], off
	s_waitcnt vmcnt(0)
	v_bfe_u32 v3, v2, 16, 1
	v_cmp_o_f32_e32 vcc_lo, v2, v2
	s_delay_alu instid0(VALU_DEP_2) | instskip(NEXT) | instid1(VALU_DEP_1)
	v_add3_u32 v3, v2, v3, 0x7fff
	v_lshrrev_b32_e32 v3, 16, v3
	s_delay_alu instid0(VALU_DEP_1)
	v_cndmask_b32_e32 v8, 0x7fc0, v3, vcc_lo
.LBB174_1573:
	s_mov_b32 s0, 0
.LBB174_1574:
	s_delay_alu instid0(SALU_CYCLE_1)
	s_and_not1_b32 vcc_lo, exec_lo, s0
	s_cbranch_vccnz .LBB174_1576
; %bb.1575:
	global_load_u16 v2, v[0:1], off
	s_waitcnt vmcnt(0)
	v_cvt_f32_f16_e32 v3, v2
	v_cmp_o_f16_e32 vcc_lo, v2, v2
	s_delay_alu instid0(VALU_DEP_2) | instskip(NEXT) | instid1(VALU_DEP_1)
	v_bfe_u32 v5, v3, 16, 1
	v_add3_u32 v3, v3, v5, 0x7fff
	s_delay_alu instid0(VALU_DEP_1) | instskip(NEXT) | instid1(VALU_DEP_1)
	v_lshrrev_b32_e32 v3, 16, v3
	v_cndmask_b32_e32 v8, 0x7fc0, v3, vcc_lo
.LBB174_1576:
	s_cbranch_execnz .LBB174_1595
.LBB174_1577:
	v_cmp_gt_i16_e32 vcc_lo, 2, v6
	s_cbranch_vccnz .LBB174_1581
; %bb.1578:
	v_cmp_gt_i16_e32 vcc_lo, 3, v6
	s_cbranch_vccnz .LBB174_1582
; %bb.1579:
	v_cmp_lt_i16_e32 vcc_lo, 3, v6
	s_cbranch_vccz .LBB174_1583
; %bb.1580:
	global_load_b64 v[2:3], v[0:1], off
	s_mov_b32 s0, 0
	s_waitcnt vmcnt(0)
	v_xor_b32_e32 v5, v2, v3
	v_cls_i32_e32 v8, v3
	s_delay_alu instid0(VALU_DEP_2) | instskip(NEXT) | instid1(VALU_DEP_2)
	v_ashrrev_i32_e32 v5, 31, v5
	v_add_nc_u32_e32 v8, -1, v8
	s_delay_alu instid0(VALU_DEP_2) | instskip(NEXT) | instid1(VALU_DEP_1)
	v_add_nc_u32_e32 v5, 32, v5
	v_min_u32_e32 v5, v8, v5
	s_delay_alu instid0(VALU_DEP_1) | instskip(NEXT) | instid1(VALU_DEP_1)
	v_lshlrev_b64 v[2:3], v5, v[2:3]
	v_min_u32_e32 v2, 1, v2
	s_delay_alu instid0(VALU_DEP_1) | instskip(SKIP_1) | instid1(VALU_DEP_2)
	v_or_b32_e32 v2, v3, v2
	v_sub_nc_u32_e32 v3, 32, v5
	v_cvt_f32_i32_e32 v2, v2
	s_delay_alu instid0(VALU_DEP_1) | instskip(NEXT) | instid1(VALU_DEP_1)
	v_ldexp_f32 v2, v2, v3
	v_bfe_u32 v3, v2, 16, 1
	s_delay_alu instid0(VALU_DEP_1) | instskip(NEXT) | instid1(VALU_DEP_1)
	v_add3_u32 v2, v2, v3, 0x7fff
	v_lshrrev_b32_e32 v8, 16, v2
	s_branch .LBB174_1584
.LBB174_1581:
                                        ; implicit-def: $vgpr8
	s_branch .LBB174_1590
.LBB174_1582:
	s_mov_b32 s0, -1
                                        ; implicit-def: $vgpr8
	s_branch .LBB174_1587
.LBB174_1583:
	s_mov_b32 s0, -1
                                        ; implicit-def: $vgpr8
.LBB174_1584:
	s_delay_alu instid0(SALU_CYCLE_1)
	s_and_not1_b32 vcc_lo, exec_lo, s0
	s_cbranch_vccnz .LBB174_1586
; %bb.1585:
	global_load_b32 v2, v[0:1], off
	s_waitcnt vmcnt(0)
	v_cvt_f32_i32_e32 v2, v2
	s_delay_alu instid0(VALU_DEP_1) | instskip(NEXT) | instid1(VALU_DEP_1)
	v_bfe_u32 v3, v2, 16, 1
	v_add3_u32 v2, v2, v3, 0x7fff
	s_delay_alu instid0(VALU_DEP_1)
	v_lshrrev_b32_e32 v8, 16, v2
.LBB174_1586:
	s_mov_b32 s0, 0
.LBB174_1587:
	s_delay_alu instid0(SALU_CYCLE_1)
	s_and_not1_b32 vcc_lo, exec_lo, s0
	s_cbranch_vccnz .LBB174_1589
; %bb.1588:
	global_load_i16 v2, v[0:1], off
	s_waitcnt vmcnt(0)
	v_cvt_f32_i32_e32 v2, v2
	s_delay_alu instid0(VALU_DEP_1) | instskip(NEXT) | instid1(VALU_DEP_1)
	v_bfe_u32 v3, v2, 16, 1
	v_add3_u32 v2, v2, v3, 0x7fff
	s_delay_alu instid0(VALU_DEP_1)
	v_lshrrev_b32_e32 v8, 16, v2
.LBB174_1589:
	s_cbranch_execnz .LBB174_1595
.LBB174_1590:
	v_cmp_lt_i16_e32 vcc_lo, 0, v6
	s_mov_b32 s0, 0
	s_cbranch_vccz .LBB174_1592
; %bb.1591:
	global_load_i8 v2, v[0:1], off
	s_waitcnt vmcnt(0)
	v_cvt_f32_i32_e32 v2, v2
	s_delay_alu instid0(VALU_DEP_1) | instskip(NEXT) | instid1(VALU_DEP_1)
	v_bfe_u32 v3, v2, 16, 1
	v_add3_u32 v2, v2, v3, 0x7fff
	s_delay_alu instid0(VALU_DEP_1)
	v_lshrrev_b32_e32 v8, 16, v2
	s_branch .LBB174_1593
.LBB174_1592:
	s_mov_b32 s0, -1
                                        ; implicit-def: $vgpr8
.LBB174_1593:
	s_delay_alu instid0(SALU_CYCLE_1)
	s_and_not1_b32 vcc_lo, exec_lo, s0
	s_cbranch_vccnz .LBB174_1595
; %bb.1594:
	global_load_u8 v0, v[0:1], off
	s_waitcnt vmcnt(0)
	v_cvt_f32_ubyte0_e32 v0, v0
	s_delay_alu instid0(VALU_DEP_1) | instskip(NEXT) | instid1(VALU_DEP_1)
	v_bfe_u32 v1, v0, 16, 1
	v_add3_u32 v0, v0, v1, 0x7fff
	s_delay_alu instid0(VALU_DEP_1)
	v_lshrrev_b32_e32 v8, 16, v0
.LBB174_1595:
	s_branch .LBB174_1664
.LBB174_1596:
	s_trap 2
	s_sendmsg_rtn_b32 s0, sendmsg(MSG_RTN_GET_DOORBELL)
	s_mov_b32 ttmp2, m0
	s_waitcnt lgkmcnt(0)
	s_and_b32 s0, s0, 0x3ff
	s_delay_alu instid0(SALU_CYCLE_1) | instskip(NEXT) | instid1(SALU_CYCLE_1)
	s_bitset1_b32 s0, 10
	s_mov_b32 m0, s0
	s_sendmsg sendmsg(MSG_INTERRUPT)
	s_mov_b32 m0, ttmp2
.LBB174_1597:                           ; =>This Inner Loop Header: Depth=1
	s_sethalt 5
	s_branch .LBB174_1597
.LBB174_1598:
	s_mov_b32 s0, -1
	s_mov_b32 s17, 0
.LBB174_1599:
                                        ; implicit-def: $vgpr8
.LBB174_1600:
	s_and_b32 vcc_lo, exec_lo, s13
	s_cbranch_vccz .LBB174_1603
; %bb.1601:
	v_cmp_eq_u16_e32 vcc_lo, 44, v6
	s_cbranch_vccz .LBB174_1604
; %bb.1602:
	global_load_u8 v2, v[0:1], off
	s_mov_b32 s0, 0
	s_mov_b32 s17, -1
	s_waitcnt vmcnt(0)
	v_lshlrev_b32_e32 v3, 23, v2
	v_cmp_ne_u32_e32 vcc_lo, 0xff, v2
	s_delay_alu instid0(VALU_DEP_2) | instskip(SKIP_1) | instid1(VALU_DEP_2)
	v_cndmask_b32_e32 v3, 0x7f800001, v3, vcc_lo
	v_cmp_ne_u32_e32 vcc_lo, 0, v2
	v_cndmask_b32_e32 v2, 0x400000, v3, vcc_lo
	s_delay_alu instid0(VALU_DEP_1) | instskip(SKIP_1) | instid1(VALU_DEP_2)
	v_add_nc_u32_e32 v3, 0x7fff, v2
	v_cmp_o_f32_e32 vcc_lo, v2, v2
	v_lshrrev_b32_e32 v3, 16, v3
	s_delay_alu instid0(VALU_DEP_1)
	v_cndmask_b32_e32 v8, 0x7fc0, v3, vcc_lo
.LBB174_1603:
	s_branch .LBB174_1608
.LBB174_1604:
	s_mov_b32 s0, -1
                                        ; implicit-def: $vgpr8
	s_branch .LBB174_1608
.LBB174_1605:
	v_cmp_eq_u16_e32 vcc_lo, 29, v6
	s_cbranch_vccz .LBB174_1607
; %bb.1606:
	global_load_b64 v[2:3], v[0:1], off
	s_mov_b32 s0, 0
	s_mov_b32 s17, -1
	s_mov_b32 s13, 0
	s_waitcnt vmcnt(0)
	v_clz_i32_u32_e32 v5, v3
	s_delay_alu instid0(VALU_DEP_1) | instskip(NEXT) | instid1(VALU_DEP_1)
	v_min_u32_e32 v5, 32, v5
	v_lshlrev_b64 v[2:3], v5, v[2:3]
	s_delay_alu instid0(VALU_DEP_1) | instskip(NEXT) | instid1(VALU_DEP_1)
	v_min_u32_e32 v2, 1, v2
	v_or_b32_e32 v2, v3, v2
	v_sub_nc_u32_e32 v3, 32, v5
	s_delay_alu instid0(VALU_DEP_2) | instskip(NEXT) | instid1(VALU_DEP_1)
	v_cvt_f32_u32_e32 v2, v2
	v_ldexp_f32 v2, v2, v3
	s_delay_alu instid0(VALU_DEP_1) | instskip(NEXT) | instid1(VALU_DEP_1)
	v_bfe_u32 v3, v2, 16, 1
	v_add3_u32 v2, v2, v3, 0x7fff
	s_delay_alu instid0(VALU_DEP_1)
	v_lshrrev_b32_e32 v8, 16, v2
	s_branch .LBB174_1609
.LBB174_1607:
	s_mov_b32 s0, -1
                                        ; implicit-def: $vgpr8
.LBB174_1608:
	s_mov_b32 s13, 0
.LBB174_1609:
	s_delay_alu instid0(SALU_CYCLE_1)
	s_and_b32 vcc_lo, exec_lo, s13
	s_cbranch_vccz .LBB174_1627
; %bb.1610:
	v_cmp_gt_i16_e32 vcc_lo, 27, v6
	s_cbranch_vccnz .LBB174_1613
; %bb.1611:
	v_cmp_lt_i16_e32 vcc_lo, 27, v6
	s_cbranch_vccz .LBB174_1614
; %bb.1612:
	global_load_b32 v2, v[0:1], off
	s_mov_b32 s13, 0
	s_waitcnt vmcnt(0)
	v_cvt_f32_u32_e32 v2, v2
	s_delay_alu instid0(VALU_DEP_1) | instskip(NEXT) | instid1(VALU_DEP_1)
	v_bfe_u32 v3, v2, 16, 1
	v_add3_u32 v2, v2, v3, 0x7fff
	s_delay_alu instid0(VALU_DEP_1)
	v_lshrrev_b32_e32 v8, 16, v2
	s_branch .LBB174_1615
.LBB174_1613:
	s_mov_b32 s13, -1
                                        ; implicit-def: $vgpr8
	s_branch .LBB174_1618
.LBB174_1614:
	s_mov_b32 s13, -1
                                        ; implicit-def: $vgpr8
.LBB174_1615:
	s_delay_alu instid0(SALU_CYCLE_1)
	s_and_not1_b32 vcc_lo, exec_lo, s13
	s_cbranch_vccnz .LBB174_1617
; %bb.1616:
	global_load_u16 v2, v[0:1], off
	s_waitcnt vmcnt(0)
	v_cvt_f32_u32_e32 v2, v2
	s_delay_alu instid0(VALU_DEP_1) | instskip(NEXT) | instid1(VALU_DEP_1)
	v_bfe_u32 v3, v2, 16, 1
	v_add3_u32 v2, v2, v3, 0x7fff
	s_delay_alu instid0(VALU_DEP_1)
	v_lshrrev_b32_e32 v8, 16, v2
.LBB174_1617:
	s_mov_b32 s13, 0
.LBB174_1618:
	s_delay_alu instid0(SALU_CYCLE_1)
	s_and_not1_b32 vcc_lo, exec_lo, s13
	s_cbranch_vccnz .LBB174_1626
; %bb.1619:
	global_load_u8 v2, v[0:1], off
	s_mov_b32 s13, 0
	s_mov_b32 s18, exec_lo
                                        ; implicit-def: $sgpr17
	s_waitcnt vmcnt(0)
	v_cmpx_lt_i16_e32 0x7f, v2
	s_xor_b32 s18, exec_lo, s18
	s_cbranch_execz .LBB174_1639
; %bb.1620:
	s_mov_b32 s13, -1
	s_mov_b32 s19, exec_lo
                                        ; implicit-def: $sgpr17
	v_cmpx_eq_u16_e32 0x80, v2
; %bb.1621:
	s_mov_b32 s17, 0x7f800001
	s_xor_b32 s13, exec_lo, -1
; %bb.1622:
	s_or_b32 exec_lo, exec_lo, s19
	s_delay_alu instid0(SALU_CYCLE_1)
	s_and_b32 s13, s13, exec_lo
	s_or_saveexec_b32 s18, s18
	v_mov_b32_e32 v3, s17
	s_xor_b32 exec_lo, exec_lo, s18
	s_cbranch_execnz .LBB174_1640
.LBB174_1623:
	s_or_b32 exec_lo, exec_lo, s18
	s_and_saveexec_b32 s17, s13
	s_cbranch_execz .LBB174_1625
.LBB174_1624:
	v_and_b32_e32 v3, 0xffff, v2
	s_delay_alu instid0(VALU_DEP_1) | instskip(NEXT) | instid1(VALU_DEP_1)
	v_and_b32_e32 v5, 7, v3
	v_clz_i32_u32_e32 v8, v5
	s_delay_alu instid0(VALU_DEP_1) | instskip(NEXT) | instid1(VALU_DEP_1)
	v_min_u32_e32 v8, 32, v8
	v_subrev_nc_u32_e32 v9, 28, v8
	v_sub_nc_u32_e32 v8, 29, v8
	s_delay_alu instid0(VALU_DEP_2) | instskip(SKIP_1) | instid1(VALU_DEP_2)
	v_lshlrev_b32_e32 v9, v9, v3
	v_bfe_u32 v3, v3, 3, 4
	v_and_b32_e32 v9, 7, v9
	s_delay_alu instid0(VALU_DEP_2) | instskip(SKIP_1) | instid1(VALU_DEP_1)
	v_cmp_eq_u32_e32 vcc_lo, 0, v3
	v_dual_cndmask_b32 v3, v3, v8 :: v_dual_lshlrev_b32 v2, 24, v2
	v_dual_cndmask_b32 v5, v5, v9 :: v_dual_and_b32 v2, 0x80000000, v2
	s_delay_alu instid0(VALU_DEP_2) | instskip(NEXT) | instid1(VALU_DEP_2)
	v_lshl_add_u32 v3, v3, 23, 0x3b800000
	v_lshlrev_b32_e32 v5, 20, v5
	s_delay_alu instid0(VALU_DEP_1)
	v_or3_b32 v3, v2, v3, v5
.LBB174_1625:
	s_or_b32 exec_lo, exec_lo, s17
	s_delay_alu instid0(VALU_DEP_1) | instskip(SKIP_1) | instid1(VALU_DEP_2)
	v_bfe_u32 v2, v3, 16, 1
	v_cmp_o_f32_e32 vcc_lo, v3, v3
	v_add3_u32 v2, v3, v2, 0x7fff
	s_delay_alu instid0(VALU_DEP_1) | instskip(NEXT) | instid1(VALU_DEP_1)
	v_lshrrev_b32_e32 v2, 16, v2
	v_cndmask_b32_e32 v8, 0x7fc0, v2, vcc_lo
.LBB174_1626:
	s_mov_b32 s17, -1
.LBB174_1627:
	s_branch .LBB174_1659
.LBB174_1628:
	v_cmp_lt_i16_e32 vcc_lo, 22, v6
	s_cbranch_vccz .LBB174_1638
; %bb.1629:
	v_cmp_gt_i16_e32 vcc_lo, 24, v6
	s_cbranch_vccnz .LBB174_1641
; %bb.1630:
	v_cmp_lt_i16_e32 vcc_lo, 24, v6
	s_cbranch_vccz .LBB174_1642
; %bb.1631:
	global_load_u8 v2, v[0:1], off
	s_mov_b32 s13, 0
	s_mov_b32 s17, exec_lo
                                        ; implicit-def: $sgpr14
	s_waitcnt vmcnt(0)
	v_cmpx_lt_i16_e32 0x7f, v2
	s_xor_b32 s17, exec_lo, s17
	s_cbranch_execz .LBB174_1653
; %bb.1632:
	s_mov_b32 s13, -1
	s_mov_b32 s18, exec_lo
                                        ; implicit-def: $sgpr14
	v_cmpx_eq_u16_e32 0x80, v2
; %bb.1633:
	s_mov_b32 s14, 0x7f800001
	s_xor_b32 s13, exec_lo, -1
; %bb.1634:
	s_or_b32 exec_lo, exec_lo, s18
	s_delay_alu instid0(SALU_CYCLE_1)
	s_and_b32 s13, s13, exec_lo
	s_or_saveexec_b32 s17, s17
	v_mov_b32_e32 v3, s14
	s_xor_b32 exec_lo, exec_lo, s17
	s_cbranch_execnz .LBB174_1654
.LBB174_1635:
	s_or_b32 exec_lo, exec_lo, s17
	s_and_saveexec_b32 s14, s13
	s_cbranch_execz .LBB174_1637
.LBB174_1636:
	v_and_b32_e32 v3, 0xffff, v2
	s_delay_alu instid0(VALU_DEP_1) | instskip(NEXT) | instid1(VALU_DEP_1)
	v_and_b32_e32 v5, 3, v3
	v_clz_i32_u32_e32 v8, v5
	s_delay_alu instid0(VALU_DEP_1) | instskip(NEXT) | instid1(VALU_DEP_1)
	v_min_u32_e32 v8, 32, v8
	v_subrev_nc_u32_e32 v9, 29, v8
	v_sub_nc_u32_e32 v8, 30, v8
	s_delay_alu instid0(VALU_DEP_2) | instskip(SKIP_1) | instid1(VALU_DEP_2)
	v_lshlrev_b32_e32 v9, v9, v3
	v_bfe_u32 v3, v3, 2, 5
	v_and_b32_e32 v9, 3, v9
	s_delay_alu instid0(VALU_DEP_2) | instskip(SKIP_1) | instid1(VALU_DEP_1)
	v_cmp_eq_u32_e32 vcc_lo, 0, v3
	v_dual_cndmask_b32 v3, v3, v8 :: v_dual_lshlrev_b32 v2, 24, v2
	v_dual_cndmask_b32 v5, v5, v9 :: v_dual_and_b32 v2, 0x80000000, v2
	s_delay_alu instid0(VALU_DEP_2) | instskip(NEXT) | instid1(VALU_DEP_2)
	v_lshl_add_u32 v3, v3, 23, 0x37800000
	v_lshlrev_b32_e32 v5, 21, v5
	s_delay_alu instid0(VALU_DEP_1)
	v_or3_b32 v3, v2, v3, v5
.LBB174_1637:
	s_or_b32 exec_lo, exec_lo, s14
	s_delay_alu instid0(VALU_DEP_1) | instskip(SKIP_2) | instid1(VALU_DEP_2)
	v_bfe_u32 v2, v3, 16, 1
	v_cmp_o_f32_e32 vcc_lo, v3, v3
	s_mov_b32 s13, 0
	v_add3_u32 v2, v3, v2, 0x7fff
	s_delay_alu instid0(VALU_DEP_1) | instskip(NEXT) | instid1(VALU_DEP_1)
	v_lshrrev_b32_e32 v2, 16, v2
	v_cndmask_b32_e32 v8, 0x7fc0, v2, vcc_lo
	s_branch .LBB174_1643
.LBB174_1638:
                                        ; implicit-def: $vgpr8
	s_mov_b32 s14, 0
	s_branch .LBB174_1649
.LBB174_1639:
	s_or_saveexec_b32 s18, s18
	v_mov_b32_e32 v3, s17
	s_xor_b32 exec_lo, exec_lo, s18
	s_cbranch_execz .LBB174_1623
.LBB174_1640:
	v_cmp_ne_u16_e32 vcc_lo, 0, v2
	v_mov_b32_e32 v3, 0
	s_and_not1_b32 s13, s13, exec_lo
	s_and_b32 s17, vcc_lo, exec_lo
	s_delay_alu instid0(SALU_CYCLE_1)
	s_or_b32 s13, s13, s17
	s_or_b32 exec_lo, exec_lo, s18
	s_and_saveexec_b32 s17, s13
	s_cbranch_execnz .LBB174_1624
	s_branch .LBB174_1625
.LBB174_1641:
	s_mov_b32 s13, -1
                                        ; implicit-def: $vgpr8
	s_branch .LBB174_1646
.LBB174_1642:
	s_mov_b32 s13, -1
                                        ; implicit-def: $vgpr8
.LBB174_1643:
	s_delay_alu instid0(SALU_CYCLE_1)
	s_and_b32 vcc_lo, exec_lo, s13
	s_cbranch_vccz .LBB174_1645
; %bb.1644:
	global_load_u8 v2, v[0:1], off
	s_waitcnt vmcnt(0)
	v_lshlrev_b32_e32 v2, 24, v2
	s_delay_alu instid0(VALU_DEP_1) | instskip(NEXT) | instid1(VALU_DEP_1)
	v_and_b32_e32 v3, 0x7f000000, v2
	v_clz_i32_u32_e32 v5, v3
	v_add_nc_u32_e32 v9, 0x1000000, v3
	v_cmp_ne_u32_e32 vcc_lo, 0, v3
	s_delay_alu instid0(VALU_DEP_3) | instskip(NEXT) | instid1(VALU_DEP_1)
	v_min_u32_e32 v5, 32, v5
	v_sub_nc_u32_e64 v5, v5, 4 clamp
	s_delay_alu instid0(VALU_DEP_1) | instskip(SKIP_1) | instid1(VALU_DEP_2)
	v_lshlrev_b32_e32 v8, v5, v3
	v_lshlrev_b32_e32 v5, 23, v5
	v_lshrrev_b32_e32 v8, 4, v8
	s_delay_alu instid0(VALU_DEP_1) | instskip(SKIP_1) | instid1(VALU_DEP_2)
	v_sub_nc_u32_e32 v5, v8, v5
	v_ashrrev_i32_e32 v8, 8, v9
	v_add_nc_u32_e32 v5, 0x3c000000, v5
	s_delay_alu instid0(VALU_DEP_1) | instskip(NEXT) | instid1(VALU_DEP_1)
	v_and_or_b32 v5, 0x7f800000, v8, v5
	v_cndmask_b32_e32 v3, 0, v5, vcc_lo
	s_delay_alu instid0(VALU_DEP_1) | instskip(SKIP_1) | instid1(VALU_DEP_2)
	v_and_or_b32 v2, 0x80000000, v2, v3
	v_bfe_u32 v3, v3, 16, 1
	v_cmp_o_f32_e32 vcc_lo, v2, v2
	s_delay_alu instid0(VALU_DEP_2) | instskip(NEXT) | instid1(VALU_DEP_1)
	v_add3_u32 v3, v2, v3, 0x7fff
	v_lshrrev_b32_e32 v3, 16, v3
	s_delay_alu instid0(VALU_DEP_1)
	v_cndmask_b32_e32 v8, 0x7fc0, v3, vcc_lo
.LBB174_1645:
	s_mov_b32 s13, 0
.LBB174_1646:
	s_delay_alu instid0(SALU_CYCLE_1)
	s_and_not1_b32 vcc_lo, exec_lo, s13
	s_cbranch_vccnz .LBB174_1648
; %bb.1647:
	global_load_u8 v2, v[0:1], off
	s_waitcnt vmcnt(0)
	v_lshlrev_b32_e32 v3, 25, v2
	v_lshlrev_b16 v2, 8, v2
	s_delay_alu instid0(VALU_DEP_1) | instskip(SKIP_1) | instid1(VALU_DEP_2)
	v_and_or_b32 v8, 0x7f00, v2, 0.5
	v_bfe_i32 v2, v2, 0, 16
	v_add_f32_e32 v8, -0.5, v8
	v_lshrrev_b32_e32 v5, 4, v3
	v_cmp_gt_u32_e32 vcc_lo, 0x8000000, v3
	s_delay_alu instid0(VALU_DEP_2) | instskip(NEXT) | instid1(VALU_DEP_1)
	v_or_b32_e32 v5, 0x70000000, v5
	v_mul_f32_e32 v5, 0x7800000, v5
	s_delay_alu instid0(VALU_DEP_1) | instskip(NEXT) | instid1(VALU_DEP_1)
	v_cndmask_b32_e32 v3, v5, v8, vcc_lo
	v_and_or_b32 v2, 0x80000000, v2, v3
	v_bfe_u32 v3, v3, 16, 1
	s_delay_alu instid0(VALU_DEP_2) | instskip(NEXT) | instid1(VALU_DEP_2)
	v_cmp_o_f32_e32 vcc_lo, v2, v2
	v_add3_u32 v3, v2, v3, 0x7fff
	s_delay_alu instid0(VALU_DEP_1) | instskip(NEXT) | instid1(VALU_DEP_1)
	v_lshrrev_b32_e32 v3, 16, v3
	v_cndmask_b32_e32 v8, 0x7fc0, v3, vcc_lo
.LBB174_1648:
	s_mov_b32 s17, -1
	s_mov_b32 s14, 0
	s_cbranch_execnz .LBB174_1659
.LBB174_1649:
	v_cmp_lt_i16_e32 vcc_lo, 14, v6
	s_cbranch_vccz .LBB174_1652
; %bb.1650:
	v_cmp_eq_u16_e32 vcc_lo, 15, v6
	s_cbranch_vccz .LBB174_1655
; %bb.1651:
	global_load_u16 v8, v[0:1], off
	s_mov_b32 s0, 0
	s_mov_b32 s17, -1
	s_branch .LBB174_1656
.LBB174_1652:
	s_mov_b32 s13, -1
                                        ; implicit-def: $vgpr8
	s_branch .LBB174_1657
.LBB174_1653:
	s_or_saveexec_b32 s17, s17
	v_mov_b32_e32 v3, s14
	s_xor_b32 exec_lo, exec_lo, s17
	s_cbranch_execz .LBB174_1635
.LBB174_1654:
	v_cmp_ne_u16_e32 vcc_lo, 0, v2
	v_mov_b32_e32 v3, 0
	s_and_not1_b32 s13, s13, exec_lo
	s_and_b32 s14, vcc_lo, exec_lo
	s_delay_alu instid0(SALU_CYCLE_1)
	s_or_b32 s13, s13, s14
	s_or_b32 exec_lo, exec_lo, s17
	s_and_saveexec_b32 s14, s13
	s_cbranch_execnz .LBB174_1636
	s_branch .LBB174_1637
.LBB174_1655:
	s_mov_b32 s0, -1
                                        ; implicit-def: $vgpr8
.LBB174_1656:
	s_mov_b32 s13, 0
.LBB174_1657:
	s_delay_alu instid0(SALU_CYCLE_1)
	s_and_b32 vcc_lo, exec_lo, s13
	s_cbranch_vccz .LBB174_1659
; %bb.1658:
	v_cmp_ne_u16_e64 s0, 11, v6
	s_mov_b32 s14, -1
                                        ; implicit-def: $vgpr8
.LBB174_1659:
	s_delay_alu instid0(VALU_DEP_1)
	s_and_b32 vcc_lo, exec_lo, s0
	s_mov_b32 s13, s16
	s_cbranch_vccnz .LBB174_1683
; %bb.1660:
	s_and_not1_b32 vcc_lo, exec_lo, s14
	s_cbranch_vccnz .LBB174_1662
.LBB174_1661:
	global_load_u8 v2, v[0:1], off
	s_mov_b32 s17, -1
	s_waitcnt vmcnt(0)
	v_cmp_ne_u16_e32 vcc_lo, 0, v2
	v_cndmask_b32_e64 v2, 0, 1.0, vcc_lo
	s_delay_alu instid0(VALU_DEP_1)
	v_lshrrev_b32_e32 v8, 16, v2
.LBB174_1662:
.LBB174_1663:
	s_and_not1_b32 vcc_lo, exec_lo, s17
	s_cbranch_vccnz .LBB174_3021
.LBB174_1664:
	v_mul_lo_u32 v5, s10, v7
	v_and_b32_e64 v9, 0xff, s1
	s_delay_alu instid0(VALU_DEP_1) | instskip(NEXT) | instid1(VALU_DEP_3)
	v_cmp_gt_i16_e32 vcc_lo, 11, v9
	v_ashrrev_i32_e32 v0, 31, v5
	v_add_co_u32 v2, s0, s2, v5
	s_delay_alu instid0(VALU_DEP_1)
	v_add_co_ci_u32_e64 v3, s0, s3, v0, s0
	s_cbranch_vccnz .LBB174_1671
; %bb.1665:
	v_cmp_lt_i16_e32 vcc_lo, 25, v9
	s_mov_b32 s1, 0
	s_cbranch_vccz .LBB174_1677
; %bb.1666:
	v_cmp_lt_i16_e32 vcc_lo, 28, v9
	s_cbranch_vccz .LBB174_1679
; %bb.1667:
	v_cmp_lt_i16_e32 vcc_lo, 43, v9
	;; [unrolled: 3-line block ×3, first 2 shown]
	s_cbranch_vccz .LBB174_1685
; %bb.1669:
	v_cmp_eq_u16_e32 vcc_lo, 46, v9
	s_mov_b32 s17, 0
	s_cbranch_vccz .LBB174_1729
; %bb.1670:
	global_load_b32 v0, v[2:3], off
	s_mov_b32 s0, 0
	s_mov_b32 s14, -1
	s_waitcnt vmcnt(0)
	v_lshlrev_b32_e32 v0, 16, v0
	s_delay_alu instid0(VALU_DEP_1) | instskip(NEXT) | instid1(VALU_DEP_1)
	v_trunc_f32_e32 v0, v0
	v_mul_f32_e64 v1, 0x2f800000, |v0|
	s_delay_alu instid0(VALU_DEP_1) | instskip(NEXT) | instid1(VALU_DEP_1)
	v_floor_f32_e32 v1, v1
	v_fma_f32 v1, 0xcf800000, v1, |v0|
	v_ashrrev_i32_e32 v0, 31, v0
	s_delay_alu instid0(VALU_DEP_2) | instskip(NEXT) | instid1(VALU_DEP_1)
	v_cvt_u32_f32_e32 v1, v1
	v_xor_b32_e32 v1, v1, v0
	s_delay_alu instid0(VALU_DEP_1)
	v_sub_nc_u32_e32 v0, v1, v0
	s_branch .LBB174_1731
.LBB174_1671:
	s_mov_b32 s14, 0
                                        ; implicit-def: $vgpr0
	s_cbranch_execz .LBB174_1792
; %bb.1672:
	v_cmp_gt_i16_e32 vcc_lo, 5, v9
	s_cbranch_vccnz .LBB174_1678
; %bb.1673:
	v_cmp_gt_i16_e32 vcc_lo, 8, v9
	s_cbranch_vccnz .LBB174_1680
	;; [unrolled: 3-line block ×3, first 2 shown]
; %bb.1675:
	v_cmp_lt_i16_e32 vcc_lo, 9, v9
	s_cbranch_vccz .LBB174_1688
; %bb.1676:
	global_load_b64 v[0:1], v[2:3], off
	s_mov_b32 s0, 0
	s_waitcnt vmcnt(0)
	v_trunc_f64_e32 v[0:1], v[0:1]
	s_delay_alu instid0(VALU_DEP_1) | instskip(NEXT) | instid1(VALU_DEP_1)
	v_ldexp_f64 v[10:11], v[0:1], 0xffffffe0
	v_floor_f64_e32 v[10:11], v[10:11]
	s_delay_alu instid0(VALU_DEP_1) | instskip(NEXT) | instid1(VALU_DEP_1)
	v_fma_f64 v[0:1], 0xc1f00000, v[10:11], v[0:1]
	v_cvt_u32_f64_e32 v0, v[0:1]
	s_branch .LBB174_1689
.LBB174_1677:
	s_mov_b32 s14, 0
	s_mov_b32 s0, 0
                                        ; implicit-def: $vgpr0
	s_cbranch_execnz .LBB174_1758
	s_branch .LBB174_1788
.LBB174_1678:
                                        ; implicit-def: $vgpr0
	s_branch .LBB174_1707
.LBB174_1679:
	s_mov_b32 s17, -1
	s_mov_b32 s14, 0
	s_mov_b32 s0, 0
                                        ; implicit-def: $vgpr0
	s_branch .LBB174_1741
.LBB174_1680:
	s_mov_b32 s0, -1
                                        ; implicit-def: $vgpr0
	s_branch .LBB174_1695
.LBB174_1681:
	s_mov_b32 s17, -1
	s_mov_b32 s14, 0
	s_mov_b32 s0, 0
                                        ; implicit-def: $vgpr0
	s_branch .LBB174_1736
.LBB174_1682:
	s_mov_b32 s0, -1
                                        ; implicit-def: $vgpr0
	s_branch .LBB174_1692
.LBB174_1683:
	s_cbranch_execnz .LBB174_1727
; %bb.1684:
	s_or_b32 s13, s16, exec_lo
                                        ; implicit-def: $vgpr8
	s_cbranch_execz .LBB174_1661
	s_branch .LBB174_1662
.LBB174_1685:
	s_mov_b32 s17, -1
	s_mov_b32 s14, 0
	s_mov_b32 s0, 0
	s_branch .LBB174_1730
.LBB174_1686:
	s_or_saveexec_b32 s21, s21
                                        ; implicit-def: $sgpr22
	s_delay_alu instid0(SALU_CYCLE_1)
	s_xor_b32 exec_lo, exec_lo, s21
	s_cbranch_execz .LBB174_1447
.LBB174_1687:
	v_add_f32_e64 v4, 0x46000000, |v6|
	s_and_not1_b32 s20, s20, exec_lo
	s_mov_b32 s22, 0
	s_delay_alu instid0(VALU_DEP_1) | instskip(NEXT) | instid1(VALU_DEP_1)
	v_and_b32_e32 v4, 0xff, v4
	v_cmp_ne_u32_e32 vcc_lo, 0, v4
	s_and_b32 s23, vcc_lo, exec_lo
	s_delay_alu instid0(SALU_CYCLE_1)
	s_or_b32 s20, s20, s23
	s_or_b32 exec_lo, exec_lo, s21
	v_mov_b32_e32 v7, s22
	s_and_saveexec_b32 s21, s20
	s_cbranch_execnz .LBB174_1448
	s_branch .LBB174_1449
.LBB174_1688:
	s_mov_b32 s0, -1
                                        ; implicit-def: $vgpr0
.LBB174_1689:
	s_delay_alu instid0(SALU_CYCLE_1)
	s_and_not1_b32 vcc_lo, exec_lo, s0
	s_cbranch_vccnz .LBB174_1691
; %bb.1690:
	global_load_b32 v0, v[2:3], off
	s_waitcnt vmcnt(0)
	v_trunc_f32_e32 v0, v0
	s_delay_alu instid0(VALU_DEP_1) | instskip(NEXT) | instid1(VALU_DEP_1)
	v_mul_f32_e64 v1, 0x2f800000, |v0|
	v_floor_f32_e32 v1, v1
	s_delay_alu instid0(VALU_DEP_1) | instskip(SKIP_1) | instid1(VALU_DEP_2)
	v_fma_f32 v1, 0xcf800000, v1, |v0|
	v_ashrrev_i32_e32 v0, 31, v0
	v_cvt_u32_f32_e32 v1, v1
	s_delay_alu instid0(VALU_DEP_1) | instskip(NEXT) | instid1(VALU_DEP_1)
	v_xor_b32_e32 v1, v1, v0
	v_sub_nc_u32_e32 v0, v1, v0
.LBB174_1691:
	s_mov_b32 s0, 0
.LBB174_1692:
	s_delay_alu instid0(SALU_CYCLE_1)
	s_and_not1_b32 vcc_lo, exec_lo, s0
	s_cbranch_vccnz .LBB174_1694
; %bb.1693:
	global_load_b32 v0, v[2:3], off
	s_waitcnt vmcnt(0)
	v_cvt_f32_f16_e32 v0, v0
	s_delay_alu instid0(VALU_DEP_1)
	v_cvt_i32_f32_e32 v0, v0
.LBB174_1694:
	s_mov_b32 s0, 0
.LBB174_1695:
	s_delay_alu instid0(SALU_CYCLE_1)
	s_and_not1_b32 vcc_lo, exec_lo, s0
	s_cbranch_vccnz .LBB174_1706
; %bb.1696:
	v_cmp_gt_i16_e32 vcc_lo, 6, v9
	s_cbranch_vccnz .LBB174_1699
; %bb.1697:
	v_cmp_lt_i16_e32 vcc_lo, 6, v9
	s_cbranch_vccz .LBB174_1700
; %bb.1698:
	global_load_b64 v[0:1], v[2:3], off
	s_mov_b32 s0, 0
	s_waitcnt vmcnt(0)
	v_trunc_f64_e32 v[0:1], v[0:1]
	s_delay_alu instid0(VALU_DEP_1) | instskip(NEXT) | instid1(VALU_DEP_1)
	v_ldexp_f64 v[10:11], v[0:1], 0xffffffe0
	v_floor_f64_e32 v[10:11], v[10:11]
	s_delay_alu instid0(VALU_DEP_1) | instskip(NEXT) | instid1(VALU_DEP_1)
	v_fma_f64 v[0:1], 0xc1f00000, v[10:11], v[0:1]
	v_cvt_u32_f64_e32 v0, v[0:1]
	s_branch .LBB174_1701
.LBB174_1699:
	s_mov_b32 s0, -1
                                        ; implicit-def: $vgpr0
	s_branch .LBB174_1704
.LBB174_1700:
	s_mov_b32 s0, -1
                                        ; implicit-def: $vgpr0
.LBB174_1701:
	s_delay_alu instid0(SALU_CYCLE_1)
	s_and_not1_b32 vcc_lo, exec_lo, s0
	s_cbranch_vccnz .LBB174_1703
; %bb.1702:
	global_load_b32 v0, v[2:3], off
	s_waitcnt vmcnt(0)
	v_trunc_f32_e32 v0, v0
	s_delay_alu instid0(VALU_DEP_1) | instskip(NEXT) | instid1(VALU_DEP_1)
	v_mul_f32_e64 v1, 0x2f800000, |v0|
	v_floor_f32_e32 v1, v1
	s_delay_alu instid0(VALU_DEP_1) | instskip(SKIP_1) | instid1(VALU_DEP_2)
	v_fma_f32 v1, 0xcf800000, v1, |v0|
	v_ashrrev_i32_e32 v0, 31, v0
	v_cvt_u32_f32_e32 v1, v1
	s_delay_alu instid0(VALU_DEP_1) | instskip(NEXT) | instid1(VALU_DEP_1)
	v_xor_b32_e32 v1, v1, v0
	v_sub_nc_u32_e32 v0, v1, v0
.LBB174_1703:
	s_mov_b32 s0, 0
.LBB174_1704:
	s_delay_alu instid0(SALU_CYCLE_1)
	s_and_not1_b32 vcc_lo, exec_lo, s0
	s_cbranch_vccnz .LBB174_1706
; %bb.1705:
	global_load_u16 v0, v[2:3], off
	s_waitcnt vmcnt(0)
	v_cvt_f32_f16_e32 v0, v0
	s_delay_alu instid0(VALU_DEP_1)
	v_cvt_i32_f32_e32 v0, v0
.LBB174_1706:
	s_cbranch_execnz .LBB174_1726
.LBB174_1707:
	v_cmp_gt_i16_e32 vcc_lo, 2, v9
	s_cbranch_vccnz .LBB174_1711
; %bb.1708:
	v_cmp_gt_i16_e32 vcc_lo, 3, v9
	s_cbranch_vccnz .LBB174_1712
; %bb.1709:
	v_cmp_lt_i16_e32 vcc_lo, 3, v9
	s_cbranch_vccz .LBB174_1713
; %bb.1710:
	global_load_b64 v[0:1], v[2:3], off
	s_mov_b32 s0, 0
	s_branch .LBB174_1714
.LBB174_1711:
	s_mov_b32 s0, -1
                                        ; implicit-def: $vgpr0
	s_branch .LBB174_1720
.LBB174_1712:
	s_mov_b32 s0, -1
                                        ; implicit-def: $vgpr0
	s_branch .LBB174_1717
.LBB174_1713:
	s_mov_b32 s0, -1
                                        ; implicit-def: $vgpr0
.LBB174_1714:
	s_delay_alu instid0(SALU_CYCLE_1)
	s_and_not1_b32 vcc_lo, exec_lo, s0
	s_cbranch_vccnz .LBB174_1716
; %bb.1715:
	global_load_b32 v0, v[2:3], off
.LBB174_1716:
	s_mov_b32 s0, 0
.LBB174_1717:
	s_delay_alu instid0(SALU_CYCLE_1)
	s_and_not1_b32 vcc_lo, exec_lo, s0
	s_cbranch_vccnz .LBB174_1719
; %bb.1718:
	global_load_u16 v0, v[2:3], off
.LBB174_1719:
	s_mov_b32 s0, 0
.LBB174_1720:
	s_delay_alu instid0(SALU_CYCLE_1)
	s_and_not1_b32 vcc_lo, exec_lo, s0
	s_cbranch_vccnz .LBB174_1726
; %bb.1721:
	v_cmp_lt_i16_e32 vcc_lo, 0, v9
	s_mov_b32 s0, 0
	s_cbranch_vccz .LBB174_1723
; %bb.1722:
	global_load_u8 v0, v[2:3], off
	s_branch .LBB174_1724
.LBB174_1723:
	s_mov_b32 s0, -1
                                        ; implicit-def: $vgpr0
.LBB174_1724:
	s_delay_alu instid0(SALU_CYCLE_1)
	s_and_not1_b32 vcc_lo, exec_lo, s0
	s_cbranch_vccnz .LBB174_1726
; %bb.1725:
	global_load_u8 v0, v[2:3], off
.LBB174_1726:
	s_branch .LBB174_1793
.LBB174_1727:
	s_trap 2
	s_sendmsg_rtn_b32 s0, sendmsg(MSG_RTN_GET_DOORBELL)
	s_mov_b32 ttmp2, m0
	s_waitcnt lgkmcnt(0)
	s_and_b32 s0, s0, 0x3ff
	s_delay_alu instid0(SALU_CYCLE_1) | instskip(NEXT) | instid1(SALU_CYCLE_1)
	s_bitset1_b32 s0, 10
	s_mov_b32 m0, s0
	s_sendmsg sendmsg(MSG_INTERRUPT)
	s_mov_b32 m0, ttmp2
.LBB174_1728:                           ; =>This Inner Loop Header: Depth=1
	s_sethalt 5
	s_branch .LBB174_1728
.LBB174_1729:
	s_mov_b32 s0, -1
	s_mov_b32 s14, 0
.LBB174_1730:
                                        ; implicit-def: $vgpr0
.LBB174_1731:
	s_and_b32 vcc_lo, exec_lo, s17
	s_cbranch_vccz .LBB174_1735
; %bb.1732:
	v_cmp_eq_u16_e32 vcc_lo, 44, v9
	s_cbranch_vccz .LBB174_1734
; %bb.1733:
	global_load_u8 v0, v[2:3], off
	s_mov_b32 s0, 0
	s_mov_b32 s14, -1
	s_waitcnt vmcnt(0)
	v_lshlrev_b32_e32 v1, 23, v0
	v_cmp_ne_u32_e32 vcc_lo, 0, v0
	s_delay_alu instid0(VALU_DEP_2) | instskip(NEXT) | instid1(VALU_DEP_1)
	v_trunc_f32_e32 v1, v1
	v_mul_f32_e64 v10, 0x2f800000, |v1|
	s_delay_alu instid0(VALU_DEP_1) | instskip(NEXT) | instid1(VALU_DEP_1)
	v_floor_f32_e32 v10, v10
	v_fma_f32 v10, 0xcf800000, v10, |v1|
	v_ashrrev_i32_e32 v1, 31, v1
	s_delay_alu instid0(VALU_DEP_2) | instskip(NEXT) | instid1(VALU_DEP_1)
	v_cvt_u32_f32_e32 v10, v10
	v_xor_b32_e32 v10, v10, v1
	s_delay_alu instid0(VALU_DEP_1) | instskip(NEXT) | instid1(VALU_DEP_1)
	v_sub_nc_u32_e32 v1, v10, v1
	v_cndmask_b32_e32 v0, 0, v1, vcc_lo
	s_branch .LBB174_1735
.LBB174_1734:
	s_mov_b32 s0, -1
                                        ; implicit-def: $vgpr0
.LBB174_1735:
	s_mov_b32 s17, 0
.LBB174_1736:
	s_delay_alu instid0(SALU_CYCLE_1)
	s_and_b32 vcc_lo, exec_lo, s17
	s_cbranch_vccz .LBB174_1740
; %bb.1737:
	v_cmp_eq_u16_e32 vcc_lo, 29, v9
	s_cbranch_vccz .LBB174_1739
; %bb.1738:
	global_load_b64 v[0:1], v[2:3], off
	s_mov_b32 s0, 0
	s_mov_b32 s14, -1
	s_branch .LBB174_1740
.LBB174_1739:
	s_mov_b32 s0, -1
                                        ; implicit-def: $vgpr0
.LBB174_1740:
	s_mov_b32 s17, 0
.LBB174_1741:
	s_delay_alu instid0(SALU_CYCLE_1)
	s_and_b32 vcc_lo, exec_lo, s17
	s_cbranch_vccz .LBB174_1757
; %bb.1742:
	v_cmp_gt_i16_e32 vcc_lo, 27, v9
	s_cbranch_vccnz .LBB174_1745
; %bb.1743:
	v_cmp_lt_i16_e32 vcc_lo, 27, v9
	s_cbranch_vccz .LBB174_1746
; %bb.1744:
	global_load_b32 v0, v[2:3], off
	s_mov_b32 s14, 0
	s_branch .LBB174_1747
.LBB174_1745:
	s_mov_b32 s14, -1
                                        ; implicit-def: $vgpr0
	s_branch .LBB174_1750
.LBB174_1746:
	s_mov_b32 s14, -1
                                        ; implicit-def: $vgpr0
.LBB174_1747:
	s_delay_alu instid0(SALU_CYCLE_1)
	s_and_not1_b32 vcc_lo, exec_lo, s14
	s_cbranch_vccnz .LBB174_1749
; %bb.1748:
	global_load_u16 v0, v[2:3], off
.LBB174_1749:
	s_mov_b32 s14, 0
.LBB174_1750:
	s_delay_alu instid0(SALU_CYCLE_1)
	s_and_not1_b32 vcc_lo, exec_lo, s14
	s_cbranch_vccnz .LBB174_1756
; %bb.1751:
	global_load_u8 v1, v[2:3], off
	s_mov_b32 s17, 0
	s_mov_b32 s14, exec_lo
                                        ; implicit-def: $sgpr18
	s_waitcnt vmcnt(0)
	v_cmpx_lt_i16_e32 0x7f, v1
	s_xor_b32 s14, exec_lo, s14
	s_cbranch_execz .LBB174_1767
; %bb.1752:
	v_cmp_ne_u16_e32 vcc_lo, 0x80, v1
	s_mov_b32 s18, 0
	s_and_b32 s17, vcc_lo, exec_lo
	s_or_saveexec_b32 s14, s14
	v_mov_b32_e32 v0, s18
	s_xor_b32 exec_lo, exec_lo, s14
	s_cbranch_execnz .LBB174_1768
.LBB174_1753:
	s_or_b32 exec_lo, exec_lo, s14
	s_and_saveexec_b32 s14, s17
	s_cbranch_execz .LBB174_1755
.LBB174_1754:
	v_and_b32_e32 v0, 0xffff, v1
	s_delay_alu instid0(VALU_DEP_1) | instskip(NEXT) | instid1(VALU_DEP_1)
	v_and_b32_e32 v10, 7, v0
	v_clz_i32_u32_e32 v11, v10
	s_delay_alu instid0(VALU_DEP_1) | instskip(NEXT) | instid1(VALU_DEP_1)
	v_min_u32_e32 v11, 32, v11
	v_subrev_nc_u32_e32 v12, 28, v11
	v_sub_nc_u32_e32 v11, 29, v11
	s_delay_alu instid0(VALU_DEP_2) | instskip(SKIP_1) | instid1(VALU_DEP_2)
	v_lshlrev_b32_e32 v12, v12, v0
	v_bfe_u32 v0, v0, 3, 4
	v_and_b32_e32 v12, 7, v12
	s_delay_alu instid0(VALU_DEP_2) | instskip(SKIP_1) | instid1(VALU_DEP_1)
	v_cmp_eq_u32_e32 vcc_lo, 0, v0
	v_dual_cndmask_b32 v0, v0, v11 :: v_dual_lshlrev_b32 v1, 24, v1
	v_dual_cndmask_b32 v10, v10, v12 :: v_dual_and_b32 v1, 0x80000000, v1
	s_delay_alu instid0(VALU_DEP_2) | instskip(NEXT) | instid1(VALU_DEP_2)
	v_lshl_add_u32 v0, v0, 23, 0x3b800000
	v_lshlrev_b32_e32 v10, 20, v10
	s_delay_alu instid0(VALU_DEP_1) | instskip(NEXT) | instid1(VALU_DEP_1)
	v_or3_b32 v0, v1, v0, v10
	v_trunc_f32_e32 v0, v0
	s_delay_alu instid0(VALU_DEP_1) | instskip(NEXT) | instid1(VALU_DEP_1)
	v_mul_f32_e64 v1, 0x2f800000, |v0|
	v_floor_f32_e32 v1, v1
	s_delay_alu instid0(VALU_DEP_1) | instskip(SKIP_1) | instid1(VALU_DEP_2)
	v_fma_f32 v1, 0xcf800000, v1, |v0|
	v_ashrrev_i32_e32 v0, 31, v0
	v_cvt_u32_f32_e32 v1, v1
	s_delay_alu instid0(VALU_DEP_1) | instskip(NEXT) | instid1(VALU_DEP_1)
	v_xor_b32_e32 v1, v1, v0
	v_sub_nc_u32_e32 v0, v1, v0
.LBB174_1755:
	s_or_b32 exec_lo, exec_lo, s14
.LBB174_1756:
	s_mov_b32 s14, -1
.LBB174_1757:
	s_branch .LBB174_1788
.LBB174_1758:
	v_cmp_lt_i16_e32 vcc_lo, 22, v9
	s_cbranch_vccz .LBB174_1766
; %bb.1759:
	v_cmp_gt_i16_e32 vcc_lo, 24, v9
	s_cbranch_vccnz .LBB174_1769
; %bb.1760:
	v_cmp_lt_i16_e32 vcc_lo, 24, v9
	s_cbranch_vccz .LBB174_1770
; %bb.1761:
	global_load_u8 v1, v[2:3], off
	s_mov_b32 s14, 0
	s_mov_b32 s1, exec_lo
                                        ; implicit-def: $sgpr17
	s_waitcnt vmcnt(0)
	v_cmpx_lt_i16_e32 0x7f, v1
	s_xor_b32 s1, exec_lo, s1
	s_cbranch_execz .LBB174_1782
; %bb.1762:
	v_cmp_ne_u16_e32 vcc_lo, 0x80, v1
	s_mov_b32 s17, 0
	s_and_b32 s14, vcc_lo, exec_lo
	s_or_saveexec_b32 s1, s1
	v_mov_b32_e32 v0, s17
	s_xor_b32 exec_lo, exec_lo, s1
	s_cbranch_execnz .LBB174_1783
.LBB174_1763:
	s_or_b32 exec_lo, exec_lo, s1
	s_and_saveexec_b32 s1, s14
	s_cbranch_execz .LBB174_1765
.LBB174_1764:
	v_and_b32_e32 v0, 0xffff, v1
	s_delay_alu instid0(VALU_DEP_1) | instskip(NEXT) | instid1(VALU_DEP_1)
	v_and_b32_e32 v10, 3, v0
	v_clz_i32_u32_e32 v11, v10
	s_delay_alu instid0(VALU_DEP_1) | instskip(NEXT) | instid1(VALU_DEP_1)
	v_min_u32_e32 v11, 32, v11
	v_subrev_nc_u32_e32 v12, 29, v11
	v_sub_nc_u32_e32 v11, 30, v11
	s_delay_alu instid0(VALU_DEP_2) | instskip(SKIP_1) | instid1(VALU_DEP_2)
	v_lshlrev_b32_e32 v12, v12, v0
	v_bfe_u32 v0, v0, 2, 5
	v_and_b32_e32 v12, 3, v12
	s_delay_alu instid0(VALU_DEP_2) | instskip(SKIP_1) | instid1(VALU_DEP_1)
	v_cmp_eq_u32_e32 vcc_lo, 0, v0
	v_dual_cndmask_b32 v0, v0, v11 :: v_dual_lshlrev_b32 v1, 24, v1
	v_dual_cndmask_b32 v10, v10, v12 :: v_dual_and_b32 v1, 0x80000000, v1
	s_delay_alu instid0(VALU_DEP_2) | instskip(NEXT) | instid1(VALU_DEP_2)
	v_lshl_add_u32 v0, v0, 23, 0x37800000
	v_lshlrev_b32_e32 v10, 21, v10
	s_delay_alu instid0(VALU_DEP_1) | instskip(NEXT) | instid1(VALU_DEP_1)
	v_or3_b32 v0, v1, v0, v10
	v_trunc_f32_e32 v0, v0
	s_delay_alu instid0(VALU_DEP_1) | instskip(NEXT) | instid1(VALU_DEP_1)
	v_mul_f32_e64 v1, 0x2f800000, |v0|
	v_floor_f32_e32 v1, v1
	s_delay_alu instid0(VALU_DEP_1) | instskip(SKIP_1) | instid1(VALU_DEP_2)
	v_fma_f32 v1, 0xcf800000, v1, |v0|
	v_ashrrev_i32_e32 v0, 31, v0
	v_cvt_u32_f32_e32 v1, v1
	s_delay_alu instid0(VALU_DEP_1) | instskip(NEXT) | instid1(VALU_DEP_1)
	v_xor_b32_e32 v1, v1, v0
	v_sub_nc_u32_e32 v0, v1, v0
.LBB174_1765:
	s_or_b32 exec_lo, exec_lo, s1
	s_mov_b32 s1, 0
	s_branch .LBB174_1771
.LBB174_1766:
	s_mov_b32 s1, -1
                                        ; implicit-def: $vgpr0
	s_branch .LBB174_1777
.LBB174_1767:
	s_or_saveexec_b32 s14, s14
	v_mov_b32_e32 v0, s18
	s_xor_b32 exec_lo, exec_lo, s14
	s_cbranch_execz .LBB174_1753
.LBB174_1768:
	v_cmp_ne_u16_e32 vcc_lo, 0, v1
	v_mov_b32_e32 v0, 0
	s_and_not1_b32 s17, s17, exec_lo
	s_and_b32 s18, vcc_lo, exec_lo
	s_delay_alu instid0(SALU_CYCLE_1)
	s_or_b32 s17, s17, s18
	s_or_b32 exec_lo, exec_lo, s14
	s_and_saveexec_b32 s14, s17
	s_cbranch_execnz .LBB174_1754
	s_branch .LBB174_1755
.LBB174_1769:
	s_mov_b32 s1, -1
                                        ; implicit-def: $vgpr0
	s_branch .LBB174_1774
.LBB174_1770:
	s_mov_b32 s1, -1
                                        ; implicit-def: $vgpr0
.LBB174_1771:
	s_delay_alu instid0(SALU_CYCLE_1)
	s_and_b32 vcc_lo, exec_lo, s1
	s_cbranch_vccz .LBB174_1773
; %bb.1772:
	global_load_u8 v0, v[2:3], off
	s_waitcnt vmcnt(0)
	v_lshlrev_b32_e32 v0, 24, v0
	s_delay_alu instid0(VALU_DEP_1) | instskip(NEXT) | instid1(VALU_DEP_1)
	v_and_b32_e32 v1, 0x7f000000, v0
	v_clz_i32_u32_e32 v10, v1
	v_add_nc_u32_e32 v12, 0x1000000, v1
	v_cmp_ne_u32_e32 vcc_lo, 0, v1
	s_delay_alu instid0(VALU_DEP_3) | instskip(NEXT) | instid1(VALU_DEP_1)
	v_min_u32_e32 v10, 32, v10
	v_sub_nc_u32_e64 v10, v10, 4 clamp
	s_delay_alu instid0(VALU_DEP_1) | instskip(SKIP_1) | instid1(VALU_DEP_2)
	v_lshlrev_b32_e32 v11, v10, v1
	v_lshlrev_b32_e32 v10, 23, v10
	v_lshrrev_b32_e32 v11, 4, v11
	s_delay_alu instid0(VALU_DEP_1) | instskip(SKIP_1) | instid1(VALU_DEP_2)
	v_sub_nc_u32_e32 v10, v11, v10
	v_ashrrev_i32_e32 v11, 8, v12
	v_add_nc_u32_e32 v10, 0x3c000000, v10
	s_delay_alu instid0(VALU_DEP_1) | instskip(NEXT) | instid1(VALU_DEP_1)
	v_and_or_b32 v10, 0x7f800000, v11, v10
	v_cndmask_b32_e32 v1, 0, v10, vcc_lo
	s_delay_alu instid0(VALU_DEP_1) | instskip(NEXT) | instid1(VALU_DEP_1)
	v_and_or_b32 v0, 0x80000000, v0, v1
	v_trunc_f32_e32 v0, v0
	s_delay_alu instid0(VALU_DEP_1) | instskip(NEXT) | instid1(VALU_DEP_1)
	v_mul_f32_e64 v1, 0x2f800000, |v0|
	v_floor_f32_e32 v1, v1
	s_delay_alu instid0(VALU_DEP_1) | instskip(SKIP_1) | instid1(VALU_DEP_2)
	v_fma_f32 v1, 0xcf800000, v1, |v0|
	v_ashrrev_i32_e32 v0, 31, v0
	v_cvt_u32_f32_e32 v1, v1
	s_delay_alu instid0(VALU_DEP_1) | instskip(NEXT) | instid1(VALU_DEP_1)
	v_xor_b32_e32 v1, v1, v0
	v_sub_nc_u32_e32 v0, v1, v0
.LBB174_1773:
	s_mov_b32 s1, 0
.LBB174_1774:
	s_delay_alu instid0(SALU_CYCLE_1)
	s_and_not1_b32 vcc_lo, exec_lo, s1
	s_cbranch_vccnz .LBB174_1776
; %bb.1775:
	global_load_u8 v0, v[2:3], off
	s_waitcnt vmcnt(0)
	v_lshlrev_b32_e32 v1, 25, v0
	v_lshlrev_b16 v0, 8, v0
	s_delay_alu instid0(VALU_DEP_2) | instskip(NEXT) | instid1(VALU_DEP_2)
	v_lshrrev_b32_e32 v10, 4, v1
	v_and_or_b32 v11, 0x7f00, v0, 0.5
	v_bfe_i32 v0, v0, 0, 16
	s_delay_alu instid0(VALU_DEP_3) | instskip(NEXT) | instid1(VALU_DEP_1)
	v_or_b32_e32 v10, 0x70000000, v10
	v_dual_add_f32 v11, -0.5, v11 :: v_dual_mul_f32 v10, 0x7800000, v10
	v_cmp_gt_u32_e32 vcc_lo, 0x8000000, v1
	s_delay_alu instid0(VALU_DEP_2) | instskip(NEXT) | instid1(VALU_DEP_1)
	v_cndmask_b32_e32 v1, v10, v11, vcc_lo
	v_and_or_b32 v0, 0x80000000, v0, v1
	s_delay_alu instid0(VALU_DEP_1) | instskip(NEXT) | instid1(VALU_DEP_1)
	v_trunc_f32_e32 v0, v0
	v_mul_f32_e64 v1, 0x2f800000, |v0|
	s_delay_alu instid0(VALU_DEP_1) | instskip(NEXT) | instid1(VALU_DEP_1)
	v_floor_f32_e32 v1, v1
	v_fma_f32 v1, 0xcf800000, v1, |v0|
	v_ashrrev_i32_e32 v0, 31, v0
	s_delay_alu instid0(VALU_DEP_2) | instskip(NEXT) | instid1(VALU_DEP_1)
	v_cvt_u32_f32_e32 v1, v1
	v_xor_b32_e32 v1, v1, v0
	s_delay_alu instid0(VALU_DEP_1)
	v_sub_nc_u32_e32 v0, v1, v0
.LBB174_1776:
	s_mov_b32 s1, 0
	s_mov_b32 s14, -1
.LBB174_1777:
	s_and_not1_b32 vcc_lo, exec_lo, s1
	s_mov_b32 s1, 0
	s_cbranch_vccnz .LBB174_1788
; %bb.1778:
	v_cmp_lt_i16_e32 vcc_lo, 14, v9
	s_cbranch_vccz .LBB174_1781
; %bb.1779:
	v_cmp_eq_u16_e32 vcc_lo, 15, v9
	s_cbranch_vccz .LBB174_1784
; %bb.1780:
	global_load_u16 v0, v[2:3], off
	s_mov_b32 s0, 0
	s_mov_b32 s14, -1
	s_waitcnt vmcnt(0)
	v_lshlrev_b32_e32 v0, 16, v0
	s_delay_alu instid0(VALU_DEP_1) | instskip(NEXT) | instid1(VALU_DEP_1)
	v_trunc_f32_e32 v0, v0
	v_mul_f32_e64 v1, 0x2f800000, |v0|
	s_delay_alu instid0(VALU_DEP_1) | instskip(NEXT) | instid1(VALU_DEP_1)
	v_floor_f32_e32 v1, v1
	v_fma_f32 v1, 0xcf800000, v1, |v0|
	v_ashrrev_i32_e32 v0, 31, v0
	s_delay_alu instid0(VALU_DEP_2) | instskip(NEXT) | instid1(VALU_DEP_1)
	v_cvt_u32_f32_e32 v1, v1
	v_xor_b32_e32 v1, v1, v0
	s_delay_alu instid0(VALU_DEP_1)
	v_sub_nc_u32_e32 v0, v1, v0
	s_branch .LBB174_1786
.LBB174_1781:
	s_mov_b32 s1, -1
	s_branch .LBB174_1785
.LBB174_1782:
	s_or_saveexec_b32 s1, s1
	v_mov_b32_e32 v0, s17
	s_xor_b32 exec_lo, exec_lo, s1
	s_cbranch_execz .LBB174_1763
.LBB174_1783:
	v_cmp_ne_u16_e32 vcc_lo, 0, v1
	v_mov_b32_e32 v0, 0
	s_and_not1_b32 s14, s14, exec_lo
	s_and_b32 s17, vcc_lo, exec_lo
	s_delay_alu instid0(SALU_CYCLE_1)
	s_or_b32 s14, s14, s17
	s_or_b32 exec_lo, exec_lo, s1
	s_and_saveexec_b32 s1, s14
	s_cbranch_execnz .LBB174_1764
	s_branch .LBB174_1765
.LBB174_1784:
	s_mov_b32 s0, -1
.LBB174_1785:
                                        ; implicit-def: $vgpr0
.LBB174_1786:
	s_and_b32 vcc_lo, exec_lo, s1
	s_mov_b32 s1, 0
	s_cbranch_vccz .LBB174_1788
; %bb.1787:
	v_cmp_ne_u16_e64 s0, 11, v9
	s_mov_b32 s1, -1
                                        ; implicit-def: $vgpr0
.LBB174_1788:
	s_delay_alu instid0(VALU_DEP_1)
	s_and_b32 vcc_lo, exec_lo, s0
	s_cbranch_vccnz .LBB174_1812
; %bb.1789:
	s_and_not1_b32 vcc_lo, exec_lo, s1
	s_cbranch_vccnz .LBB174_1791
.LBB174_1790:
	global_load_u8 v0, v[2:3], off
	s_mov_b32 s14, -1
	s_waitcnt vmcnt(0)
	v_cmp_ne_u16_e32 vcc_lo, 0, v0
	v_cndmask_b32_e64 v0, 0, 1, vcc_lo
.LBB174_1791:
.LBB174_1792:
	s_and_not1_b32 vcc_lo, exec_lo, s14
	s_cbranch_vccnz .LBB174_3021
.LBB174_1793:
	s_lshl_b32 s1, s9, 7
	v_cmp_gt_i16_e32 vcc_lo, 11, v6
	v_add_nc_u32_e32 v11, s1, v4
	s_and_b32 vcc_lo, exec_lo, vcc_lo
	s_delay_alu instid0(VALU_DEP_1) | instskip(SKIP_2) | instid1(VALU_DEP_1)
	v_ashrrev_i32_e32 v2, 31, v11
	s_waitcnt vmcnt(0)
	v_add_co_u32 v1, s0, s6, v11
	v_add_co_ci_u32_e64 v2, s0, s7, v2, s0
	s_cbranch_vccnz .LBB174_1800
; %bb.1794:
	v_cmp_lt_i16_e32 vcc_lo, 25, v6
	s_mov_b32 s9, 0
	s_cbranch_vccz .LBB174_1806
; %bb.1795:
	v_cmp_lt_i16_e32 vcc_lo, 28, v6
	s_cbranch_vccz .LBB174_1808
; %bb.1796:
	v_cmp_lt_i16_e32 vcc_lo, 43, v6
	;; [unrolled: 3-line block ×3, first 2 shown]
	s_cbranch_vccz .LBB174_1816
; %bb.1798:
	v_cmp_eq_u16_e32 vcc_lo, 46, v6
	s_mov_b32 s17, 0
	s_cbranch_vccz .LBB174_1859
; %bb.1799:
	global_load_b32 v10, v[1:2], off
	s_mov_b32 s0, 0
	s_mov_b32 s14, -1
	s_branch .LBB174_1861
.LBB174_1800:
	s_mov_b32 s14, 0
                                        ; implicit-def: $vgpr10
	s_cbranch_execz .LBB174_1927
; %bb.1801:
	v_cmp_gt_i16_e32 vcc_lo, 5, v6
	s_cbranch_vccnz .LBB174_1807
; %bb.1802:
	v_cmp_gt_i16_e32 vcc_lo, 8, v6
	s_cbranch_vccnz .LBB174_1809
	;; [unrolled: 3-line block ×3, first 2 shown]
; %bb.1804:
	v_cmp_lt_i16_e32 vcc_lo, 9, v6
	s_cbranch_vccz .LBB174_1817
; %bb.1805:
	global_load_b64 v[3:4], v[1:2], off
	s_mov_b32 s0, 0
	s_waitcnt vmcnt(0)
	v_cvt_f32_f64_e32 v3, v[3:4]
	s_delay_alu instid0(VALU_DEP_1) | instskip(SKIP_1) | instid1(VALU_DEP_2)
	v_bfe_u32 v4, v3, 16, 1
	v_cmp_o_f32_e32 vcc_lo, v3, v3
	v_add3_u32 v4, v3, v4, 0x7fff
	s_delay_alu instid0(VALU_DEP_1) | instskip(NEXT) | instid1(VALU_DEP_1)
	v_lshrrev_b32_e32 v4, 16, v4
	v_cndmask_b32_e32 v10, 0x7fc0, v4, vcc_lo
	s_branch .LBB174_1818
.LBB174_1806:
	s_mov_b32 s17, -1
	s_mov_b32 s14, 0
	s_mov_b32 s0, 0
                                        ; implicit-def: $vgpr10
	s_branch .LBB174_1890
.LBB174_1807:
	s_mov_b32 s0, -1
                                        ; implicit-def: $vgpr10
	s_branch .LBB174_1836
.LBB174_1808:
	s_mov_b32 s17, -1
	s_mov_b32 s14, 0
	s_mov_b32 s0, 0
                                        ; implicit-def: $vgpr10
	s_branch .LBB174_1871
.LBB174_1809:
	s_mov_b32 s0, -1
                                        ; implicit-def: $vgpr10
	s_branch .LBB174_1824
.LBB174_1810:
	s_mov_b32 s17, -1
	s_mov_b32 s14, 0
	s_mov_b32 s0, 0
                                        ; implicit-def: $vgpr10
	s_branch .LBB174_1866
.LBB174_1811:
	s_mov_b32 s0, -1
                                        ; implicit-def: $vgpr10
	s_branch .LBB174_1821
.LBB174_1812:
	s_cbranch_execnz .LBB174_1857
; %bb.1813:
	s_or_b32 s13, s13, exec_lo
                                        ; implicit-def: $vgpr0
	s_cbranch_execz .LBB174_1790
	s_branch .LBB174_1791
.LBB174_1814:
	s_or_saveexec_b32 s22, s22
                                        ; implicit-def: $sgpr23
	s_delay_alu instid0(SALU_CYCLE_1)
	s_xor_b32 exec_lo, exec_lo, s22
	s_cbranch_execz .LBB174_1459
.LBB174_1815:
	v_add_f32_e64 v4, 0x42800000, |v6|
	s_and_not1_b32 s21, s21, exec_lo
	s_mov_b32 s23, 0
	s_delay_alu instid0(VALU_DEP_1) | instskip(NEXT) | instid1(VALU_DEP_1)
	v_and_b32_e32 v4, 0xff, v4
	v_cmp_ne_u32_e32 vcc_lo, 0, v4
	s_and_b32 s24, vcc_lo, exec_lo
	s_delay_alu instid0(SALU_CYCLE_1)
	s_or_b32 s21, s21, s24
	s_or_b32 exec_lo, exec_lo, s22
	v_mov_b32_e32 v7, s23
	s_and_saveexec_b32 s22, s21
	s_cbranch_execnz .LBB174_1460
	s_branch .LBB174_1461
.LBB174_1816:
	s_mov_b32 s17, -1
	s_mov_b32 s14, 0
	s_mov_b32 s0, 0
	s_branch .LBB174_1860
.LBB174_1817:
	s_mov_b32 s0, -1
                                        ; implicit-def: $vgpr10
.LBB174_1818:
	s_delay_alu instid0(SALU_CYCLE_1)
	s_and_not1_b32 vcc_lo, exec_lo, s0
	s_cbranch_vccnz .LBB174_1820
; %bb.1819:
	global_load_b32 v3, v[1:2], off
	s_waitcnt vmcnt(0)
	v_bfe_u32 v4, v3, 16, 1
	v_cmp_o_f32_e32 vcc_lo, v3, v3
	s_delay_alu instid0(VALU_DEP_2) | instskip(NEXT) | instid1(VALU_DEP_1)
	v_add3_u32 v4, v3, v4, 0x7fff
	v_lshrrev_b32_e32 v4, 16, v4
	s_delay_alu instid0(VALU_DEP_1)
	v_cndmask_b32_e32 v10, 0x7fc0, v4, vcc_lo
.LBB174_1820:
	s_mov_b32 s0, 0
.LBB174_1821:
	s_delay_alu instid0(SALU_CYCLE_1)
	s_and_not1_b32 vcc_lo, exec_lo, s0
	s_cbranch_vccnz .LBB174_1823
; %bb.1822:
	global_load_b32 v3, v[1:2], off
	s_waitcnt vmcnt(0)
	v_cvt_f32_f16_e32 v4, v3
	v_cmp_o_f16_e32 vcc_lo, v3, v3
	s_delay_alu instid0(VALU_DEP_2) | instskip(NEXT) | instid1(VALU_DEP_1)
	v_bfe_u32 v10, v4, 16, 1
	v_add3_u32 v4, v4, v10, 0x7fff
	s_delay_alu instid0(VALU_DEP_1) | instskip(NEXT) | instid1(VALU_DEP_1)
	v_lshrrev_b32_e32 v4, 16, v4
	v_cndmask_b32_e32 v10, 0x7fc0, v4, vcc_lo
.LBB174_1823:
	s_mov_b32 s0, 0
.LBB174_1824:
	s_delay_alu instid0(SALU_CYCLE_1)
	s_and_not1_b32 vcc_lo, exec_lo, s0
	s_cbranch_vccnz .LBB174_1835
; %bb.1825:
	v_cmp_gt_i16_e32 vcc_lo, 6, v6
	s_cbranch_vccnz .LBB174_1828
; %bb.1826:
	v_cmp_lt_i16_e32 vcc_lo, 6, v6
	s_cbranch_vccz .LBB174_1829
; %bb.1827:
	global_load_b64 v[3:4], v[1:2], off
	s_mov_b32 s0, 0
	s_waitcnt vmcnt(0)
	v_cvt_f32_f64_e32 v3, v[3:4]
	s_delay_alu instid0(VALU_DEP_1) | instskip(SKIP_1) | instid1(VALU_DEP_2)
	v_bfe_u32 v4, v3, 16, 1
	v_cmp_o_f32_e32 vcc_lo, v3, v3
	v_add3_u32 v4, v3, v4, 0x7fff
	s_delay_alu instid0(VALU_DEP_1) | instskip(NEXT) | instid1(VALU_DEP_1)
	v_lshrrev_b32_e32 v4, 16, v4
	v_cndmask_b32_e32 v10, 0x7fc0, v4, vcc_lo
	s_branch .LBB174_1830
.LBB174_1828:
	s_mov_b32 s0, -1
                                        ; implicit-def: $vgpr10
	s_branch .LBB174_1833
.LBB174_1829:
	s_mov_b32 s0, -1
                                        ; implicit-def: $vgpr10
.LBB174_1830:
	s_delay_alu instid0(SALU_CYCLE_1)
	s_and_not1_b32 vcc_lo, exec_lo, s0
	s_cbranch_vccnz .LBB174_1832
; %bb.1831:
	global_load_b32 v3, v[1:2], off
	s_waitcnt vmcnt(0)
	v_bfe_u32 v4, v3, 16, 1
	v_cmp_o_f32_e32 vcc_lo, v3, v3
	s_delay_alu instid0(VALU_DEP_2) | instskip(NEXT) | instid1(VALU_DEP_1)
	v_add3_u32 v4, v3, v4, 0x7fff
	v_lshrrev_b32_e32 v4, 16, v4
	s_delay_alu instid0(VALU_DEP_1)
	v_cndmask_b32_e32 v10, 0x7fc0, v4, vcc_lo
.LBB174_1832:
	s_mov_b32 s0, 0
.LBB174_1833:
	s_delay_alu instid0(SALU_CYCLE_1)
	s_and_not1_b32 vcc_lo, exec_lo, s0
	s_cbranch_vccnz .LBB174_1835
; %bb.1834:
	global_load_u16 v3, v[1:2], off
	s_waitcnt vmcnt(0)
	v_cvt_f32_f16_e32 v4, v3
	v_cmp_o_f16_e32 vcc_lo, v3, v3
	s_delay_alu instid0(VALU_DEP_2) | instskip(NEXT) | instid1(VALU_DEP_1)
	v_bfe_u32 v10, v4, 16, 1
	v_add3_u32 v4, v4, v10, 0x7fff
	s_delay_alu instid0(VALU_DEP_1) | instskip(NEXT) | instid1(VALU_DEP_1)
	v_lshrrev_b32_e32 v4, 16, v4
	v_cndmask_b32_e32 v10, 0x7fc0, v4, vcc_lo
.LBB174_1835:
	s_mov_b32 s0, 0
.LBB174_1836:
	s_delay_alu instid0(SALU_CYCLE_1)
	s_and_not1_b32 vcc_lo, exec_lo, s0
	s_cbranch_vccnz .LBB174_1856
; %bb.1837:
	v_cmp_gt_i16_e32 vcc_lo, 2, v6
	s_cbranch_vccnz .LBB174_1841
; %bb.1838:
	v_cmp_gt_i16_e32 vcc_lo, 3, v6
	s_cbranch_vccnz .LBB174_1842
; %bb.1839:
	v_cmp_lt_i16_e32 vcc_lo, 3, v6
	s_cbranch_vccz .LBB174_1843
; %bb.1840:
	global_load_b64 v[3:4], v[1:2], off
	s_mov_b32 s0, 0
	s_waitcnt vmcnt(0)
	v_xor_b32_e32 v10, v3, v4
	v_cls_i32_e32 v12, v4
	s_delay_alu instid0(VALU_DEP_2) | instskip(NEXT) | instid1(VALU_DEP_2)
	v_ashrrev_i32_e32 v10, 31, v10
	v_add_nc_u32_e32 v12, -1, v12
	s_delay_alu instid0(VALU_DEP_2) | instskip(NEXT) | instid1(VALU_DEP_1)
	v_add_nc_u32_e32 v10, 32, v10
	v_min_u32_e32 v10, v12, v10
	s_delay_alu instid0(VALU_DEP_1) | instskip(NEXT) | instid1(VALU_DEP_1)
	v_lshlrev_b64 v[3:4], v10, v[3:4]
	v_min_u32_e32 v3, 1, v3
	s_delay_alu instid0(VALU_DEP_1) | instskip(SKIP_1) | instid1(VALU_DEP_2)
	v_or_b32_e32 v3, v4, v3
	v_sub_nc_u32_e32 v4, 32, v10
	v_cvt_f32_i32_e32 v3, v3
	s_delay_alu instid0(VALU_DEP_1) | instskip(NEXT) | instid1(VALU_DEP_1)
	v_ldexp_f32 v3, v3, v4
	v_bfe_u32 v4, v3, 16, 1
	s_delay_alu instid0(VALU_DEP_1) | instskip(NEXT) | instid1(VALU_DEP_1)
	v_add3_u32 v3, v3, v4, 0x7fff
	v_lshrrev_b32_e32 v10, 16, v3
	s_branch .LBB174_1844
.LBB174_1841:
	s_mov_b32 s0, -1
                                        ; implicit-def: $vgpr10
	s_branch .LBB174_1850
.LBB174_1842:
	s_mov_b32 s0, -1
                                        ; implicit-def: $vgpr10
	s_branch .LBB174_1847
.LBB174_1843:
	s_mov_b32 s0, -1
                                        ; implicit-def: $vgpr10
.LBB174_1844:
	s_delay_alu instid0(SALU_CYCLE_1)
	s_and_not1_b32 vcc_lo, exec_lo, s0
	s_cbranch_vccnz .LBB174_1846
; %bb.1845:
	global_load_b32 v3, v[1:2], off
	s_waitcnt vmcnt(0)
	v_cvt_f32_i32_e32 v3, v3
	s_delay_alu instid0(VALU_DEP_1) | instskip(NEXT) | instid1(VALU_DEP_1)
	v_bfe_u32 v4, v3, 16, 1
	v_add3_u32 v3, v3, v4, 0x7fff
	s_delay_alu instid0(VALU_DEP_1)
	v_lshrrev_b32_e32 v10, 16, v3
.LBB174_1846:
	s_mov_b32 s0, 0
.LBB174_1847:
	s_delay_alu instid0(SALU_CYCLE_1)
	s_and_not1_b32 vcc_lo, exec_lo, s0
	s_cbranch_vccnz .LBB174_1849
; %bb.1848:
	global_load_i16 v3, v[1:2], off
	s_waitcnt vmcnt(0)
	v_cvt_f32_i32_e32 v3, v3
	s_delay_alu instid0(VALU_DEP_1) | instskip(NEXT) | instid1(VALU_DEP_1)
	v_bfe_u32 v4, v3, 16, 1
	v_add3_u32 v3, v3, v4, 0x7fff
	s_delay_alu instid0(VALU_DEP_1)
	v_lshrrev_b32_e32 v10, 16, v3
.LBB174_1849:
	s_mov_b32 s0, 0
.LBB174_1850:
	s_delay_alu instid0(SALU_CYCLE_1)
	s_and_not1_b32 vcc_lo, exec_lo, s0
	s_cbranch_vccnz .LBB174_1856
; %bb.1851:
	v_cmp_lt_i16_e32 vcc_lo, 0, v6
	s_mov_b32 s0, 0
	s_cbranch_vccz .LBB174_1853
; %bb.1852:
	global_load_i8 v3, v[1:2], off
	s_waitcnt vmcnt(0)
	v_cvt_f32_i32_e32 v3, v3
	s_delay_alu instid0(VALU_DEP_1) | instskip(NEXT) | instid1(VALU_DEP_1)
	v_bfe_u32 v4, v3, 16, 1
	v_add3_u32 v3, v3, v4, 0x7fff
	s_delay_alu instid0(VALU_DEP_1)
	v_lshrrev_b32_e32 v10, 16, v3
	s_branch .LBB174_1854
.LBB174_1853:
	s_mov_b32 s0, -1
                                        ; implicit-def: $vgpr10
.LBB174_1854:
	s_delay_alu instid0(SALU_CYCLE_1)
	s_and_not1_b32 vcc_lo, exec_lo, s0
	s_cbranch_vccnz .LBB174_1856
; %bb.1855:
	global_load_u8 v1, v[1:2], off
	s_waitcnt vmcnt(0)
	v_cvt_f32_ubyte0_e32 v1, v1
	s_delay_alu instid0(VALU_DEP_1) | instskip(NEXT) | instid1(VALU_DEP_1)
	v_bfe_u32 v2, v1, 16, 1
	v_add3_u32 v1, v1, v2, 0x7fff
	s_delay_alu instid0(VALU_DEP_1)
	v_lshrrev_b32_e32 v10, 16, v1
.LBB174_1856:
	s_branch .LBB174_1928
.LBB174_1857:
	s_trap 2
	s_sendmsg_rtn_b32 s0, sendmsg(MSG_RTN_GET_DOORBELL)
	s_mov_b32 ttmp2, m0
	s_waitcnt lgkmcnt(0)
	s_and_b32 s0, s0, 0x3ff
	s_delay_alu instid0(SALU_CYCLE_1) | instskip(NEXT) | instid1(SALU_CYCLE_1)
	s_bitset1_b32 s0, 10
	s_mov_b32 m0, s0
	s_sendmsg sendmsg(MSG_INTERRUPT)
	s_mov_b32 m0, ttmp2
.LBB174_1858:                           ; =>This Inner Loop Header: Depth=1
	s_sethalt 5
	s_branch .LBB174_1858
.LBB174_1859:
	s_mov_b32 s0, -1
	s_mov_b32 s14, 0
.LBB174_1860:
                                        ; implicit-def: $vgpr10
.LBB174_1861:
	s_and_b32 vcc_lo, exec_lo, s17
	s_cbranch_vccz .LBB174_1865
; %bb.1862:
	v_cmp_eq_u16_e32 vcc_lo, 44, v6
	s_cbranch_vccz .LBB174_1864
; %bb.1863:
	global_load_u8 v3, v[1:2], off
	s_mov_b32 s0, 0
	s_mov_b32 s14, -1
	s_waitcnt vmcnt(0)
	v_lshlrev_b32_e32 v4, 23, v3
	v_cmp_ne_u32_e32 vcc_lo, 0xff, v3
	s_delay_alu instid0(VALU_DEP_2) | instskip(SKIP_1) | instid1(VALU_DEP_2)
	v_cndmask_b32_e32 v4, 0x7f800001, v4, vcc_lo
	v_cmp_ne_u32_e32 vcc_lo, 0, v3
	v_cndmask_b32_e32 v3, 0x400000, v4, vcc_lo
	s_delay_alu instid0(VALU_DEP_1) | instskip(SKIP_1) | instid1(VALU_DEP_2)
	v_add_nc_u32_e32 v4, 0x7fff, v3
	v_cmp_o_f32_e32 vcc_lo, v3, v3
	v_lshrrev_b32_e32 v4, 16, v4
	s_delay_alu instid0(VALU_DEP_1)
	v_cndmask_b32_e32 v10, 0x7fc0, v4, vcc_lo
	s_branch .LBB174_1865
.LBB174_1864:
	s_mov_b32 s0, -1
                                        ; implicit-def: $vgpr10
.LBB174_1865:
	s_mov_b32 s17, 0
.LBB174_1866:
	s_delay_alu instid0(SALU_CYCLE_1)
	s_and_b32 vcc_lo, exec_lo, s17
	s_cbranch_vccz .LBB174_1870
; %bb.1867:
	v_cmp_eq_u16_e32 vcc_lo, 29, v6
	s_cbranch_vccz .LBB174_1869
; %bb.1868:
	global_load_b64 v[3:4], v[1:2], off
	s_mov_b32 s0, 0
	s_mov_b32 s14, -1
	s_mov_b32 s17, 0
	s_waitcnt vmcnt(0)
	v_clz_i32_u32_e32 v10, v4
	s_delay_alu instid0(VALU_DEP_1) | instskip(NEXT) | instid1(VALU_DEP_1)
	v_min_u32_e32 v10, 32, v10
	v_lshlrev_b64 v[3:4], v10, v[3:4]
	s_delay_alu instid0(VALU_DEP_1) | instskip(NEXT) | instid1(VALU_DEP_1)
	v_min_u32_e32 v3, 1, v3
	v_or_b32_e32 v3, v4, v3
	v_sub_nc_u32_e32 v4, 32, v10
	s_delay_alu instid0(VALU_DEP_2) | instskip(NEXT) | instid1(VALU_DEP_1)
	v_cvt_f32_u32_e32 v3, v3
	v_ldexp_f32 v3, v3, v4
	s_delay_alu instid0(VALU_DEP_1) | instskip(NEXT) | instid1(VALU_DEP_1)
	v_bfe_u32 v4, v3, 16, 1
	v_add3_u32 v3, v3, v4, 0x7fff
	s_delay_alu instid0(VALU_DEP_1)
	v_lshrrev_b32_e32 v10, 16, v3
	s_branch .LBB174_1871
.LBB174_1869:
	s_mov_b32 s0, -1
                                        ; implicit-def: $vgpr10
.LBB174_1870:
	s_mov_b32 s17, 0
.LBB174_1871:
	s_delay_alu instid0(SALU_CYCLE_1)
	s_and_b32 vcc_lo, exec_lo, s17
	s_cbranch_vccz .LBB174_1889
; %bb.1872:
	v_cmp_gt_i16_e32 vcc_lo, 27, v6
	s_cbranch_vccnz .LBB174_1875
; %bb.1873:
	v_cmp_lt_i16_e32 vcc_lo, 27, v6
	s_cbranch_vccz .LBB174_1876
; %bb.1874:
	global_load_b32 v3, v[1:2], off
	s_mov_b32 s14, 0
	s_waitcnt vmcnt(0)
	v_cvt_f32_u32_e32 v3, v3
	s_delay_alu instid0(VALU_DEP_1) | instskip(NEXT) | instid1(VALU_DEP_1)
	v_bfe_u32 v4, v3, 16, 1
	v_add3_u32 v3, v3, v4, 0x7fff
	s_delay_alu instid0(VALU_DEP_1)
	v_lshrrev_b32_e32 v10, 16, v3
	s_branch .LBB174_1877
.LBB174_1875:
	s_mov_b32 s14, -1
                                        ; implicit-def: $vgpr10
	s_branch .LBB174_1880
.LBB174_1876:
	s_mov_b32 s14, -1
                                        ; implicit-def: $vgpr10
.LBB174_1877:
	s_delay_alu instid0(SALU_CYCLE_1)
	s_and_not1_b32 vcc_lo, exec_lo, s14
	s_cbranch_vccnz .LBB174_1879
; %bb.1878:
	global_load_u16 v3, v[1:2], off
	s_waitcnt vmcnt(0)
	v_cvt_f32_u32_e32 v3, v3
	s_delay_alu instid0(VALU_DEP_1) | instskip(NEXT) | instid1(VALU_DEP_1)
	v_bfe_u32 v4, v3, 16, 1
	v_add3_u32 v3, v3, v4, 0x7fff
	s_delay_alu instid0(VALU_DEP_1)
	v_lshrrev_b32_e32 v10, 16, v3
.LBB174_1879:
	s_mov_b32 s14, 0
.LBB174_1880:
	s_delay_alu instid0(SALU_CYCLE_1)
	s_and_not1_b32 vcc_lo, exec_lo, s14
	s_cbranch_vccnz .LBB174_1888
; %bb.1881:
	global_load_u8 v3, v[1:2], off
	s_mov_b32 s14, 0
	s_mov_b32 s18, exec_lo
                                        ; implicit-def: $sgpr17
	s_waitcnt vmcnt(0)
	v_cmpx_lt_i16_e32 0x7f, v3
	s_xor_b32 s18, exec_lo, s18
	s_cbranch_execz .LBB174_1902
; %bb.1882:
	s_mov_b32 s14, -1
	s_mov_b32 s19, exec_lo
                                        ; implicit-def: $sgpr17
	v_cmpx_eq_u16_e32 0x80, v3
; %bb.1883:
	s_mov_b32 s17, 0x7f800001
	s_xor_b32 s14, exec_lo, -1
; %bb.1884:
	s_or_b32 exec_lo, exec_lo, s19
	s_delay_alu instid0(SALU_CYCLE_1)
	s_and_b32 s14, s14, exec_lo
	s_or_saveexec_b32 s18, s18
	v_mov_b32_e32 v4, s17
	s_xor_b32 exec_lo, exec_lo, s18
	s_cbranch_execnz .LBB174_1903
.LBB174_1885:
	s_or_b32 exec_lo, exec_lo, s18
	s_and_saveexec_b32 s17, s14
	s_cbranch_execz .LBB174_1887
.LBB174_1886:
	v_and_b32_e32 v4, 0xffff, v3
	s_delay_alu instid0(VALU_DEP_1) | instskip(NEXT) | instid1(VALU_DEP_1)
	v_and_b32_e32 v10, 7, v4
	v_clz_i32_u32_e32 v12, v10
	s_delay_alu instid0(VALU_DEP_1) | instskip(NEXT) | instid1(VALU_DEP_1)
	v_min_u32_e32 v12, 32, v12
	v_subrev_nc_u32_e32 v13, 28, v12
	v_sub_nc_u32_e32 v12, 29, v12
	s_delay_alu instid0(VALU_DEP_2) | instskip(SKIP_1) | instid1(VALU_DEP_1)
	v_lshlrev_b32_e32 v13, v13, v4
	v_bfe_u32 v4, v4, 3, 4
	v_cmp_eq_u32_e32 vcc_lo, 0, v4
	s_delay_alu instid0(VALU_DEP_3) | instskip(NEXT) | instid1(VALU_DEP_1)
	v_dual_cndmask_b32 v4, v4, v12 :: v_dual_and_b32 v13, 7, v13
	v_dual_cndmask_b32 v10, v10, v13 :: v_dual_lshlrev_b32 v3, 24, v3
	s_delay_alu instid0(VALU_DEP_2) | instskip(NEXT) | instid1(VALU_DEP_2)
	v_lshl_add_u32 v4, v4, 23, 0x3b800000
	v_and_b32_e32 v3, 0x80000000, v3
	s_delay_alu instid0(VALU_DEP_3) | instskip(NEXT) | instid1(VALU_DEP_1)
	v_lshlrev_b32_e32 v10, 20, v10
	v_or3_b32 v4, v3, v4, v10
.LBB174_1887:
	s_or_b32 exec_lo, exec_lo, s17
	s_delay_alu instid0(VALU_DEP_1) | instskip(SKIP_1) | instid1(VALU_DEP_2)
	v_bfe_u32 v3, v4, 16, 1
	v_cmp_o_f32_e32 vcc_lo, v4, v4
	v_add3_u32 v3, v4, v3, 0x7fff
	s_delay_alu instid0(VALU_DEP_1) | instskip(NEXT) | instid1(VALU_DEP_1)
	v_lshrrev_b32_e32 v3, 16, v3
	v_cndmask_b32_e32 v10, 0x7fc0, v3, vcc_lo
.LBB174_1888:
	s_mov_b32 s14, -1
.LBB174_1889:
	s_mov_b32 s17, 0
.LBB174_1890:
	s_delay_alu instid0(SALU_CYCLE_1)
	s_and_b32 vcc_lo, exec_lo, s17
	s_cbranch_vccz .LBB174_1923
; %bb.1891:
	v_cmp_lt_i16_e32 vcc_lo, 22, v6
	s_cbranch_vccz .LBB174_1901
; %bb.1892:
	v_cmp_gt_i16_e32 vcc_lo, 24, v6
	s_cbranch_vccnz .LBB174_1904
; %bb.1893:
	v_cmp_lt_i16_e32 vcc_lo, 24, v6
	s_cbranch_vccz .LBB174_1905
; %bb.1894:
	global_load_u8 v3, v[1:2], off
	s_mov_b32 s17, exec_lo
                                        ; implicit-def: $sgpr14
	s_waitcnt vmcnt(0)
	v_cmpx_lt_i16_e32 0x7f, v3
	s_xor_b32 s17, exec_lo, s17
	s_cbranch_execz .LBB174_1917
; %bb.1895:
	s_mov_b32 s9, -1
	s_mov_b32 s18, exec_lo
                                        ; implicit-def: $sgpr14
	v_cmpx_eq_u16_e32 0x80, v3
; %bb.1896:
	s_mov_b32 s14, 0x7f800001
	s_xor_b32 s9, exec_lo, -1
; %bb.1897:
	s_or_b32 exec_lo, exec_lo, s18
	s_delay_alu instid0(SALU_CYCLE_1)
	s_and_b32 s9, s9, exec_lo
	s_or_saveexec_b32 s17, s17
	v_mov_b32_e32 v4, s14
	s_xor_b32 exec_lo, exec_lo, s17
	s_cbranch_execnz .LBB174_1918
.LBB174_1898:
	s_or_b32 exec_lo, exec_lo, s17
	s_and_saveexec_b32 s14, s9
	s_cbranch_execz .LBB174_1900
.LBB174_1899:
	v_and_b32_e32 v4, 0xffff, v3
	s_delay_alu instid0(VALU_DEP_1) | instskip(NEXT) | instid1(VALU_DEP_1)
	v_and_b32_e32 v10, 3, v4
	v_clz_i32_u32_e32 v12, v10
	s_delay_alu instid0(VALU_DEP_1) | instskip(NEXT) | instid1(VALU_DEP_1)
	v_min_u32_e32 v12, 32, v12
	v_subrev_nc_u32_e32 v13, 29, v12
	v_sub_nc_u32_e32 v12, 30, v12
	s_delay_alu instid0(VALU_DEP_2) | instskip(SKIP_1) | instid1(VALU_DEP_1)
	v_lshlrev_b32_e32 v13, v13, v4
	v_bfe_u32 v4, v4, 2, 5
	v_cmp_eq_u32_e32 vcc_lo, 0, v4
	s_delay_alu instid0(VALU_DEP_3) | instskip(NEXT) | instid1(VALU_DEP_1)
	v_dual_cndmask_b32 v4, v4, v12 :: v_dual_and_b32 v13, 3, v13
	v_dual_cndmask_b32 v10, v10, v13 :: v_dual_lshlrev_b32 v3, 24, v3
	s_delay_alu instid0(VALU_DEP_2) | instskip(NEXT) | instid1(VALU_DEP_2)
	v_lshl_add_u32 v4, v4, 23, 0x37800000
	v_and_b32_e32 v3, 0x80000000, v3
	s_delay_alu instid0(VALU_DEP_3) | instskip(NEXT) | instid1(VALU_DEP_1)
	v_lshlrev_b32_e32 v10, 21, v10
	v_or3_b32 v4, v3, v4, v10
.LBB174_1900:
	s_or_b32 exec_lo, exec_lo, s14
	s_delay_alu instid0(VALU_DEP_1) | instskip(SKIP_2) | instid1(VALU_DEP_2)
	v_bfe_u32 v3, v4, 16, 1
	v_cmp_o_f32_e32 vcc_lo, v4, v4
	s_mov_b32 s9, 0
	v_add3_u32 v3, v4, v3, 0x7fff
	s_delay_alu instid0(VALU_DEP_1) | instskip(NEXT) | instid1(VALU_DEP_1)
	v_lshrrev_b32_e32 v3, 16, v3
	v_cndmask_b32_e32 v10, 0x7fc0, v3, vcc_lo
	s_branch .LBB174_1906
.LBB174_1901:
	s_mov_b32 s9, -1
                                        ; implicit-def: $vgpr10
	s_branch .LBB174_1912
.LBB174_1902:
	s_or_saveexec_b32 s18, s18
	v_mov_b32_e32 v4, s17
	s_xor_b32 exec_lo, exec_lo, s18
	s_cbranch_execz .LBB174_1885
.LBB174_1903:
	v_cmp_ne_u16_e32 vcc_lo, 0, v3
	v_mov_b32_e32 v4, 0
	s_and_not1_b32 s14, s14, exec_lo
	s_and_b32 s17, vcc_lo, exec_lo
	s_delay_alu instid0(SALU_CYCLE_1)
	s_or_b32 s14, s14, s17
	s_or_b32 exec_lo, exec_lo, s18
	s_and_saveexec_b32 s17, s14
	s_cbranch_execnz .LBB174_1886
	s_branch .LBB174_1887
.LBB174_1904:
	s_mov_b32 s9, -1
                                        ; implicit-def: $vgpr10
	s_branch .LBB174_1909
.LBB174_1905:
	s_mov_b32 s9, -1
                                        ; implicit-def: $vgpr10
.LBB174_1906:
	s_delay_alu instid0(SALU_CYCLE_1)
	s_and_b32 vcc_lo, exec_lo, s9
	s_cbranch_vccz .LBB174_1908
; %bb.1907:
	global_load_u8 v3, v[1:2], off
	s_waitcnt vmcnt(0)
	v_lshlrev_b32_e32 v3, 24, v3
	s_delay_alu instid0(VALU_DEP_1) | instskip(NEXT) | instid1(VALU_DEP_1)
	v_and_b32_e32 v4, 0x7f000000, v3
	v_clz_i32_u32_e32 v10, v4
	v_add_nc_u32_e32 v13, 0x1000000, v4
	v_cmp_ne_u32_e32 vcc_lo, 0, v4
	s_delay_alu instid0(VALU_DEP_3) | instskip(NEXT) | instid1(VALU_DEP_1)
	v_min_u32_e32 v10, 32, v10
	v_sub_nc_u32_e64 v10, v10, 4 clamp
	s_delay_alu instid0(VALU_DEP_1) | instskip(SKIP_1) | instid1(VALU_DEP_2)
	v_lshlrev_b32_e32 v12, v10, v4
	v_lshlrev_b32_e32 v10, 23, v10
	v_lshrrev_b32_e32 v12, 4, v12
	s_delay_alu instid0(VALU_DEP_1) | instskip(SKIP_1) | instid1(VALU_DEP_2)
	v_sub_nc_u32_e32 v10, v12, v10
	v_ashrrev_i32_e32 v12, 8, v13
	v_add_nc_u32_e32 v10, 0x3c000000, v10
	s_delay_alu instid0(VALU_DEP_1) | instskip(NEXT) | instid1(VALU_DEP_1)
	v_and_or_b32 v10, 0x7f800000, v12, v10
	v_cndmask_b32_e32 v4, 0, v10, vcc_lo
	s_delay_alu instid0(VALU_DEP_1) | instskip(SKIP_1) | instid1(VALU_DEP_2)
	v_and_or_b32 v3, 0x80000000, v3, v4
	v_bfe_u32 v4, v4, 16, 1
	v_cmp_o_f32_e32 vcc_lo, v3, v3
	s_delay_alu instid0(VALU_DEP_2) | instskip(NEXT) | instid1(VALU_DEP_1)
	v_add3_u32 v4, v3, v4, 0x7fff
	v_lshrrev_b32_e32 v4, 16, v4
	s_delay_alu instid0(VALU_DEP_1)
	v_cndmask_b32_e32 v10, 0x7fc0, v4, vcc_lo
.LBB174_1908:
	s_mov_b32 s9, 0
.LBB174_1909:
	s_delay_alu instid0(SALU_CYCLE_1)
	s_and_not1_b32 vcc_lo, exec_lo, s9
	s_cbranch_vccnz .LBB174_1911
; %bb.1910:
	global_load_u8 v3, v[1:2], off
	s_waitcnt vmcnt(0)
	v_lshlrev_b32_e32 v4, 25, v3
	v_lshlrev_b16 v3, 8, v3
	s_delay_alu instid0(VALU_DEP_2) | instskip(NEXT) | instid1(VALU_DEP_2)
	v_lshrrev_b32_e32 v10, 4, v4
	v_and_or_b32 v12, 0x7f00, v3, 0.5
	v_cmp_gt_u32_e32 vcc_lo, 0x8000000, v4
	v_bfe_i32 v3, v3, 0, 16
	s_delay_alu instid0(VALU_DEP_4) | instskip(NEXT) | instid1(VALU_DEP_4)
	v_or_b32_e32 v10, 0x70000000, v10
	v_add_f32_e32 v12, -0.5, v12
	s_delay_alu instid0(VALU_DEP_2) | instskip(NEXT) | instid1(VALU_DEP_1)
	v_mul_f32_e32 v10, 0x7800000, v10
	v_cndmask_b32_e32 v4, v10, v12, vcc_lo
	s_delay_alu instid0(VALU_DEP_1) | instskip(SKIP_1) | instid1(VALU_DEP_2)
	v_and_or_b32 v3, 0x80000000, v3, v4
	v_bfe_u32 v4, v4, 16, 1
	v_cmp_o_f32_e32 vcc_lo, v3, v3
	s_delay_alu instid0(VALU_DEP_2) | instskip(NEXT) | instid1(VALU_DEP_1)
	v_add3_u32 v4, v3, v4, 0x7fff
	v_lshrrev_b32_e32 v4, 16, v4
	s_delay_alu instid0(VALU_DEP_1)
	v_cndmask_b32_e32 v10, 0x7fc0, v4, vcc_lo
.LBB174_1911:
	s_mov_b32 s9, 0
	s_mov_b32 s14, -1
.LBB174_1912:
	s_and_not1_b32 vcc_lo, exec_lo, s9
	s_mov_b32 s9, 0
	s_cbranch_vccnz .LBB174_1923
; %bb.1913:
	v_cmp_lt_i16_e32 vcc_lo, 14, v6
	s_cbranch_vccz .LBB174_1916
; %bb.1914:
	v_cmp_eq_u16_e32 vcc_lo, 15, v6
	s_cbranch_vccz .LBB174_1919
; %bb.1915:
	global_load_u16 v10, v[1:2], off
	s_mov_b32 s0, 0
	s_mov_b32 s14, -1
	s_branch .LBB174_1921
.LBB174_1916:
	s_mov_b32 s9, -1
	s_branch .LBB174_1920
.LBB174_1917:
	s_or_saveexec_b32 s17, s17
	v_mov_b32_e32 v4, s14
	s_xor_b32 exec_lo, exec_lo, s17
	s_cbranch_execz .LBB174_1898
.LBB174_1918:
	v_cmp_ne_u16_e32 vcc_lo, 0, v3
	v_mov_b32_e32 v4, 0
	s_and_not1_b32 s9, s9, exec_lo
	s_and_b32 s14, vcc_lo, exec_lo
	s_delay_alu instid0(SALU_CYCLE_1)
	s_or_b32 s9, s9, s14
	s_or_b32 exec_lo, exec_lo, s17
	s_and_saveexec_b32 s14, s9
	s_cbranch_execnz .LBB174_1899
	s_branch .LBB174_1900
.LBB174_1919:
	s_mov_b32 s0, -1
.LBB174_1920:
                                        ; implicit-def: $vgpr10
.LBB174_1921:
	s_and_b32 vcc_lo, exec_lo, s9
	s_mov_b32 s9, 0
	s_cbranch_vccz .LBB174_1923
; %bb.1922:
	v_cmp_ne_u16_e64 s0, 11, v6
	s_mov_b32 s9, -1
                                        ; implicit-def: $vgpr10
.LBB174_1923:
	s_delay_alu instid0(VALU_DEP_1)
	s_and_b32 vcc_lo, exec_lo, s0
	s_cbranch_vccnz .LBB174_1939
; %bb.1924:
	s_and_not1_b32 vcc_lo, exec_lo, s9
	s_cbranch_vccnz .LBB174_1926
.LBB174_1925:
	global_load_u8 v3, v[1:2], off
	s_mov_b32 s14, -1
	s_waitcnt vmcnt(0)
	v_cmp_ne_u16_e32 vcc_lo, 0, v3
	v_cndmask_b32_e64 v3, 0, 1.0, vcc_lo
	s_delay_alu instid0(VALU_DEP_1)
	v_lshrrev_b32_e32 v10, 16, v3
.LBB174_1926:
.LBB174_1927:
	s_and_not1_b32 vcc_lo, exec_lo, s14
	s_cbranch_vccnz .LBB174_3021
.LBB174_1928:
	s_lshl_b32 s9, s10, 7
	v_cmp_gt_i16_e32 vcc_lo, 11, v9
	v_add_nc_u32_e32 v5, s9, v5
	s_delay_alu instid0(VALU_DEP_1) | instskip(SKIP_1) | instid1(VALU_DEP_1)
	v_ashrrev_i32_e32 v1, 31, v5
	v_add_co_u32 v3, s0, s2, v5
	v_add_co_ci_u32_e64 v4, s0, s3, v1, s0
	s_cbranch_vccnz .LBB174_1935
; %bb.1929:
	v_cmp_lt_i16_e32 vcc_lo, 25, v9
	s_mov_b32 s10, 0
	s_cbranch_vccz .LBB174_1936
; %bb.1930:
	v_cmp_lt_i16_e32 vcc_lo, 28, v9
	s_cbranch_vccz .LBB174_1937
; %bb.1931:
	v_cmp_lt_i16_e32 vcc_lo, 43, v9
	;; [unrolled: 3-line block ×3, first 2 shown]
	s_cbranch_vccz .LBB174_1941
; %bb.1933:
	v_cmp_eq_u16_e32 vcc_lo, 46, v9
	s_mov_b32 s17, 0
	s_cbranch_vccz .LBB174_1944
; %bb.1934:
	global_load_b32 v1, v[3:4], off
	s_mov_b32 s0, 0
	s_mov_b32 s14, -1
	s_waitcnt vmcnt(0)
	v_lshlrev_b32_e32 v1, 16, v1
	s_delay_alu instid0(VALU_DEP_1) | instskip(NEXT) | instid1(VALU_DEP_1)
	v_trunc_f32_e32 v1, v1
	v_mul_f32_e64 v2, 0x2f800000, |v1|
	s_delay_alu instid0(VALU_DEP_1) | instskip(NEXT) | instid1(VALU_DEP_1)
	v_floor_f32_e32 v2, v2
	v_fma_f32 v2, 0xcf800000, v2, |v1|
	v_ashrrev_i32_e32 v1, 31, v1
	s_delay_alu instid0(VALU_DEP_2) | instskip(NEXT) | instid1(VALU_DEP_1)
	v_cvt_u32_f32_e32 v2, v2
	v_xor_b32_e32 v2, v2, v1
	s_delay_alu instid0(VALU_DEP_1)
	v_sub_nc_u32_e32 v1, v2, v1
	s_branch .LBB174_1946
.LBB174_1935:
	s_mov_b32 s0, -1
	s_mov_b32 s14, 0
                                        ; implicit-def: $vgpr1
	s_branch .LBB174_2008
.LBB174_1936:
	s_mov_b32 s17, -1
	s_mov_b32 s14, 0
	s_mov_b32 s0, 0
                                        ; implicit-def: $vgpr1
	s_branch .LBB174_1973
.LBB174_1937:
	s_mov_b32 s17, -1
	s_mov_b32 s14, 0
	s_mov_b32 s0, 0
                                        ; implicit-def: $vgpr1
	s_branch .LBB174_1956
.LBB174_1938:
	s_mov_b32 s17, -1
	s_mov_b32 s14, 0
	s_mov_b32 s0, 0
                                        ; implicit-def: $vgpr1
	s_branch .LBB174_1951
.LBB174_1939:
	s_cbranch_execnz .LBB174_1942
; %bb.1940:
	s_or_b32 s13, s13, exec_lo
                                        ; implicit-def: $vgpr10
	s_cbranch_execz .LBB174_1925
	s_branch .LBB174_1926
.LBB174_1941:
	s_mov_b32 s17, -1
	s_mov_b32 s14, 0
	s_mov_b32 s0, 0
	s_branch .LBB174_1945
.LBB174_1942:
	s_trap 2
	s_sendmsg_rtn_b32 s0, sendmsg(MSG_RTN_GET_DOORBELL)
	s_mov_b32 ttmp2, m0
	s_waitcnt lgkmcnt(0)
	s_and_b32 s0, s0, 0x3ff
	s_delay_alu instid0(SALU_CYCLE_1) | instskip(NEXT) | instid1(SALU_CYCLE_1)
	s_bitset1_b32 s0, 10
	s_mov_b32 m0, s0
	s_sendmsg sendmsg(MSG_INTERRUPT)
	s_mov_b32 m0, ttmp2
.LBB174_1943:                           ; =>This Inner Loop Header: Depth=1
	s_sethalt 5
	s_branch .LBB174_1943
.LBB174_1944:
	s_mov_b32 s0, -1
	s_mov_b32 s14, 0
.LBB174_1945:
                                        ; implicit-def: $vgpr1
.LBB174_1946:
	s_and_b32 vcc_lo, exec_lo, s17
	s_cbranch_vccz .LBB174_1950
; %bb.1947:
	v_cmp_eq_u16_e32 vcc_lo, 44, v9
	s_cbranch_vccz .LBB174_1949
; %bb.1948:
	global_load_u8 v1, v[3:4], off
	s_mov_b32 s0, 0
	s_mov_b32 s14, -1
	s_waitcnt vmcnt(0)
	v_lshlrev_b32_e32 v2, 23, v1
	v_cmp_ne_u32_e32 vcc_lo, 0, v1
	s_delay_alu instid0(VALU_DEP_2) | instskip(NEXT) | instid1(VALU_DEP_1)
	v_trunc_f32_e32 v2, v2
	v_mul_f32_e64 v12, 0x2f800000, |v2|
	s_delay_alu instid0(VALU_DEP_1) | instskip(NEXT) | instid1(VALU_DEP_1)
	v_floor_f32_e32 v12, v12
	v_fma_f32 v12, 0xcf800000, v12, |v2|
	v_ashrrev_i32_e32 v2, 31, v2
	s_delay_alu instid0(VALU_DEP_2) | instskip(NEXT) | instid1(VALU_DEP_1)
	v_cvt_u32_f32_e32 v12, v12
	v_xor_b32_e32 v12, v12, v2
	s_delay_alu instid0(VALU_DEP_1) | instskip(NEXT) | instid1(VALU_DEP_1)
	v_sub_nc_u32_e32 v2, v12, v2
	v_cndmask_b32_e32 v1, 0, v2, vcc_lo
	s_branch .LBB174_1950
.LBB174_1949:
	s_mov_b32 s0, -1
                                        ; implicit-def: $vgpr1
.LBB174_1950:
	s_mov_b32 s17, 0
.LBB174_1951:
	s_delay_alu instid0(SALU_CYCLE_1)
	s_and_b32 vcc_lo, exec_lo, s17
	s_cbranch_vccz .LBB174_1955
; %bb.1952:
	v_cmp_eq_u16_e32 vcc_lo, 29, v9
	s_cbranch_vccz .LBB174_1954
; %bb.1953:
	global_load_b64 v[1:2], v[3:4], off
	s_mov_b32 s0, 0
	s_mov_b32 s14, -1
	s_branch .LBB174_1955
.LBB174_1954:
	s_mov_b32 s0, -1
                                        ; implicit-def: $vgpr1
.LBB174_1955:
	s_mov_b32 s17, 0
.LBB174_1956:
	s_delay_alu instid0(SALU_CYCLE_1)
	s_and_b32 vcc_lo, exec_lo, s17
	s_cbranch_vccz .LBB174_1972
; %bb.1957:
	v_cmp_gt_i16_e32 vcc_lo, 27, v9
	s_cbranch_vccnz .LBB174_1960
; %bb.1958:
	v_cmp_lt_i16_e32 vcc_lo, 27, v9
	s_cbranch_vccz .LBB174_1961
; %bb.1959:
	global_load_b32 v1, v[3:4], off
	s_mov_b32 s14, 0
	s_branch .LBB174_1962
.LBB174_1960:
	s_mov_b32 s14, -1
                                        ; implicit-def: $vgpr1
	s_branch .LBB174_1965
.LBB174_1961:
	s_mov_b32 s14, -1
                                        ; implicit-def: $vgpr1
.LBB174_1962:
	s_delay_alu instid0(SALU_CYCLE_1)
	s_and_not1_b32 vcc_lo, exec_lo, s14
	s_cbranch_vccnz .LBB174_1964
; %bb.1963:
	global_load_u16 v1, v[3:4], off
.LBB174_1964:
	s_mov_b32 s14, 0
.LBB174_1965:
	s_delay_alu instid0(SALU_CYCLE_1)
	s_and_not1_b32 vcc_lo, exec_lo, s14
	s_cbranch_vccnz .LBB174_1971
; %bb.1966:
	global_load_u8 v2, v[3:4], off
	s_mov_b32 s17, 0
	s_mov_b32 s14, exec_lo
                                        ; implicit-def: $sgpr18
	s_waitcnt vmcnt(0)
	v_cmpx_lt_i16_e32 0x7f, v2
	s_xor_b32 s14, exec_lo, s14
	s_cbranch_execz .LBB174_1983
; %bb.1967:
	v_cmp_ne_u16_e32 vcc_lo, 0x80, v2
	s_mov_b32 s18, 0
	s_and_b32 s17, vcc_lo, exec_lo
	s_or_saveexec_b32 s14, s14
	v_mov_b32_e32 v1, s18
	s_xor_b32 exec_lo, exec_lo, s14
	s_cbranch_execnz .LBB174_1984
.LBB174_1968:
	s_or_b32 exec_lo, exec_lo, s14
	s_and_saveexec_b32 s14, s17
	s_cbranch_execz .LBB174_1970
.LBB174_1969:
	v_and_b32_e32 v1, 0xffff, v2
	v_lshlrev_b32_e32 v2, 24, v2
	s_delay_alu instid0(VALU_DEP_2) | instskip(NEXT) | instid1(VALU_DEP_2)
	v_and_b32_e32 v12, 7, v1
	v_and_b32_e32 v2, 0x80000000, v2
	s_delay_alu instid0(VALU_DEP_2) | instskip(NEXT) | instid1(VALU_DEP_1)
	v_clz_i32_u32_e32 v13, v12
	v_min_u32_e32 v13, 32, v13
	s_delay_alu instid0(VALU_DEP_1) | instskip(SKIP_1) | instid1(VALU_DEP_2)
	v_subrev_nc_u32_e32 v14, 28, v13
	v_sub_nc_u32_e32 v13, 29, v13
	v_lshlrev_b32_e32 v14, v14, v1
	v_bfe_u32 v1, v1, 3, 4
	s_delay_alu instid0(VALU_DEP_1) | instskip(NEXT) | instid1(VALU_DEP_3)
	v_cmp_eq_u32_e32 vcc_lo, 0, v1
	v_dual_cndmask_b32 v1, v1, v13 :: v_dual_and_b32 v14, 7, v14
	s_delay_alu instid0(VALU_DEP_1) | instskip(NEXT) | instid1(VALU_DEP_2)
	v_cndmask_b32_e32 v12, v12, v14, vcc_lo
	v_lshl_add_u32 v1, v1, 23, 0x3b800000
	s_delay_alu instid0(VALU_DEP_2) | instskip(NEXT) | instid1(VALU_DEP_1)
	v_lshlrev_b32_e32 v12, 20, v12
	v_or3_b32 v1, v2, v1, v12
	s_delay_alu instid0(VALU_DEP_1) | instskip(NEXT) | instid1(VALU_DEP_1)
	v_trunc_f32_e32 v1, v1
	v_mul_f32_e64 v2, 0x2f800000, |v1|
	s_delay_alu instid0(VALU_DEP_1) | instskip(NEXT) | instid1(VALU_DEP_1)
	v_floor_f32_e32 v2, v2
	v_fma_f32 v2, 0xcf800000, v2, |v1|
	v_ashrrev_i32_e32 v1, 31, v1
	s_delay_alu instid0(VALU_DEP_2) | instskip(NEXT) | instid1(VALU_DEP_1)
	v_cvt_u32_f32_e32 v2, v2
	v_xor_b32_e32 v2, v2, v1
	s_delay_alu instid0(VALU_DEP_1)
	v_sub_nc_u32_e32 v1, v2, v1
.LBB174_1970:
	s_or_b32 exec_lo, exec_lo, s14
.LBB174_1971:
	s_mov_b32 s14, -1
.LBB174_1972:
	s_mov_b32 s17, 0
.LBB174_1973:
	s_delay_alu instid0(SALU_CYCLE_1)
	s_and_b32 vcc_lo, exec_lo, s17
	s_cbranch_vccz .LBB174_2004
; %bb.1974:
	v_cmp_lt_i16_e32 vcc_lo, 22, v9
	s_cbranch_vccz .LBB174_1982
; %bb.1975:
	v_cmp_gt_i16_e32 vcc_lo, 24, v9
	s_cbranch_vccnz .LBB174_1985
; %bb.1976:
	v_cmp_lt_i16_e32 vcc_lo, 24, v9
	s_cbranch_vccz .LBB174_1986
; %bb.1977:
	global_load_u8 v2, v[3:4], off
	s_mov_b32 s14, 0
	s_mov_b32 s10, exec_lo
                                        ; implicit-def: $sgpr17
	s_waitcnt vmcnt(0)
	v_cmpx_lt_i16_e32 0x7f, v2
	s_xor_b32 s10, exec_lo, s10
	s_cbranch_execz .LBB174_1998
; %bb.1978:
	v_cmp_ne_u16_e32 vcc_lo, 0x80, v2
	s_mov_b32 s17, 0
	s_and_b32 s14, vcc_lo, exec_lo
	s_or_saveexec_b32 s10, s10
	v_mov_b32_e32 v1, s17
	s_xor_b32 exec_lo, exec_lo, s10
	s_cbranch_execnz .LBB174_1999
.LBB174_1979:
	s_or_b32 exec_lo, exec_lo, s10
	s_and_saveexec_b32 s10, s14
	s_cbranch_execz .LBB174_1981
.LBB174_1980:
	v_and_b32_e32 v1, 0xffff, v2
	v_lshlrev_b32_e32 v2, 24, v2
	s_delay_alu instid0(VALU_DEP_2) | instskip(NEXT) | instid1(VALU_DEP_2)
	v_and_b32_e32 v12, 3, v1
	v_and_b32_e32 v2, 0x80000000, v2
	s_delay_alu instid0(VALU_DEP_2) | instskip(NEXT) | instid1(VALU_DEP_1)
	v_clz_i32_u32_e32 v13, v12
	v_min_u32_e32 v13, 32, v13
	s_delay_alu instid0(VALU_DEP_1) | instskip(SKIP_1) | instid1(VALU_DEP_2)
	v_subrev_nc_u32_e32 v14, 29, v13
	v_sub_nc_u32_e32 v13, 30, v13
	v_lshlrev_b32_e32 v14, v14, v1
	v_bfe_u32 v1, v1, 2, 5
	s_delay_alu instid0(VALU_DEP_1) | instskip(NEXT) | instid1(VALU_DEP_3)
	v_cmp_eq_u32_e32 vcc_lo, 0, v1
	v_dual_cndmask_b32 v1, v1, v13 :: v_dual_and_b32 v14, 3, v14
	s_delay_alu instid0(VALU_DEP_1) | instskip(NEXT) | instid1(VALU_DEP_2)
	v_cndmask_b32_e32 v12, v12, v14, vcc_lo
	v_lshl_add_u32 v1, v1, 23, 0x37800000
	s_delay_alu instid0(VALU_DEP_2) | instskip(NEXT) | instid1(VALU_DEP_1)
	v_lshlrev_b32_e32 v12, 21, v12
	v_or3_b32 v1, v2, v1, v12
	s_delay_alu instid0(VALU_DEP_1) | instskip(NEXT) | instid1(VALU_DEP_1)
	v_trunc_f32_e32 v1, v1
	v_mul_f32_e64 v2, 0x2f800000, |v1|
	s_delay_alu instid0(VALU_DEP_1) | instskip(NEXT) | instid1(VALU_DEP_1)
	v_floor_f32_e32 v2, v2
	v_fma_f32 v2, 0xcf800000, v2, |v1|
	v_ashrrev_i32_e32 v1, 31, v1
	s_delay_alu instid0(VALU_DEP_2) | instskip(NEXT) | instid1(VALU_DEP_1)
	v_cvt_u32_f32_e32 v2, v2
	v_xor_b32_e32 v2, v2, v1
	s_delay_alu instid0(VALU_DEP_1)
	v_sub_nc_u32_e32 v1, v2, v1
.LBB174_1981:
	s_or_b32 exec_lo, exec_lo, s10
	s_mov_b32 s10, 0
	s_branch .LBB174_1987
.LBB174_1982:
	s_mov_b32 s10, -1
                                        ; implicit-def: $vgpr1
	s_branch .LBB174_1993
.LBB174_1983:
	s_or_saveexec_b32 s14, s14
	v_mov_b32_e32 v1, s18
	s_xor_b32 exec_lo, exec_lo, s14
	s_cbranch_execz .LBB174_1968
.LBB174_1984:
	v_cmp_ne_u16_e32 vcc_lo, 0, v2
	v_mov_b32_e32 v1, 0
	s_and_not1_b32 s17, s17, exec_lo
	s_and_b32 s18, vcc_lo, exec_lo
	s_delay_alu instid0(SALU_CYCLE_1)
	s_or_b32 s17, s17, s18
	s_or_b32 exec_lo, exec_lo, s14
	s_and_saveexec_b32 s14, s17
	s_cbranch_execnz .LBB174_1969
	s_branch .LBB174_1970
.LBB174_1985:
	s_mov_b32 s10, -1
                                        ; implicit-def: $vgpr1
	s_branch .LBB174_1990
.LBB174_1986:
	s_mov_b32 s10, -1
                                        ; implicit-def: $vgpr1
.LBB174_1987:
	s_delay_alu instid0(SALU_CYCLE_1)
	s_and_b32 vcc_lo, exec_lo, s10
	s_cbranch_vccz .LBB174_1989
; %bb.1988:
	global_load_u8 v1, v[3:4], off
	s_waitcnt vmcnt(0)
	v_lshlrev_b32_e32 v1, 24, v1
	s_delay_alu instid0(VALU_DEP_1) | instskip(NEXT) | instid1(VALU_DEP_1)
	v_and_b32_e32 v2, 0x7f000000, v1
	v_clz_i32_u32_e32 v12, v2
	v_add_nc_u32_e32 v14, 0x1000000, v2
	v_cmp_ne_u32_e32 vcc_lo, 0, v2
	s_delay_alu instid0(VALU_DEP_3) | instskip(NEXT) | instid1(VALU_DEP_1)
	v_min_u32_e32 v12, 32, v12
	v_sub_nc_u32_e64 v12, v12, 4 clamp
	s_delay_alu instid0(VALU_DEP_1) | instskip(SKIP_1) | instid1(VALU_DEP_2)
	v_lshlrev_b32_e32 v13, v12, v2
	v_lshlrev_b32_e32 v12, 23, v12
	v_lshrrev_b32_e32 v13, 4, v13
	s_delay_alu instid0(VALU_DEP_1) | instskip(SKIP_1) | instid1(VALU_DEP_2)
	v_sub_nc_u32_e32 v12, v13, v12
	v_ashrrev_i32_e32 v13, 8, v14
	v_add_nc_u32_e32 v12, 0x3c000000, v12
	s_delay_alu instid0(VALU_DEP_1) | instskip(NEXT) | instid1(VALU_DEP_1)
	v_and_or_b32 v12, 0x7f800000, v13, v12
	v_cndmask_b32_e32 v2, 0, v12, vcc_lo
	s_delay_alu instid0(VALU_DEP_1) | instskip(NEXT) | instid1(VALU_DEP_1)
	v_and_or_b32 v1, 0x80000000, v1, v2
	v_trunc_f32_e32 v1, v1
	s_delay_alu instid0(VALU_DEP_1) | instskip(NEXT) | instid1(VALU_DEP_1)
	v_mul_f32_e64 v2, 0x2f800000, |v1|
	v_floor_f32_e32 v2, v2
	s_delay_alu instid0(VALU_DEP_1) | instskip(SKIP_1) | instid1(VALU_DEP_2)
	v_fma_f32 v2, 0xcf800000, v2, |v1|
	v_ashrrev_i32_e32 v1, 31, v1
	v_cvt_u32_f32_e32 v2, v2
	s_delay_alu instid0(VALU_DEP_1) | instskip(NEXT) | instid1(VALU_DEP_1)
	v_xor_b32_e32 v2, v2, v1
	v_sub_nc_u32_e32 v1, v2, v1
.LBB174_1989:
	s_mov_b32 s10, 0
.LBB174_1990:
	s_delay_alu instid0(SALU_CYCLE_1)
	s_and_not1_b32 vcc_lo, exec_lo, s10
	s_cbranch_vccnz .LBB174_1992
; %bb.1991:
	global_load_u8 v1, v[3:4], off
	s_waitcnt vmcnt(0)
	v_lshlrev_b32_e32 v2, 25, v1
	v_lshlrev_b16 v1, 8, v1
	s_delay_alu instid0(VALU_DEP_2) | instskip(NEXT) | instid1(VALU_DEP_2)
	v_lshrrev_b32_e32 v12, 4, v2
	v_and_or_b32 v13, 0x7f00, v1, 0.5
	v_cmp_gt_u32_e32 vcc_lo, 0x8000000, v2
	v_bfe_i32 v1, v1, 0, 16
	s_delay_alu instid0(VALU_DEP_4) | instskip(NEXT) | instid1(VALU_DEP_1)
	v_or_b32_e32 v12, 0x70000000, v12
	v_dual_add_f32 v13, -0.5, v13 :: v_dual_mul_f32 v12, 0x7800000, v12
	s_delay_alu instid0(VALU_DEP_1) | instskip(NEXT) | instid1(VALU_DEP_1)
	v_cndmask_b32_e32 v2, v12, v13, vcc_lo
	v_and_or_b32 v1, 0x80000000, v1, v2
	s_delay_alu instid0(VALU_DEP_1) | instskip(NEXT) | instid1(VALU_DEP_1)
	v_trunc_f32_e32 v1, v1
	v_mul_f32_e64 v2, 0x2f800000, |v1|
	s_delay_alu instid0(VALU_DEP_1) | instskip(NEXT) | instid1(VALU_DEP_1)
	v_floor_f32_e32 v2, v2
	v_fma_f32 v2, 0xcf800000, v2, |v1|
	v_ashrrev_i32_e32 v1, 31, v1
	s_delay_alu instid0(VALU_DEP_2) | instskip(NEXT) | instid1(VALU_DEP_1)
	v_cvt_u32_f32_e32 v2, v2
	v_xor_b32_e32 v2, v2, v1
	s_delay_alu instid0(VALU_DEP_1)
	v_sub_nc_u32_e32 v1, v2, v1
.LBB174_1992:
	s_mov_b32 s10, 0
	s_mov_b32 s14, -1
.LBB174_1993:
	s_and_not1_b32 vcc_lo, exec_lo, s10
	s_mov_b32 s10, 0
	s_cbranch_vccnz .LBB174_2004
; %bb.1994:
	v_cmp_lt_i16_e32 vcc_lo, 14, v9
	s_cbranch_vccz .LBB174_1997
; %bb.1995:
	v_cmp_eq_u16_e32 vcc_lo, 15, v9
	s_cbranch_vccz .LBB174_2000
; %bb.1996:
	global_load_u16 v1, v[3:4], off
	s_mov_b32 s0, 0
	s_mov_b32 s14, -1
	s_waitcnt vmcnt(0)
	v_lshlrev_b32_e32 v1, 16, v1
	s_delay_alu instid0(VALU_DEP_1) | instskip(NEXT) | instid1(VALU_DEP_1)
	v_trunc_f32_e32 v1, v1
	v_mul_f32_e64 v2, 0x2f800000, |v1|
	s_delay_alu instid0(VALU_DEP_1) | instskip(NEXT) | instid1(VALU_DEP_1)
	v_floor_f32_e32 v2, v2
	v_fma_f32 v2, 0xcf800000, v2, |v1|
	v_ashrrev_i32_e32 v1, 31, v1
	s_delay_alu instid0(VALU_DEP_2) | instskip(NEXT) | instid1(VALU_DEP_1)
	v_cvt_u32_f32_e32 v2, v2
	v_xor_b32_e32 v2, v2, v1
	s_delay_alu instid0(VALU_DEP_1)
	v_sub_nc_u32_e32 v1, v2, v1
	s_branch .LBB174_2002
.LBB174_1997:
	s_mov_b32 s10, -1
	s_branch .LBB174_2001
.LBB174_1998:
	s_or_saveexec_b32 s10, s10
	v_mov_b32_e32 v1, s17
	s_xor_b32 exec_lo, exec_lo, s10
	s_cbranch_execz .LBB174_1979
.LBB174_1999:
	v_cmp_ne_u16_e32 vcc_lo, 0, v2
	v_mov_b32_e32 v1, 0
	s_and_not1_b32 s14, s14, exec_lo
	s_and_b32 s17, vcc_lo, exec_lo
	s_delay_alu instid0(SALU_CYCLE_1)
	s_or_b32 s14, s14, s17
	s_or_b32 exec_lo, exec_lo, s10
	s_and_saveexec_b32 s10, s14
	s_cbranch_execnz .LBB174_1980
	s_branch .LBB174_1981
.LBB174_2000:
	s_mov_b32 s0, -1
.LBB174_2001:
                                        ; implicit-def: $vgpr1
.LBB174_2002:
	s_and_b32 vcc_lo, exec_lo, s10
	s_mov_b32 s10, 0
	s_cbranch_vccz .LBB174_2004
; %bb.2003:
	v_cmp_ne_u16_e64 s0, 11, v9
	s_mov_b32 s10, -1
                                        ; implicit-def: $vgpr1
.LBB174_2004:
	s_delay_alu instid0(VALU_DEP_1)
	s_and_b32 vcc_lo, exec_lo, s0
	s_cbranch_vccnz .LBB174_2069
; %bb.2005:
	s_and_not1_b32 vcc_lo, exec_lo, s10
	s_cbranch_vccnz .LBB174_2007
.LBB174_2006:
	global_load_u8 v1, v[3:4], off
	s_mov_b32 s14, -1
	s_waitcnt vmcnt(0)
	v_cmp_ne_u16_e32 vcc_lo, 0, v1
	v_cndmask_b32_e64 v1, 0, 1, vcc_lo
.LBB174_2007:
	s_mov_b32 s0, 0
.LBB174_2008:
	s_delay_alu instid0(SALU_CYCLE_1)
	s_and_b32 vcc_lo, exec_lo, s0
	s_cbranch_vccz .LBB174_2057
; %bb.2009:
	v_cmp_gt_i16_e32 vcc_lo, 5, v9
	s_cbranch_vccnz .LBB174_2014
; %bb.2010:
	v_cmp_gt_i16_e32 vcc_lo, 8, v9
	s_cbranch_vccnz .LBB174_2015
; %bb.2011:
	v_cmp_gt_i16_e32 vcc_lo, 9, v9
	s_cbranch_vccnz .LBB174_2016
; %bb.2012:
	v_cmp_lt_i16_e32 vcc_lo, 9, v9
	s_cbranch_vccz .LBB174_2017
; %bb.2013:
	global_load_b64 v[1:2], v[3:4], off
	s_mov_b32 s0, 0
	s_waitcnt vmcnt(0)
	v_trunc_f64_e32 v[1:2], v[1:2]
	s_delay_alu instid0(VALU_DEP_1) | instskip(NEXT) | instid1(VALU_DEP_1)
	v_ldexp_f64 v[12:13], v[1:2], 0xffffffe0
	v_floor_f64_e32 v[12:13], v[12:13]
	s_delay_alu instid0(VALU_DEP_1) | instskip(NEXT) | instid1(VALU_DEP_1)
	v_fma_f64 v[1:2], 0xc1f00000, v[12:13], v[1:2]
	v_cvt_u32_f64_e32 v1, v[1:2]
	s_branch .LBB174_2018
.LBB174_2014:
	s_mov_b32 s0, -1
                                        ; implicit-def: $vgpr1
	s_branch .LBB174_2036
.LBB174_2015:
	s_mov_b32 s0, -1
                                        ; implicit-def: $vgpr1
	s_branch .LBB174_2024
.LBB174_2016:
	s_mov_b32 s0, -1
                                        ; implicit-def: $vgpr1
	s_branch .LBB174_2021
.LBB174_2017:
	s_mov_b32 s0, -1
                                        ; implicit-def: $vgpr1
.LBB174_2018:
	s_delay_alu instid0(SALU_CYCLE_1)
	s_and_not1_b32 vcc_lo, exec_lo, s0
	s_cbranch_vccnz .LBB174_2020
; %bb.2019:
	global_load_b32 v1, v[3:4], off
	s_waitcnt vmcnt(0)
	v_trunc_f32_e32 v1, v1
	s_delay_alu instid0(VALU_DEP_1) | instskip(NEXT) | instid1(VALU_DEP_1)
	v_mul_f32_e64 v2, 0x2f800000, |v1|
	v_floor_f32_e32 v2, v2
	s_delay_alu instid0(VALU_DEP_1) | instskip(SKIP_1) | instid1(VALU_DEP_2)
	v_fma_f32 v2, 0xcf800000, v2, |v1|
	v_ashrrev_i32_e32 v1, 31, v1
	v_cvt_u32_f32_e32 v2, v2
	s_delay_alu instid0(VALU_DEP_1) | instskip(NEXT) | instid1(VALU_DEP_1)
	v_xor_b32_e32 v2, v2, v1
	v_sub_nc_u32_e32 v1, v2, v1
.LBB174_2020:
	s_mov_b32 s0, 0
.LBB174_2021:
	s_delay_alu instid0(SALU_CYCLE_1)
	s_and_not1_b32 vcc_lo, exec_lo, s0
	s_cbranch_vccnz .LBB174_2023
; %bb.2022:
	global_load_b32 v1, v[3:4], off
	s_waitcnt vmcnt(0)
	v_cvt_f32_f16_e32 v1, v1
	s_delay_alu instid0(VALU_DEP_1)
	v_cvt_i32_f32_e32 v1, v1
.LBB174_2023:
	s_mov_b32 s0, 0
.LBB174_2024:
	s_delay_alu instid0(SALU_CYCLE_1)
	s_and_not1_b32 vcc_lo, exec_lo, s0
	s_cbranch_vccnz .LBB174_2035
; %bb.2025:
	v_cmp_gt_i16_e32 vcc_lo, 6, v9
	s_cbranch_vccnz .LBB174_2028
; %bb.2026:
	v_cmp_lt_i16_e32 vcc_lo, 6, v9
	s_cbranch_vccz .LBB174_2029
; %bb.2027:
	global_load_b64 v[1:2], v[3:4], off
	s_mov_b32 s0, 0
	s_waitcnt vmcnt(0)
	v_trunc_f64_e32 v[1:2], v[1:2]
	s_delay_alu instid0(VALU_DEP_1) | instskip(NEXT) | instid1(VALU_DEP_1)
	v_ldexp_f64 v[12:13], v[1:2], 0xffffffe0
	v_floor_f64_e32 v[12:13], v[12:13]
	s_delay_alu instid0(VALU_DEP_1) | instskip(NEXT) | instid1(VALU_DEP_1)
	v_fma_f64 v[1:2], 0xc1f00000, v[12:13], v[1:2]
	v_cvt_u32_f64_e32 v1, v[1:2]
	s_branch .LBB174_2030
.LBB174_2028:
	s_mov_b32 s0, -1
                                        ; implicit-def: $vgpr1
	s_branch .LBB174_2033
.LBB174_2029:
	s_mov_b32 s0, -1
                                        ; implicit-def: $vgpr1
.LBB174_2030:
	s_delay_alu instid0(SALU_CYCLE_1)
	s_and_not1_b32 vcc_lo, exec_lo, s0
	s_cbranch_vccnz .LBB174_2032
; %bb.2031:
	global_load_b32 v1, v[3:4], off
	s_waitcnt vmcnt(0)
	v_trunc_f32_e32 v1, v1
	s_delay_alu instid0(VALU_DEP_1) | instskip(NEXT) | instid1(VALU_DEP_1)
	v_mul_f32_e64 v2, 0x2f800000, |v1|
	v_floor_f32_e32 v2, v2
	s_delay_alu instid0(VALU_DEP_1) | instskip(SKIP_1) | instid1(VALU_DEP_2)
	v_fma_f32 v2, 0xcf800000, v2, |v1|
	v_ashrrev_i32_e32 v1, 31, v1
	v_cvt_u32_f32_e32 v2, v2
	s_delay_alu instid0(VALU_DEP_1) | instskip(NEXT) | instid1(VALU_DEP_1)
	v_xor_b32_e32 v2, v2, v1
	v_sub_nc_u32_e32 v1, v2, v1
.LBB174_2032:
	s_mov_b32 s0, 0
.LBB174_2033:
	s_delay_alu instid0(SALU_CYCLE_1)
	s_and_not1_b32 vcc_lo, exec_lo, s0
	s_cbranch_vccnz .LBB174_2035
; %bb.2034:
	global_load_u16 v1, v[3:4], off
	s_waitcnt vmcnt(0)
	v_cvt_f32_f16_e32 v1, v1
	s_delay_alu instid0(VALU_DEP_1)
	v_cvt_i32_f32_e32 v1, v1
.LBB174_2035:
	s_mov_b32 s0, 0
.LBB174_2036:
	s_delay_alu instid0(SALU_CYCLE_1)
	s_and_not1_b32 vcc_lo, exec_lo, s0
	s_cbranch_vccnz .LBB174_2056
; %bb.2037:
	v_cmp_gt_i16_e32 vcc_lo, 2, v9
	s_cbranch_vccnz .LBB174_2041
; %bb.2038:
	v_cmp_gt_i16_e32 vcc_lo, 3, v9
	s_cbranch_vccnz .LBB174_2042
; %bb.2039:
	v_cmp_lt_i16_e32 vcc_lo, 3, v9
	s_cbranch_vccz .LBB174_2043
; %bb.2040:
	global_load_b64 v[1:2], v[3:4], off
	s_mov_b32 s0, 0
	s_branch .LBB174_2044
.LBB174_2041:
	s_mov_b32 s0, -1
                                        ; implicit-def: $vgpr1
	s_branch .LBB174_2050
.LBB174_2042:
	s_mov_b32 s0, -1
                                        ; implicit-def: $vgpr1
	s_branch .LBB174_2047
.LBB174_2043:
	s_mov_b32 s0, -1
                                        ; implicit-def: $vgpr1
.LBB174_2044:
	s_delay_alu instid0(SALU_CYCLE_1)
	s_and_not1_b32 vcc_lo, exec_lo, s0
	s_cbranch_vccnz .LBB174_2046
; %bb.2045:
	global_load_b32 v1, v[3:4], off
.LBB174_2046:
	s_mov_b32 s0, 0
.LBB174_2047:
	s_delay_alu instid0(SALU_CYCLE_1)
	s_and_not1_b32 vcc_lo, exec_lo, s0
	s_cbranch_vccnz .LBB174_2049
; %bb.2048:
	global_load_u16 v1, v[3:4], off
.LBB174_2049:
	s_mov_b32 s0, 0
.LBB174_2050:
	s_delay_alu instid0(SALU_CYCLE_1)
	s_and_not1_b32 vcc_lo, exec_lo, s0
	s_cbranch_vccnz .LBB174_2056
; %bb.2051:
	v_cmp_lt_i16_e32 vcc_lo, 0, v9
	s_mov_b32 s0, 0
	s_cbranch_vccz .LBB174_2053
; %bb.2052:
	global_load_u8 v1, v[3:4], off
	s_branch .LBB174_2054
.LBB174_2053:
	s_mov_b32 s0, -1
                                        ; implicit-def: $vgpr1
.LBB174_2054:
	s_delay_alu instid0(SALU_CYCLE_1)
	s_and_not1_b32 vcc_lo, exec_lo, s0
	s_cbranch_vccnz .LBB174_2056
; %bb.2055:
	global_load_u8 v1, v[3:4], off
.LBB174_2056:
	s_mov_b32 s14, -1
.LBB174_2057:
	s_delay_alu instid0(SALU_CYCLE_1)
	s_and_not1_b32 vcc_lo, exec_lo, s14
	s_cbranch_vccnz .LBB174_3021
; %bb.2058:
	v_add_nc_u32_e32 v12, s1, v11
	v_cmp_gt_i16_e32 vcc_lo, 11, v6
	s_delay_alu instid0(VALU_DEP_2) | instskip(SKIP_2) | instid1(VALU_DEP_1)
	v_ashrrev_i32_e32 v3, 31, v12
	s_waitcnt vmcnt(0)
	v_add_co_u32 v2, s0, s6, v12
	v_add_co_ci_u32_e64 v3, s0, s7, v3, s0
	s_cbranch_vccnz .LBB174_2065
; %bb.2059:
	v_cmp_lt_i16_e32 vcc_lo, 25, v6
	s_mov_b32 s10, 0
	s_cbranch_vccz .LBB174_2066
; %bb.2060:
	v_cmp_lt_i16_e32 vcc_lo, 28, v6
	s_cbranch_vccz .LBB174_2067
; %bb.2061:
	v_cmp_lt_i16_e32 vcc_lo, 43, v6
	;; [unrolled: 3-line block ×3, first 2 shown]
	s_cbranch_vccz .LBB174_2071
; %bb.2063:
	v_cmp_eq_u16_e32 vcc_lo, 46, v6
	s_mov_b32 s17, 0
	s_cbranch_vccz .LBB174_2074
; %bb.2064:
	global_load_b32 v11, v[2:3], off
	s_mov_b32 s0, 0
	s_mov_b32 s14, -1
	s_branch .LBB174_2076
.LBB174_2065:
	s_mov_b32 s0, -1
	s_mov_b32 s14, 0
                                        ; implicit-def: $vgpr11
	s_branch .LBB174_2142
.LBB174_2066:
	s_mov_b32 s17, -1
	s_mov_b32 s14, 0
	s_mov_b32 s0, 0
                                        ; implicit-def: $vgpr11
	s_branch .LBB174_2105
.LBB174_2067:
	s_mov_b32 s17, -1
	s_mov_b32 s14, 0
	s_mov_b32 s0, 0
                                        ; implicit-def: $vgpr11
	s_branch .LBB174_2086
.LBB174_2068:
	s_mov_b32 s17, -1
	s_mov_b32 s14, 0
	s_mov_b32 s0, 0
                                        ; implicit-def: $vgpr11
	s_branch .LBB174_2081
.LBB174_2069:
	s_cbranch_execnz .LBB174_2072
; %bb.2070:
	s_or_b32 s13, s13, exec_lo
                                        ; implicit-def: $vgpr1
	s_cbranch_execz .LBB174_2006
	s_branch .LBB174_2007
.LBB174_2071:
	s_mov_b32 s17, -1
	s_mov_b32 s14, 0
	s_mov_b32 s0, 0
	s_branch .LBB174_2075
.LBB174_2072:
	s_trap 2
	s_sendmsg_rtn_b32 s0, sendmsg(MSG_RTN_GET_DOORBELL)
	s_mov_b32 ttmp2, m0
	s_waitcnt lgkmcnt(0)
	s_and_b32 s0, s0, 0x3ff
	s_delay_alu instid0(SALU_CYCLE_1) | instskip(NEXT) | instid1(SALU_CYCLE_1)
	s_bitset1_b32 s0, 10
	s_mov_b32 m0, s0
	s_sendmsg sendmsg(MSG_INTERRUPT)
	s_mov_b32 m0, ttmp2
.LBB174_2073:                           ; =>This Inner Loop Header: Depth=1
	s_sethalt 5
	s_branch .LBB174_2073
.LBB174_2074:
	s_mov_b32 s0, -1
	s_mov_b32 s14, 0
.LBB174_2075:
                                        ; implicit-def: $vgpr11
.LBB174_2076:
	s_and_b32 vcc_lo, exec_lo, s17
	s_cbranch_vccz .LBB174_2080
; %bb.2077:
	v_cmp_eq_u16_e32 vcc_lo, 44, v6
	s_cbranch_vccz .LBB174_2079
; %bb.2078:
	global_load_u8 v4, v[2:3], off
	s_mov_b32 s0, 0
	s_mov_b32 s14, -1
	s_waitcnt vmcnt(0)
	v_lshlrev_b32_e32 v11, 23, v4
	v_cmp_ne_u32_e32 vcc_lo, 0xff, v4
	s_delay_alu instid0(VALU_DEP_2) | instskip(SKIP_1) | instid1(VALU_DEP_2)
	v_cndmask_b32_e32 v11, 0x7f800001, v11, vcc_lo
	v_cmp_ne_u32_e32 vcc_lo, 0, v4
	v_cndmask_b32_e32 v4, 0x400000, v11, vcc_lo
	s_delay_alu instid0(VALU_DEP_1) | instskip(SKIP_1) | instid1(VALU_DEP_2)
	v_add_nc_u32_e32 v11, 0x7fff, v4
	v_cmp_o_f32_e32 vcc_lo, v4, v4
	v_lshrrev_b32_e32 v11, 16, v11
	s_delay_alu instid0(VALU_DEP_1)
	v_cndmask_b32_e32 v11, 0x7fc0, v11, vcc_lo
	s_branch .LBB174_2080
.LBB174_2079:
	s_mov_b32 s0, -1
                                        ; implicit-def: $vgpr11
.LBB174_2080:
	s_mov_b32 s17, 0
.LBB174_2081:
	s_delay_alu instid0(SALU_CYCLE_1)
	s_and_b32 vcc_lo, exec_lo, s17
	s_cbranch_vccz .LBB174_2085
; %bb.2082:
	v_cmp_eq_u16_e32 vcc_lo, 29, v6
	s_cbranch_vccz .LBB174_2084
; %bb.2083:
	global_load_b64 v[13:14], v[2:3], off
	s_mov_b32 s0, 0
	s_mov_b32 s14, -1
	s_mov_b32 s17, 0
	s_waitcnt vmcnt(0)
	v_clz_i32_u32_e32 v4, v14
	s_delay_alu instid0(VALU_DEP_1) | instskip(NEXT) | instid1(VALU_DEP_1)
	v_min_u32_e32 v4, 32, v4
	v_lshlrev_b64 v[13:14], v4, v[13:14]
	v_sub_nc_u32_e32 v4, 32, v4
	s_delay_alu instid0(VALU_DEP_2) | instskip(NEXT) | instid1(VALU_DEP_1)
	v_min_u32_e32 v11, 1, v13
	v_or_b32_e32 v11, v14, v11
	s_delay_alu instid0(VALU_DEP_1) | instskip(NEXT) | instid1(VALU_DEP_1)
	v_cvt_f32_u32_e32 v11, v11
	v_ldexp_f32 v4, v11, v4
	s_delay_alu instid0(VALU_DEP_1) | instskip(NEXT) | instid1(VALU_DEP_1)
	v_bfe_u32 v11, v4, 16, 1
	v_add3_u32 v4, v4, v11, 0x7fff
	s_delay_alu instid0(VALU_DEP_1)
	v_lshrrev_b32_e32 v11, 16, v4
	s_branch .LBB174_2086
.LBB174_2084:
	s_mov_b32 s0, -1
                                        ; implicit-def: $vgpr11
.LBB174_2085:
	s_mov_b32 s17, 0
.LBB174_2086:
	s_delay_alu instid0(SALU_CYCLE_1)
	s_and_b32 vcc_lo, exec_lo, s17
	s_cbranch_vccz .LBB174_2104
; %bb.2087:
	v_cmp_gt_i16_e32 vcc_lo, 27, v6
	s_cbranch_vccnz .LBB174_2090
; %bb.2088:
	v_cmp_lt_i16_e32 vcc_lo, 27, v6
	s_cbranch_vccz .LBB174_2091
; %bb.2089:
	global_load_b32 v4, v[2:3], off
	s_mov_b32 s14, 0
	s_waitcnt vmcnt(0)
	v_cvt_f32_u32_e32 v4, v4
	s_delay_alu instid0(VALU_DEP_1) | instskip(NEXT) | instid1(VALU_DEP_1)
	v_bfe_u32 v11, v4, 16, 1
	v_add3_u32 v4, v4, v11, 0x7fff
	s_delay_alu instid0(VALU_DEP_1)
	v_lshrrev_b32_e32 v11, 16, v4
	s_branch .LBB174_2092
.LBB174_2090:
	s_mov_b32 s14, -1
                                        ; implicit-def: $vgpr11
	s_branch .LBB174_2095
.LBB174_2091:
	s_mov_b32 s14, -1
                                        ; implicit-def: $vgpr11
.LBB174_2092:
	s_delay_alu instid0(SALU_CYCLE_1)
	s_and_not1_b32 vcc_lo, exec_lo, s14
	s_cbranch_vccnz .LBB174_2094
; %bb.2093:
	global_load_u16 v4, v[2:3], off
	s_waitcnt vmcnt(0)
	v_cvt_f32_u32_e32 v4, v4
	s_delay_alu instid0(VALU_DEP_1) | instskip(NEXT) | instid1(VALU_DEP_1)
	v_bfe_u32 v11, v4, 16, 1
	v_add3_u32 v4, v4, v11, 0x7fff
	s_delay_alu instid0(VALU_DEP_1)
	v_lshrrev_b32_e32 v11, 16, v4
.LBB174_2094:
	s_mov_b32 s14, 0
.LBB174_2095:
	s_delay_alu instid0(SALU_CYCLE_1)
	s_and_not1_b32 vcc_lo, exec_lo, s14
	s_cbranch_vccnz .LBB174_2103
; %bb.2096:
	global_load_u8 v4, v[2:3], off
	s_mov_b32 s14, 0
	s_mov_b32 s18, exec_lo
                                        ; implicit-def: $sgpr17
	s_waitcnt vmcnt(0)
	v_cmpx_lt_i16_e32 0x7f, v4
	s_xor_b32 s18, exec_lo, s18
	s_cbranch_execz .LBB174_2117
; %bb.2097:
	s_mov_b32 s14, -1
	s_mov_b32 s19, exec_lo
                                        ; implicit-def: $sgpr17
	v_cmpx_eq_u16_e32 0x80, v4
; %bb.2098:
	s_mov_b32 s17, 0x7f800001
	s_xor_b32 s14, exec_lo, -1
; %bb.2099:
	s_or_b32 exec_lo, exec_lo, s19
	s_delay_alu instid0(SALU_CYCLE_1)
	s_and_b32 s14, s14, exec_lo
	s_or_saveexec_b32 s18, s18
	v_mov_b32_e32 v11, s17
	s_xor_b32 exec_lo, exec_lo, s18
	s_cbranch_execnz .LBB174_2118
.LBB174_2100:
	s_or_b32 exec_lo, exec_lo, s18
	s_and_saveexec_b32 s17, s14
	s_cbranch_execz .LBB174_2102
.LBB174_2101:
	v_and_b32_e32 v11, 0xffff, v4
	s_delay_alu instid0(VALU_DEP_1) | instskip(NEXT) | instid1(VALU_DEP_1)
	v_and_b32_e32 v13, 7, v11
	v_clz_i32_u32_e32 v14, v13
	s_delay_alu instid0(VALU_DEP_1) | instskip(NEXT) | instid1(VALU_DEP_1)
	v_min_u32_e32 v14, 32, v14
	v_subrev_nc_u32_e32 v15, 28, v14
	v_sub_nc_u32_e32 v14, 29, v14
	s_delay_alu instid0(VALU_DEP_2) | instskip(SKIP_1) | instid1(VALU_DEP_2)
	v_lshlrev_b32_e32 v15, v15, v11
	v_bfe_u32 v11, v11, 3, 4
	v_and_b32_e32 v15, 7, v15
	s_delay_alu instid0(VALU_DEP_2) | instskip(SKIP_1) | instid1(VALU_DEP_1)
	v_cmp_eq_u32_e32 vcc_lo, 0, v11
	v_dual_cndmask_b32 v11, v11, v14 :: v_dual_lshlrev_b32 v4, 24, v4
	v_dual_cndmask_b32 v13, v13, v15 :: v_dual_and_b32 v4, 0x80000000, v4
	s_delay_alu instid0(VALU_DEP_2) | instskip(NEXT) | instid1(VALU_DEP_2)
	v_lshl_add_u32 v11, v11, 23, 0x3b800000
	v_lshlrev_b32_e32 v13, 20, v13
	s_delay_alu instid0(VALU_DEP_1)
	v_or3_b32 v11, v4, v11, v13
.LBB174_2102:
	s_or_b32 exec_lo, exec_lo, s17
	s_delay_alu instid0(VALU_DEP_1) | instskip(SKIP_1) | instid1(VALU_DEP_2)
	v_bfe_u32 v4, v11, 16, 1
	v_cmp_o_f32_e32 vcc_lo, v11, v11
	v_add3_u32 v4, v11, v4, 0x7fff
	s_delay_alu instid0(VALU_DEP_1) | instskip(NEXT) | instid1(VALU_DEP_1)
	v_lshrrev_b32_e32 v4, 16, v4
	v_cndmask_b32_e32 v11, 0x7fc0, v4, vcc_lo
.LBB174_2103:
	s_mov_b32 s14, -1
.LBB174_2104:
	s_mov_b32 s17, 0
.LBB174_2105:
	s_delay_alu instid0(SALU_CYCLE_1)
	s_and_b32 vcc_lo, exec_lo, s17
	s_cbranch_vccz .LBB174_2138
; %bb.2106:
	v_cmp_lt_i16_e32 vcc_lo, 22, v6
	s_cbranch_vccz .LBB174_2116
; %bb.2107:
	v_cmp_gt_i16_e32 vcc_lo, 24, v6
	s_cbranch_vccnz .LBB174_2119
; %bb.2108:
	v_cmp_lt_i16_e32 vcc_lo, 24, v6
	s_cbranch_vccz .LBB174_2120
; %bb.2109:
	global_load_u8 v4, v[2:3], off
	s_mov_b32 s17, exec_lo
                                        ; implicit-def: $sgpr14
	s_waitcnt vmcnt(0)
	v_cmpx_lt_i16_e32 0x7f, v4
	s_xor_b32 s17, exec_lo, s17
	s_cbranch_execz .LBB174_2132
; %bb.2110:
	s_mov_b32 s10, -1
	s_mov_b32 s18, exec_lo
                                        ; implicit-def: $sgpr14
	v_cmpx_eq_u16_e32 0x80, v4
; %bb.2111:
	s_mov_b32 s14, 0x7f800001
	s_xor_b32 s10, exec_lo, -1
; %bb.2112:
	s_or_b32 exec_lo, exec_lo, s18
	s_delay_alu instid0(SALU_CYCLE_1)
	s_and_b32 s10, s10, exec_lo
	s_or_saveexec_b32 s17, s17
	v_mov_b32_e32 v11, s14
	s_xor_b32 exec_lo, exec_lo, s17
	s_cbranch_execnz .LBB174_2133
.LBB174_2113:
	s_or_b32 exec_lo, exec_lo, s17
	s_and_saveexec_b32 s14, s10
	s_cbranch_execz .LBB174_2115
.LBB174_2114:
	v_and_b32_e32 v11, 0xffff, v4
	s_delay_alu instid0(VALU_DEP_1) | instskip(NEXT) | instid1(VALU_DEP_1)
	v_and_b32_e32 v13, 3, v11
	v_clz_i32_u32_e32 v14, v13
	s_delay_alu instid0(VALU_DEP_1) | instskip(NEXT) | instid1(VALU_DEP_1)
	v_min_u32_e32 v14, 32, v14
	v_subrev_nc_u32_e32 v15, 29, v14
	v_sub_nc_u32_e32 v14, 30, v14
	s_delay_alu instid0(VALU_DEP_2) | instskip(SKIP_1) | instid1(VALU_DEP_2)
	v_lshlrev_b32_e32 v15, v15, v11
	v_bfe_u32 v11, v11, 2, 5
	v_and_b32_e32 v15, 3, v15
	s_delay_alu instid0(VALU_DEP_2) | instskip(SKIP_1) | instid1(VALU_DEP_1)
	v_cmp_eq_u32_e32 vcc_lo, 0, v11
	v_dual_cndmask_b32 v11, v11, v14 :: v_dual_lshlrev_b32 v4, 24, v4
	v_dual_cndmask_b32 v13, v13, v15 :: v_dual_and_b32 v4, 0x80000000, v4
	s_delay_alu instid0(VALU_DEP_2) | instskip(NEXT) | instid1(VALU_DEP_2)
	v_lshl_add_u32 v11, v11, 23, 0x37800000
	v_lshlrev_b32_e32 v13, 21, v13
	s_delay_alu instid0(VALU_DEP_1)
	v_or3_b32 v11, v4, v11, v13
.LBB174_2115:
	s_or_b32 exec_lo, exec_lo, s14
	s_delay_alu instid0(VALU_DEP_1) | instskip(SKIP_2) | instid1(VALU_DEP_2)
	v_bfe_u32 v4, v11, 16, 1
	v_cmp_o_f32_e32 vcc_lo, v11, v11
	s_mov_b32 s10, 0
	v_add3_u32 v4, v11, v4, 0x7fff
	s_delay_alu instid0(VALU_DEP_1) | instskip(NEXT) | instid1(VALU_DEP_1)
	v_lshrrev_b32_e32 v4, 16, v4
	v_cndmask_b32_e32 v11, 0x7fc0, v4, vcc_lo
	s_branch .LBB174_2121
.LBB174_2116:
	s_mov_b32 s10, -1
                                        ; implicit-def: $vgpr11
	s_branch .LBB174_2127
.LBB174_2117:
	s_or_saveexec_b32 s18, s18
	v_mov_b32_e32 v11, s17
	s_xor_b32 exec_lo, exec_lo, s18
	s_cbranch_execz .LBB174_2100
.LBB174_2118:
	v_cmp_ne_u16_e32 vcc_lo, 0, v4
	v_mov_b32_e32 v11, 0
	s_and_not1_b32 s14, s14, exec_lo
	s_and_b32 s17, vcc_lo, exec_lo
	s_delay_alu instid0(SALU_CYCLE_1)
	s_or_b32 s14, s14, s17
	s_or_b32 exec_lo, exec_lo, s18
	s_and_saveexec_b32 s17, s14
	s_cbranch_execnz .LBB174_2101
	s_branch .LBB174_2102
.LBB174_2119:
	s_mov_b32 s10, -1
                                        ; implicit-def: $vgpr11
	s_branch .LBB174_2124
.LBB174_2120:
	s_mov_b32 s10, -1
                                        ; implicit-def: $vgpr11
.LBB174_2121:
	s_delay_alu instid0(SALU_CYCLE_1)
	s_and_b32 vcc_lo, exec_lo, s10
	s_cbranch_vccz .LBB174_2123
; %bb.2122:
	global_load_u8 v4, v[2:3], off
	s_waitcnt vmcnt(0)
	v_lshlrev_b32_e32 v4, 24, v4
	s_delay_alu instid0(VALU_DEP_1) | instskip(NEXT) | instid1(VALU_DEP_1)
	v_and_b32_e32 v11, 0x7f000000, v4
	v_clz_i32_u32_e32 v13, v11
	v_add_nc_u32_e32 v15, 0x1000000, v11
	v_cmp_ne_u32_e32 vcc_lo, 0, v11
	s_delay_alu instid0(VALU_DEP_3) | instskip(NEXT) | instid1(VALU_DEP_1)
	v_min_u32_e32 v13, 32, v13
	v_sub_nc_u32_e64 v13, v13, 4 clamp
	s_delay_alu instid0(VALU_DEP_1) | instskip(SKIP_1) | instid1(VALU_DEP_2)
	v_lshlrev_b32_e32 v14, v13, v11
	v_lshlrev_b32_e32 v13, 23, v13
	v_lshrrev_b32_e32 v14, 4, v14
	s_delay_alu instid0(VALU_DEP_1) | instskip(SKIP_1) | instid1(VALU_DEP_2)
	v_sub_nc_u32_e32 v13, v14, v13
	v_ashrrev_i32_e32 v14, 8, v15
	v_add_nc_u32_e32 v13, 0x3c000000, v13
	s_delay_alu instid0(VALU_DEP_1) | instskip(NEXT) | instid1(VALU_DEP_1)
	v_and_or_b32 v13, 0x7f800000, v14, v13
	v_cndmask_b32_e32 v11, 0, v13, vcc_lo
	s_delay_alu instid0(VALU_DEP_1) | instskip(SKIP_1) | instid1(VALU_DEP_2)
	v_and_or_b32 v4, 0x80000000, v4, v11
	v_bfe_u32 v11, v11, 16, 1
	v_cmp_o_f32_e32 vcc_lo, v4, v4
	s_delay_alu instid0(VALU_DEP_2) | instskip(NEXT) | instid1(VALU_DEP_1)
	v_add3_u32 v11, v4, v11, 0x7fff
	v_lshrrev_b32_e32 v11, 16, v11
	s_delay_alu instid0(VALU_DEP_1)
	v_cndmask_b32_e32 v11, 0x7fc0, v11, vcc_lo
.LBB174_2123:
	s_mov_b32 s10, 0
.LBB174_2124:
	s_delay_alu instid0(SALU_CYCLE_1)
	s_and_not1_b32 vcc_lo, exec_lo, s10
	s_cbranch_vccnz .LBB174_2126
; %bb.2125:
	global_load_u8 v4, v[2:3], off
	s_waitcnt vmcnt(0)
	v_lshlrev_b32_e32 v11, 25, v4
	v_lshlrev_b16 v4, 8, v4
	s_delay_alu instid0(VALU_DEP_1) | instskip(SKIP_1) | instid1(VALU_DEP_2)
	v_and_or_b32 v14, 0x7f00, v4, 0.5
	v_bfe_i32 v4, v4, 0, 16
	v_add_f32_e32 v14, -0.5, v14
	v_lshrrev_b32_e32 v13, 4, v11
	v_cmp_gt_u32_e32 vcc_lo, 0x8000000, v11
	s_delay_alu instid0(VALU_DEP_2) | instskip(NEXT) | instid1(VALU_DEP_1)
	v_or_b32_e32 v13, 0x70000000, v13
	v_mul_f32_e32 v13, 0x7800000, v13
	s_delay_alu instid0(VALU_DEP_1) | instskip(NEXT) | instid1(VALU_DEP_1)
	v_cndmask_b32_e32 v11, v13, v14, vcc_lo
	v_and_or_b32 v4, 0x80000000, v4, v11
	v_bfe_u32 v11, v11, 16, 1
	s_delay_alu instid0(VALU_DEP_2) | instskip(NEXT) | instid1(VALU_DEP_2)
	v_cmp_o_f32_e32 vcc_lo, v4, v4
	v_add3_u32 v11, v4, v11, 0x7fff
	s_delay_alu instid0(VALU_DEP_1) | instskip(NEXT) | instid1(VALU_DEP_1)
	v_lshrrev_b32_e32 v11, 16, v11
	v_cndmask_b32_e32 v11, 0x7fc0, v11, vcc_lo
.LBB174_2126:
	s_mov_b32 s10, 0
	s_mov_b32 s14, -1
.LBB174_2127:
	s_and_not1_b32 vcc_lo, exec_lo, s10
	s_mov_b32 s10, 0
	s_cbranch_vccnz .LBB174_2138
; %bb.2128:
	v_cmp_lt_i16_e32 vcc_lo, 14, v6
	s_cbranch_vccz .LBB174_2131
; %bb.2129:
	v_cmp_eq_u16_e32 vcc_lo, 15, v6
	s_cbranch_vccz .LBB174_2134
; %bb.2130:
	global_load_u16 v11, v[2:3], off
	s_mov_b32 s0, 0
	s_mov_b32 s14, -1
	s_branch .LBB174_2136
.LBB174_2131:
	s_mov_b32 s10, -1
	s_branch .LBB174_2135
.LBB174_2132:
	s_or_saveexec_b32 s17, s17
	v_mov_b32_e32 v11, s14
	s_xor_b32 exec_lo, exec_lo, s17
	s_cbranch_execz .LBB174_2113
.LBB174_2133:
	v_cmp_ne_u16_e32 vcc_lo, 0, v4
	v_mov_b32_e32 v11, 0
	s_and_not1_b32 s10, s10, exec_lo
	s_and_b32 s14, vcc_lo, exec_lo
	s_delay_alu instid0(SALU_CYCLE_1)
	s_or_b32 s10, s10, s14
	s_or_b32 exec_lo, exec_lo, s17
	s_and_saveexec_b32 s14, s10
	s_cbranch_execnz .LBB174_2114
	s_branch .LBB174_2115
.LBB174_2134:
	s_mov_b32 s0, -1
.LBB174_2135:
                                        ; implicit-def: $vgpr11
.LBB174_2136:
	s_and_b32 vcc_lo, exec_lo, s10
	s_mov_b32 s10, 0
	s_cbranch_vccz .LBB174_2138
; %bb.2137:
	v_cmp_ne_u16_e64 s0, 11, v6
	s_mov_b32 s10, -1
                                        ; implicit-def: $vgpr11
.LBB174_2138:
	s_delay_alu instid0(VALU_DEP_1)
	s_and_b32 vcc_lo, exec_lo, s0
	s_cbranch_vccnz .LBB174_2203
; %bb.2139:
	s_and_not1_b32 vcc_lo, exec_lo, s10
	s_cbranch_vccnz .LBB174_2141
.LBB174_2140:
	global_load_u8 v4, v[2:3], off
	s_mov_b32 s14, -1
	s_waitcnt vmcnt(0)
	v_cmp_ne_u16_e32 vcc_lo, 0, v4
	v_cndmask_b32_e64 v4, 0, 1.0, vcc_lo
	s_delay_alu instid0(VALU_DEP_1)
	v_lshrrev_b32_e32 v11, 16, v4
.LBB174_2141:
	s_mov_b32 s0, 0
.LBB174_2142:
	s_delay_alu instid0(SALU_CYCLE_1)
	s_and_b32 vcc_lo, exec_lo, s0
	s_cbranch_vccz .LBB174_2191
; %bb.2143:
	v_cmp_gt_i16_e32 vcc_lo, 5, v6
	s_cbranch_vccnz .LBB174_2148
; %bb.2144:
	v_cmp_gt_i16_e32 vcc_lo, 8, v6
	s_cbranch_vccnz .LBB174_2149
	;; [unrolled: 3-line block ×3, first 2 shown]
; %bb.2146:
	v_cmp_lt_i16_e32 vcc_lo, 9, v6
	s_cbranch_vccz .LBB174_2151
; %bb.2147:
	global_load_b64 v[13:14], v[2:3], off
	s_mov_b32 s0, 0
	s_waitcnt vmcnt(0)
	v_cvt_f32_f64_e32 v4, v[13:14]
	s_delay_alu instid0(VALU_DEP_1) | instskip(SKIP_1) | instid1(VALU_DEP_2)
	v_bfe_u32 v11, v4, 16, 1
	v_cmp_o_f32_e32 vcc_lo, v4, v4
	v_add3_u32 v11, v4, v11, 0x7fff
	s_delay_alu instid0(VALU_DEP_1) | instskip(NEXT) | instid1(VALU_DEP_1)
	v_lshrrev_b32_e32 v11, 16, v11
	v_cndmask_b32_e32 v11, 0x7fc0, v11, vcc_lo
	s_branch .LBB174_2152
.LBB174_2148:
	s_mov_b32 s0, -1
                                        ; implicit-def: $vgpr11
	s_branch .LBB174_2170
.LBB174_2149:
	s_mov_b32 s0, -1
                                        ; implicit-def: $vgpr11
	s_branch .LBB174_2158
.LBB174_2150:
	s_mov_b32 s0, -1
                                        ; implicit-def: $vgpr11
	s_branch .LBB174_2155
.LBB174_2151:
	s_mov_b32 s0, -1
                                        ; implicit-def: $vgpr11
.LBB174_2152:
	s_delay_alu instid0(SALU_CYCLE_1)
	s_and_not1_b32 vcc_lo, exec_lo, s0
	s_cbranch_vccnz .LBB174_2154
; %bb.2153:
	global_load_b32 v4, v[2:3], off
	s_waitcnt vmcnt(0)
	v_bfe_u32 v11, v4, 16, 1
	v_cmp_o_f32_e32 vcc_lo, v4, v4
	s_delay_alu instid0(VALU_DEP_2) | instskip(NEXT) | instid1(VALU_DEP_1)
	v_add3_u32 v11, v4, v11, 0x7fff
	v_lshrrev_b32_e32 v11, 16, v11
	s_delay_alu instid0(VALU_DEP_1)
	v_cndmask_b32_e32 v11, 0x7fc0, v11, vcc_lo
.LBB174_2154:
	s_mov_b32 s0, 0
.LBB174_2155:
	s_delay_alu instid0(SALU_CYCLE_1)
	s_and_not1_b32 vcc_lo, exec_lo, s0
	s_cbranch_vccnz .LBB174_2157
; %bb.2156:
	global_load_b32 v4, v[2:3], off
	s_waitcnt vmcnt(0)
	v_cvt_f32_f16_e32 v11, v4
	v_cmp_o_f16_e32 vcc_lo, v4, v4
	s_delay_alu instid0(VALU_DEP_2) | instskip(NEXT) | instid1(VALU_DEP_1)
	v_bfe_u32 v13, v11, 16, 1
	v_add3_u32 v11, v11, v13, 0x7fff
	s_delay_alu instid0(VALU_DEP_1) | instskip(NEXT) | instid1(VALU_DEP_1)
	v_lshrrev_b32_e32 v11, 16, v11
	v_cndmask_b32_e32 v11, 0x7fc0, v11, vcc_lo
.LBB174_2157:
	s_mov_b32 s0, 0
.LBB174_2158:
	s_delay_alu instid0(SALU_CYCLE_1)
	s_and_not1_b32 vcc_lo, exec_lo, s0
	s_cbranch_vccnz .LBB174_2169
; %bb.2159:
	v_cmp_gt_i16_e32 vcc_lo, 6, v6
	s_cbranch_vccnz .LBB174_2162
; %bb.2160:
	v_cmp_lt_i16_e32 vcc_lo, 6, v6
	s_cbranch_vccz .LBB174_2163
; %bb.2161:
	global_load_b64 v[13:14], v[2:3], off
	s_mov_b32 s0, 0
	s_waitcnt vmcnt(0)
	v_cvt_f32_f64_e32 v4, v[13:14]
	s_delay_alu instid0(VALU_DEP_1) | instskip(SKIP_1) | instid1(VALU_DEP_2)
	v_bfe_u32 v11, v4, 16, 1
	v_cmp_o_f32_e32 vcc_lo, v4, v4
	v_add3_u32 v11, v4, v11, 0x7fff
	s_delay_alu instid0(VALU_DEP_1) | instskip(NEXT) | instid1(VALU_DEP_1)
	v_lshrrev_b32_e32 v11, 16, v11
	v_cndmask_b32_e32 v11, 0x7fc0, v11, vcc_lo
	s_branch .LBB174_2164
.LBB174_2162:
	s_mov_b32 s0, -1
                                        ; implicit-def: $vgpr11
	s_branch .LBB174_2167
.LBB174_2163:
	s_mov_b32 s0, -1
                                        ; implicit-def: $vgpr11
.LBB174_2164:
	s_delay_alu instid0(SALU_CYCLE_1)
	s_and_not1_b32 vcc_lo, exec_lo, s0
	s_cbranch_vccnz .LBB174_2166
; %bb.2165:
	global_load_b32 v4, v[2:3], off
	s_waitcnt vmcnt(0)
	v_bfe_u32 v11, v4, 16, 1
	v_cmp_o_f32_e32 vcc_lo, v4, v4
	s_delay_alu instid0(VALU_DEP_2) | instskip(NEXT) | instid1(VALU_DEP_1)
	v_add3_u32 v11, v4, v11, 0x7fff
	v_lshrrev_b32_e32 v11, 16, v11
	s_delay_alu instid0(VALU_DEP_1)
	v_cndmask_b32_e32 v11, 0x7fc0, v11, vcc_lo
.LBB174_2166:
	s_mov_b32 s0, 0
.LBB174_2167:
	s_delay_alu instid0(SALU_CYCLE_1)
	s_and_not1_b32 vcc_lo, exec_lo, s0
	s_cbranch_vccnz .LBB174_2169
; %bb.2168:
	global_load_u16 v4, v[2:3], off
	s_waitcnt vmcnt(0)
	v_cvt_f32_f16_e32 v11, v4
	v_cmp_o_f16_e32 vcc_lo, v4, v4
	s_delay_alu instid0(VALU_DEP_2) | instskip(NEXT) | instid1(VALU_DEP_1)
	v_bfe_u32 v13, v11, 16, 1
	v_add3_u32 v11, v11, v13, 0x7fff
	s_delay_alu instid0(VALU_DEP_1) | instskip(NEXT) | instid1(VALU_DEP_1)
	v_lshrrev_b32_e32 v11, 16, v11
	v_cndmask_b32_e32 v11, 0x7fc0, v11, vcc_lo
.LBB174_2169:
	s_mov_b32 s0, 0
.LBB174_2170:
	s_delay_alu instid0(SALU_CYCLE_1)
	s_and_not1_b32 vcc_lo, exec_lo, s0
	s_cbranch_vccnz .LBB174_2190
; %bb.2171:
	v_cmp_gt_i16_e32 vcc_lo, 2, v6
	s_cbranch_vccnz .LBB174_2175
; %bb.2172:
	v_cmp_gt_i16_e32 vcc_lo, 3, v6
	s_cbranch_vccnz .LBB174_2176
; %bb.2173:
	v_cmp_lt_i16_e32 vcc_lo, 3, v6
	s_cbranch_vccz .LBB174_2177
; %bb.2174:
	global_load_b64 v[13:14], v[2:3], off
	s_mov_b32 s0, 0
	s_waitcnt vmcnt(0)
	v_xor_b32_e32 v4, v13, v14
	v_cls_i32_e32 v11, v14
	s_delay_alu instid0(VALU_DEP_2) | instskip(NEXT) | instid1(VALU_DEP_2)
	v_ashrrev_i32_e32 v4, 31, v4
	v_add_nc_u32_e32 v11, -1, v11
	s_delay_alu instid0(VALU_DEP_2) | instskip(NEXT) | instid1(VALU_DEP_1)
	v_add_nc_u32_e32 v4, 32, v4
	v_min_u32_e32 v4, v11, v4
	s_delay_alu instid0(VALU_DEP_1) | instskip(SKIP_1) | instid1(VALU_DEP_2)
	v_lshlrev_b64 v[13:14], v4, v[13:14]
	v_sub_nc_u32_e32 v4, 32, v4
	v_min_u32_e32 v11, 1, v13
	s_delay_alu instid0(VALU_DEP_1) | instskip(NEXT) | instid1(VALU_DEP_1)
	v_or_b32_e32 v11, v14, v11
	v_cvt_f32_i32_e32 v11, v11
	s_delay_alu instid0(VALU_DEP_1) | instskip(NEXT) | instid1(VALU_DEP_1)
	v_ldexp_f32 v4, v11, v4
	v_bfe_u32 v11, v4, 16, 1
	s_delay_alu instid0(VALU_DEP_1) | instskip(NEXT) | instid1(VALU_DEP_1)
	v_add3_u32 v4, v4, v11, 0x7fff
	v_lshrrev_b32_e32 v11, 16, v4
	s_branch .LBB174_2178
.LBB174_2175:
	s_mov_b32 s0, -1
                                        ; implicit-def: $vgpr11
	s_branch .LBB174_2184
.LBB174_2176:
	s_mov_b32 s0, -1
                                        ; implicit-def: $vgpr11
	s_branch .LBB174_2181
.LBB174_2177:
	s_mov_b32 s0, -1
                                        ; implicit-def: $vgpr11
.LBB174_2178:
	s_delay_alu instid0(SALU_CYCLE_1)
	s_and_not1_b32 vcc_lo, exec_lo, s0
	s_cbranch_vccnz .LBB174_2180
; %bb.2179:
	global_load_b32 v4, v[2:3], off
	s_waitcnt vmcnt(0)
	v_cvt_f32_i32_e32 v4, v4
	s_delay_alu instid0(VALU_DEP_1) | instskip(NEXT) | instid1(VALU_DEP_1)
	v_bfe_u32 v11, v4, 16, 1
	v_add3_u32 v4, v4, v11, 0x7fff
	s_delay_alu instid0(VALU_DEP_1)
	v_lshrrev_b32_e32 v11, 16, v4
.LBB174_2180:
	s_mov_b32 s0, 0
.LBB174_2181:
	s_delay_alu instid0(SALU_CYCLE_1)
	s_and_not1_b32 vcc_lo, exec_lo, s0
	s_cbranch_vccnz .LBB174_2183
; %bb.2182:
	global_load_i16 v4, v[2:3], off
	s_waitcnt vmcnt(0)
	v_cvt_f32_i32_e32 v4, v4
	s_delay_alu instid0(VALU_DEP_1) | instskip(NEXT) | instid1(VALU_DEP_1)
	v_bfe_u32 v11, v4, 16, 1
	v_add3_u32 v4, v4, v11, 0x7fff
	s_delay_alu instid0(VALU_DEP_1)
	v_lshrrev_b32_e32 v11, 16, v4
.LBB174_2183:
	s_mov_b32 s0, 0
.LBB174_2184:
	s_delay_alu instid0(SALU_CYCLE_1)
	s_and_not1_b32 vcc_lo, exec_lo, s0
	s_cbranch_vccnz .LBB174_2190
; %bb.2185:
	v_cmp_lt_i16_e32 vcc_lo, 0, v6
	s_mov_b32 s0, 0
	s_cbranch_vccz .LBB174_2187
; %bb.2186:
	global_load_i8 v4, v[2:3], off
	s_waitcnt vmcnt(0)
	v_cvt_f32_i32_e32 v4, v4
	s_delay_alu instid0(VALU_DEP_1) | instskip(NEXT) | instid1(VALU_DEP_1)
	v_bfe_u32 v11, v4, 16, 1
	v_add3_u32 v4, v4, v11, 0x7fff
	s_delay_alu instid0(VALU_DEP_1)
	v_lshrrev_b32_e32 v11, 16, v4
	s_branch .LBB174_2188
.LBB174_2187:
	s_mov_b32 s0, -1
                                        ; implicit-def: $vgpr11
.LBB174_2188:
	s_delay_alu instid0(SALU_CYCLE_1)
	s_and_not1_b32 vcc_lo, exec_lo, s0
	s_cbranch_vccnz .LBB174_2190
; %bb.2189:
	global_load_u8 v2, v[2:3], off
	s_waitcnt vmcnt(0)
	v_cvt_f32_ubyte0_e32 v2, v2
	s_delay_alu instid0(VALU_DEP_1) | instskip(NEXT) | instid1(VALU_DEP_1)
	v_bfe_u32 v3, v2, 16, 1
	v_add3_u32 v2, v2, v3, 0x7fff
	s_delay_alu instid0(VALU_DEP_1)
	v_lshrrev_b32_e32 v11, 16, v2
.LBB174_2190:
	s_mov_b32 s14, -1
.LBB174_2191:
	s_delay_alu instid0(SALU_CYCLE_1)
	s_and_not1_b32 vcc_lo, exec_lo, s14
	s_cbranch_vccnz .LBB174_3021
; %bb.2192:
	v_add_nc_u32_e32 v13, s9, v5
	v_cmp_gt_i16_e32 vcc_lo, 11, v9
	s_delay_alu instid0(VALU_DEP_2) | instskip(SKIP_1) | instid1(VALU_DEP_1)
	v_ashrrev_i32_e32 v2, 31, v13
	v_add_co_u32 v4, s0, s2, v13
	v_add_co_ci_u32_e64 v5, s0, s3, v2, s0
	s_cbranch_vccnz .LBB174_2199
; %bb.2193:
	v_cmp_lt_i16_e32 vcc_lo, 25, v9
	s_mov_b32 s10, 0
	s_cbranch_vccz .LBB174_2200
; %bb.2194:
	v_cmp_lt_i16_e32 vcc_lo, 28, v9
	s_cbranch_vccz .LBB174_2201
; %bb.2195:
	v_cmp_lt_i16_e32 vcc_lo, 43, v9
	;; [unrolled: 3-line block ×3, first 2 shown]
	s_cbranch_vccz .LBB174_2205
; %bb.2197:
	v_cmp_eq_u16_e32 vcc_lo, 46, v9
	s_mov_b32 s17, 0
	s_cbranch_vccz .LBB174_2210
; %bb.2198:
	global_load_b32 v2, v[4:5], off
	s_mov_b32 s0, 0
	s_mov_b32 s14, -1
	s_waitcnt vmcnt(0)
	v_lshlrev_b32_e32 v2, 16, v2
	s_delay_alu instid0(VALU_DEP_1) | instskip(NEXT) | instid1(VALU_DEP_1)
	v_trunc_f32_e32 v2, v2
	v_mul_f32_e64 v3, 0x2f800000, |v2|
	s_delay_alu instid0(VALU_DEP_1) | instskip(NEXT) | instid1(VALU_DEP_1)
	v_floor_f32_e32 v3, v3
	v_fma_f32 v3, 0xcf800000, v3, |v2|
	v_ashrrev_i32_e32 v2, 31, v2
	s_delay_alu instid0(VALU_DEP_2) | instskip(NEXT) | instid1(VALU_DEP_1)
	v_cvt_u32_f32_e32 v3, v3
	v_xor_b32_e32 v3, v3, v2
	s_delay_alu instid0(VALU_DEP_1)
	v_sub_nc_u32_e32 v2, v3, v2
	s_branch .LBB174_2212
.LBB174_2199:
	s_mov_b32 s0, -1
	s_mov_b32 s14, 0
                                        ; implicit-def: $vgpr2
	s_branch .LBB174_2274
.LBB174_2200:
	s_mov_b32 s17, -1
	s_mov_b32 s14, 0
	s_mov_b32 s0, 0
                                        ; implicit-def: $vgpr2
	s_branch .LBB174_2239
.LBB174_2201:
	s_mov_b32 s17, -1
	s_mov_b32 s14, 0
	s_mov_b32 s0, 0
                                        ; implicit-def: $vgpr2
	s_branch .LBB174_2222
.LBB174_2202:
	s_mov_b32 s17, -1
	s_mov_b32 s14, 0
	s_mov_b32 s0, 0
                                        ; implicit-def: $vgpr2
	s_branch .LBB174_2217
.LBB174_2203:
	s_cbranch_execnz .LBB174_2206
; %bb.2204:
	s_or_b32 s13, s13, exec_lo
                                        ; implicit-def: $vgpr11
	s_cbranch_execz .LBB174_2140
	s_branch .LBB174_2141
.LBB174_2205:
	s_mov_b32 s17, -1
	s_mov_b32 s14, 0
	s_mov_b32 s0, 0
	s_branch .LBB174_2211
.LBB174_2206:
	s_trap 2
	s_sendmsg_rtn_b32 s0, sendmsg(MSG_RTN_GET_DOORBELL)
	s_mov_b32 ttmp2, m0
	s_waitcnt lgkmcnt(0)
	s_and_b32 s0, s0, 0x3ff
	s_delay_alu instid0(SALU_CYCLE_1) | instskip(NEXT) | instid1(SALU_CYCLE_1)
	s_bitset1_b32 s0, 10
	s_mov_b32 m0, s0
	s_sendmsg sendmsg(MSG_INTERRUPT)
	s_mov_b32 m0, ttmp2
.LBB174_2207:                           ; =>This Inner Loop Header: Depth=1
	s_sethalt 5
	s_branch .LBB174_2207
.LBB174_2208:
	s_or_saveexec_b32 s30, s30
                                        ; implicit-def: $sgpr31
	s_delay_alu instid0(SALU_CYCLE_1)
	s_xor_b32 exec_lo, exec_lo, s30
	s_cbranch_execz .LBB174_1072
.LBB174_2209:
	v_add_f32_e64 v5, 0x42800000, |v6|
	s_and_not1_b32 s29, s29, exec_lo
	s_mov_b32 s31, 0
	s_delay_alu instid0(VALU_DEP_1) | instskip(NEXT) | instid1(VALU_DEP_1)
	v_and_b32_e32 v5, 0xff, v5
	v_cmp_ne_u32_e32 vcc_lo, 0, v5
	s_and_b32 s33, vcc_lo, exec_lo
	s_delay_alu instid0(SALU_CYCLE_1)
	s_or_b32 s29, s29, s33
	s_or_b32 exec_lo, exec_lo, s30
	v_mov_b32_e32 v8, s31
	s_and_saveexec_b32 s30, s29
	s_cbranch_execnz .LBB174_1073
	s_branch .LBB174_1074
.LBB174_2210:
	s_mov_b32 s0, -1
	s_mov_b32 s14, 0
.LBB174_2211:
                                        ; implicit-def: $vgpr2
.LBB174_2212:
	s_and_b32 vcc_lo, exec_lo, s17
	s_cbranch_vccz .LBB174_2216
; %bb.2213:
	v_cmp_eq_u16_e32 vcc_lo, 44, v9
	s_cbranch_vccz .LBB174_2215
; %bb.2214:
	global_load_u8 v2, v[4:5], off
	s_mov_b32 s0, 0
	s_mov_b32 s14, -1
	s_waitcnt vmcnt(0)
	v_lshlrev_b32_e32 v3, 23, v2
	v_cmp_ne_u32_e32 vcc_lo, 0, v2
	s_delay_alu instid0(VALU_DEP_2) | instskip(NEXT) | instid1(VALU_DEP_1)
	v_trunc_f32_e32 v3, v3
	v_mul_f32_e64 v14, 0x2f800000, |v3|
	s_delay_alu instid0(VALU_DEP_1) | instskip(NEXT) | instid1(VALU_DEP_1)
	v_floor_f32_e32 v14, v14
	v_fma_f32 v14, 0xcf800000, v14, |v3|
	v_ashrrev_i32_e32 v3, 31, v3
	s_delay_alu instid0(VALU_DEP_2) | instskip(NEXT) | instid1(VALU_DEP_1)
	v_cvt_u32_f32_e32 v14, v14
	v_xor_b32_e32 v14, v14, v3
	s_delay_alu instid0(VALU_DEP_1) | instskip(NEXT) | instid1(VALU_DEP_1)
	v_sub_nc_u32_e32 v3, v14, v3
	v_cndmask_b32_e32 v2, 0, v3, vcc_lo
	s_branch .LBB174_2216
.LBB174_2215:
	s_mov_b32 s0, -1
                                        ; implicit-def: $vgpr2
.LBB174_2216:
	s_mov_b32 s17, 0
.LBB174_2217:
	s_delay_alu instid0(SALU_CYCLE_1)
	s_and_b32 vcc_lo, exec_lo, s17
	s_cbranch_vccz .LBB174_2221
; %bb.2218:
	v_cmp_eq_u16_e32 vcc_lo, 29, v9
	s_cbranch_vccz .LBB174_2220
; %bb.2219:
	global_load_b64 v[2:3], v[4:5], off
	s_mov_b32 s0, 0
	s_mov_b32 s14, -1
	s_branch .LBB174_2221
.LBB174_2220:
	s_mov_b32 s0, -1
                                        ; implicit-def: $vgpr2
.LBB174_2221:
	s_mov_b32 s17, 0
.LBB174_2222:
	s_delay_alu instid0(SALU_CYCLE_1)
	s_and_b32 vcc_lo, exec_lo, s17
	s_cbranch_vccz .LBB174_2238
; %bb.2223:
	v_cmp_gt_i16_e32 vcc_lo, 27, v9
	s_cbranch_vccnz .LBB174_2226
; %bb.2224:
	v_cmp_lt_i16_e32 vcc_lo, 27, v9
	s_cbranch_vccz .LBB174_2227
; %bb.2225:
	global_load_b32 v2, v[4:5], off
	s_mov_b32 s14, 0
	s_branch .LBB174_2228
.LBB174_2226:
	s_mov_b32 s14, -1
                                        ; implicit-def: $vgpr2
	s_branch .LBB174_2231
.LBB174_2227:
	s_mov_b32 s14, -1
                                        ; implicit-def: $vgpr2
.LBB174_2228:
	s_delay_alu instid0(SALU_CYCLE_1)
	s_and_not1_b32 vcc_lo, exec_lo, s14
	s_cbranch_vccnz .LBB174_2230
; %bb.2229:
	global_load_u16 v2, v[4:5], off
.LBB174_2230:
	s_mov_b32 s14, 0
.LBB174_2231:
	s_delay_alu instid0(SALU_CYCLE_1)
	s_and_not1_b32 vcc_lo, exec_lo, s14
	s_cbranch_vccnz .LBB174_2237
; %bb.2232:
	global_load_u8 v3, v[4:5], off
	s_mov_b32 s17, 0
	s_mov_b32 s14, exec_lo
                                        ; implicit-def: $sgpr18
	s_waitcnt vmcnt(0)
	v_cmpx_lt_i16_e32 0x7f, v3
	s_xor_b32 s14, exec_lo, s14
	s_cbranch_execz .LBB174_2249
; %bb.2233:
	v_cmp_ne_u16_e32 vcc_lo, 0x80, v3
	s_mov_b32 s18, 0
	s_and_b32 s17, vcc_lo, exec_lo
	s_or_saveexec_b32 s14, s14
	v_mov_b32_e32 v2, s18
	s_xor_b32 exec_lo, exec_lo, s14
	s_cbranch_execnz .LBB174_2250
.LBB174_2234:
	s_or_b32 exec_lo, exec_lo, s14
	s_and_saveexec_b32 s14, s17
	s_cbranch_execz .LBB174_2236
.LBB174_2235:
	v_and_b32_e32 v2, 0xffff, v3
	s_delay_alu instid0(VALU_DEP_1) | instskip(NEXT) | instid1(VALU_DEP_1)
	v_and_b32_e32 v14, 7, v2
	v_clz_i32_u32_e32 v15, v14
	s_delay_alu instid0(VALU_DEP_1) | instskip(NEXT) | instid1(VALU_DEP_1)
	v_min_u32_e32 v15, 32, v15
	v_subrev_nc_u32_e32 v16, 28, v15
	v_sub_nc_u32_e32 v15, 29, v15
	s_delay_alu instid0(VALU_DEP_2) | instskip(SKIP_1) | instid1(VALU_DEP_2)
	v_lshlrev_b32_e32 v16, v16, v2
	v_bfe_u32 v2, v2, 3, 4
	v_and_b32_e32 v16, 7, v16
	s_delay_alu instid0(VALU_DEP_2) | instskip(NEXT) | instid1(VALU_DEP_2)
	v_cmp_eq_u32_e32 vcc_lo, 0, v2
	v_dual_cndmask_b32 v14, v14, v16 :: v_dual_lshlrev_b32 v3, 24, v3
	v_cndmask_b32_e32 v2, v2, v15, vcc_lo
	s_delay_alu instid0(VALU_DEP_2) | instskip(NEXT) | instid1(VALU_DEP_3)
	v_and_b32_e32 v3, 0x80000000, v3
	v_lshlrev_b32_e32 v14, 20, v14
	s_delay_alu instid0(VALU_DEP_3) | instskip(NEXT) | instid1(VALU_DEP_1)
	v_lshl_add_u32 v2, v2, 23, 0x3b800000
	v_or3_b32 v2, v3, v2, v14
	s_delay_alu instid0(VALU_DEP_1) | instskip(NEXT) | instid1(VALU_DEP_1)
	v_trunc_f32_e32 v2, v2
	v_mul_f32_e64 v3, 0x2f800000, |v2|
	s_delay_alu instid0(VALU_DEP_1) | instskip(NEXT) | instid1(VALU_DEP_1)
	v_floor_f32_e32 v3, v3
	v_fma_f32 v3, 0xcf800000, v3, |v2|
	v_ashrrev_i32_e32 v2, 31, v2
	s_delay_alu instid0(VALU_DEP_2) | instskip(NEXT) | instid1(VALU_DEP_1)
	v_cvt_u32_f32_e32 v3, v3
	v_xor_b32_e32 v3, v3, v2
	s_delay_alu instid0(VALU_DEP_1)
	v_sub_nc_u32_e32 v2, v3, v2
.LBB174_2236:
	s_or_b32 exec_lo, exec_lo, s14
.LBB174_2237:
	s_mov_b32 s14, -1
.LBB174_2238:
	s_mov_b32 s17, 0
.LBB174_2239:
	s_delay_alu instid0(SALU_CYCLE_1)
	s_and_b32 vcc_lo, exec_lo, s17
	s_cbranch_vccz .LBB174_2270
; %bb.2240:
	v_cmp_lt_i16_e32 vcc_lo, 22, v9
	s_cbranch_vccz .LBB174_2248
; %bb.2241:
	v_cmp_gt_i16_e32 vcc_lo, 24, v9
	s_cbranch_vccnz .LBB174_2251
; %bb.2242:
	v_cmp_lt_i16_e32 vcc_lo, 24, v9
	s_cbranch_vccz .LBB174_2252
; %bb.2243:
	global_load_u8 v3, v[4:5], off
	s_mov_b32 s14, 0
	s_mov_b32 s10, exec_lo
                                        ; implicit-def: $sgpr17
	s_waitcnt vmcnt(0)
	v_cmpx_lt_i16_e32 0x7f, v3
	s_xor_b32 s10, exec_lo, s10
	s_cbranch_execz .LBB174_2264
; %bb.2244:
	v_cmp_ne_u16_e32 vcc_lo, 0x80, v3
	s_mov_b32 s17, 0
	s_and_b32 s14, vcc_lo, exec_lo
	s_or_saveexec_b32 s10, s10
	v_mov_b32_e32 v2, s17
	s_xor_b32 exec_lo, exec_lo, s10
	s_cbranch_execnz .LBB174_2265
.LBB174_2245:
	s_or_b32 exec_lo, exec_lo, s10
	s_and_saveexec_b32 s10, s14
	s_cbranch_execz .LBB174_2247
.LBB174_2246:
	v_and_b32_e32 v2, 0xffff, v3
	s_delay_alu instid0(VALU_DEP_1) | instskip(NEXT) | instid1(VALU_DEP_1)
	v_and_b32_e32 v14, 3, v2
	v_clz_i32_u32_e32 v15, v14
	s_delay_alu instid0(VALU_DEP_1) | instskip(NEXT) | instid1(VALU_DEP_1)
	v_min_u32_e32 v15, 32, v15
	v_subrev_nc_u32_e32 v16, 29, v15
	v_sub_nc_u32_e32 v15, 30, v15
	s_delay_alu instid0(VALU_DEP_2) | instskip(SKIP_1) | instid1(VALU_DEP_2)
	v_lshlrev_b32_e32 v16, v16, v2
	v_bfe_u32 v2, v2, 2, 5
	v_and_b32_e32 v16, 3, v16
	s_delay_alu instid0(VALU_DEP_2) | instskip(NEXT) | instid1(VALU_DEP_2)
	v_cmp_eq_u32_e32 vcc_lo, 0, v2
	v_dual_cndmask_b32 v14, v14, v16 :: v_dual_lshlrev_b32 v3, 24, v3
	v_cndmask_b32_e32 v2, v2, v15, vcc_lo
	s_delay_alu instid0(VALU_DEP_2) | instskip(NEXT) | instid1(VALU_DEP_3)
	v_and_b32_e32 v3, 0x80000000, v3
	v_lshlrev_b32_e32 v14, 21, v14
	s_delay_alu instid0(VALU_DEP_3) | instskip(NEXT) | instid1(VALU_DEP_1)
	v_lshl_add_u32 v2, v2, 23, 0x37800000
	v_or3_b32 v2, v3, v2, v14
	s_delay_alu instid0(VALU_DEP_1) | instskip(NEXT) | instid1(VALU_DEP_1)
	v_trunc_f32_e32 v2, v2
	v_mul_f32_e64 v3, 0x2f800000, |v2|
	s_delay_alu instid0(VALU_DEP_1) | instskip(NEXT) | instid1(VALU_DEP_1)
	v_floor_f32_e32 v3, v3
	v_fma_f32 v3, 0xcf800000, v3, |v2|
	v_ashrrev_i32_e32 v2, 31, v2
	s_delay_alu instid0(VALU_DEP_2) | instskip(NEXT) | instid1(VALU_DEP_1)
	v_cvt_u32_f32_e32 v3, v3
	v_xor_b32_e32 v3, v3, v2
	s_delay_alu instid0(VALU_DEP_1)
	v_sub_nc_u32_e32 v2, v3, v2
.LBB174_2247:
	s_or_b32 exec_lo, exec_lo, s10
	s_mov_b32 s10, 0
	s_branch .LBB174_2253
.LBB174_2248:
	s_mov_b32 s10, -1
                                        ; implicit-def: $vgpr2
	s_branch .LBB174_2259
.LBB174_2249:
	s_or_saveexec_b32 s14, s14
	v_mov_b32_e32 v2, s18
	s_xor_b32 exec_lo, exec_lo, s14
	s_cbranch_execz .LBB174_2234
.LBB174_2250:
	v_cmp_ne_u16_e32 vcc_lo, 0, v3
	v_mov_b32_e32 v2, 0
	s_and_not1_b32 s17, s17, exec_lo
	s_and_b32 s18, vcc_lo, exec_lo
	s_delay_alu instid0(SALU_CYCLE_1)
	s_or_b32 s17, s17, s18
	s_or_b32 exec_lo, exec_lo, s14
	s_and_saveexec_b32 s14, s17
	s_cbranch_execnz .LBB174_2235
	s_branch .LBB174_2236
.LBB174_2251:
	s_mov_b32 s10, -1
                                        ; implicit-def: $vgpr2
	s_branch .LBB174_2256
.LBB174_2252:
	s_mov_b32 s10, -1
                                        ; implicit-def: $vgpr2
.LBB174_2253:
	s_delay_alu instid0(SALU_CYCLE_1)
	s_and_b32 vcc_lo, exec_lo, s10
	s_cbranch_vccz .LBB174_2255
; %bb.2254:
	global_load_u8 v2, v[4:5], off
	s_waitcnt vmcnt(0)
	v_lshlrev_b32_e32 v2, 24, v2
	s_delay_alu instid0(VALU_DEP_1) | instskip(NEXT) | instid1(VALU_DEP_1)
	v_and_b32_e32 v3, 0x7f000000, v2
	v_clz_i32_u32_e32 v14, v3
	v_cmp_ne_u32_e32 vcc_lo, 0, v3
	v_add_nc_u32_e32 v16, 0x1000000, v3
	s_delay_alu instid0(VALU_DEP_3) | instskip(NEXT) | instid1(VALU_DEP_1)
	v_min_u32_e32 v14, 32, v14
	v_sub_nc_u32_e64 v14, v14, 4 clamp
	s_delay_alu instid0(VALU_DEP_1) | instskip(SKIP_1) | instid1(VALU_DEP_2)
	v_lshlrev_b32_e32 v15, v14, v3
	v_lshlrev_b32_e32 v14, 23, v14
	v_lshrrev_b32_e32 v15, 4, v15
	s_delay_alu instid0(VALU_DEP_1) | instskip(SKIP_1) | instid1(VALU_DEP_2)
	v_sub_nc_u32_e32 v14, v15, v14
	v_ashrrev_i32_e32 v15, 8, v16
	v_add_nc_u32_e32 v14, 0x3c000000, v14
	s_delay_alu instid0(VALU_DEP_1) | instskip(NEXT) | instid1(VALU_DEP_1)
	v_and_or_b32 v14, 0x7f800000, v15, v14
	v_cndmask_b32_e32 v3, 0, v14, vcc_lo
	s_delay_alu instid0(VALU_DEP_1) | instskip(NEXT) | instid1(VALU_DEP_1)
	v_and_or_b32 v2, 0x80000000, v2, v3
	v_trunc_f32_e32 v2, v2
	s_delay_alu instid0(VALU_DEP_1) | instskip(NEXT) | instid1(VALU_DEP_1)
	v_mul_f32_e64 v3, 0x2f800000, |v2|
	v_floor_f32_e32 v3, v3
	s_delay_alu instid0(VALU_DEP_1) | instskip(SKIP_1) | instid1(VALU_DEP_2)
	v_fma_f32 v3, 0xcf800000, v3, |v2|
	v_ashrrev_i32_e32 v2, 31, v2
	v_cvt_u32_f32_e32 v3, v3
	s_delay_alu instid0(VALU_DEP_1) | instskip(NEXT) | instid1(VALU_DEP_1)
	v_xor_b32_e32 v3, v3, v2
	v_sub_nc_u32_e32 v2, v3, v2
.LBB174_2255:
	s_mov_b32 s10, 0
.LBB174_2256:
	s_delay_alu instid0(SALU_CYCLE_1)
	s_and_not1_b32 vcc_lo, exec_lo, s10
	s_cbranch_vccnz .LBB174_2258
; %bb.2257:
	global_load_u8 v2, v[4:5], off
	s_waitcnt vmcnt(0)
	v_lshlrev_b32_e32 v3, 25, v2
	v_lshlrev_b16 v2, 8, v2
	s_delay_alu instid0(VALU_DEP_2) | instskip(NEXT) | instid1(VALU_DEP_2)
	v_lshrrev_b32_e32 v14, 4, v3
	v_and_or_b32 v15, 0x7f00, v2, 0.5
	v_cmp_gt_u32_e32 vcc_lo, 0x8000000, v3
	v_bfe_i32 v2, v2, 0, 16
	s_delay_alu instid0(VALU_DEP_4) | instskip(NEXT) | instid1(VALU_DEP_1)
	v_or_b32_e32 v14, 0x70000000, v14
	v_dual_add_f32 v15, -0.5, v15 :: v_dual_mul_f32 v14, 0x7800000, v14
	s_delay_alu instid0(VALU_DEP_1) | instskip(NEXT) | instid1(VALU_DEP_1)
	v_cndmask_b32_e32 v3, v14, v15, vcc_lo
	v_and_or_b32 v2, 0x80000000, v2, v3
	s_delay_alu instid0(VALU_DEP_1) | instskip(NEXT) | instid1(VALU_DEP_1)
	v_trunc_f32_e32 v2, v2
	v_mul_f32_e64 v3, 0x2f800000, |v2|
	s_delay_alu instid0(VALU_DEP_1) | instskip(NEXT) | instid1(VALU_DEP_1)
	v_floor_f32_e32 v3, v3
	v_fma_f32 v3, 0xcf800000, v3, |v2|
	v_ashrrev_i32_e32 v2, 31, v2
	s_delay_alu instid0(VALU_DEP_2) | instskip(NEXT) | instid1(VALU_DEP_1)
	v_cvt_u32_f32_e32 v3, v3
	v_xor_b32_e32 v3, v3, v2
	s_delay_alu instid0(VALU_DEP_1)
	v_sub_nc_u32_e32 v2, v3, v2
.LBB174_2258:
	s_mov_b32 s10, 0
	s_mov_b32 s14, -1
.LBB174_2259:
	s_and_not1_b32 vcc_lo, exec_lo, s10
	s_mov_b32 s10, 0
	s_cbranch_vccnz .LBB174_2270
; %bb.2260:
	v_cmp_lt_i16_e32 vcc_lo, 14, v9
	s_cbranch_vccz .LBB174_2263
; %bb.2261:
	v_cmp_eq_u16_e32 vcc_lo, 15, v9
	s_cbranch_vccz .LBB174_2266
; %bb.2262:
	global_load_u16 v2, v[4:5], off
	s_mov_b32 s0, 0
	s_mov_b32 s14, -1
	s_waitcnt vmcnt(0)
	v_lshlrev_b32_e32 v2, 16, v2
	s_delay_alu instid0(VALU_DEP_1) | instskip(NEXT) | instid1(VALU_DEP_1)
	v_trunc_f32_e32 v2, v2
	v_mul_f32_e64 v3, 0x2f800000, |v2|
	s_delay_alu instid0(VALU_DEP_1) | instskip(NEXT) | instid1(VALU_DEP_1)
	v_floor_f32_e32 v3, v3
	v_fma_f32 v3, 0xcf800000, v3, |v2|
	v_ashrrev_i32_e32 v2, 31, v2
	s_delay_alu instid0(VALU_DEP_2) | instskip(NEXT) | instid1(VALU_DEP_1)
	v_cvt_u32_f32_e32 v3, v3
	v_xor_b32_e32 v3, v3, v2
	s_delay_alu instid0(VALU_DEP_1)
	v_sub_nc_u32_e32 v2, v3, v2
	s_branch .LBB174_2268
.LBB174_2263:
	s_mov_b32 s10, -1
	s_branch .LBB174_2267
.LBB174_2264:
	s_or_saveexec_b32 s10, s10
	v_mov_b32_e32 v2, s17
	s_xor_b32 exec_lo, exec_lo, s10
	s_cbranch_execz .LBB174_2245
.LBB174_2265:
	v_cmp_ne_u16_e32 vcc_lo, 0, v3
	v_mov_b32_e32 v2, 0
	s_and_not1_b32 s14, s14, exec_lo
	s_and_b32 s17, vcc_lo, exec_lo
	s_delay_alu instid0(SALU_CYCLE_1)
	s_or_b32 s14, s14, s17
	s_or_b32 exec_lo, exec_lo, s10
	s_and_saveexec_b32 s10, s14
	s_cbranch_execnz .LBB174_2246
	s_branch .LBB174_2247
.LBB174_2266:
	s_mov_b32 s0, -1
.LBB174_2267:
                                        ; implicit-def: $vgpr2
.LBB174_2268:
	s_and_b32 vcc_lo, exec_lo, s10
	s_mov_b32 s10, 0
	s_cbranch_vccz .LBB174_2270
; %bb.2269:
	v_cmp_ne_u16_e64 s0, 11, v9
	s_mov_b32 s10, -1
                                        ; implicit-def: $vgpr2
.LBB174_2270:
	s_delay_alu instid0(VALU_DEP_1)
	s_and_b32 vcc_lo, exec_lo, s0
	s_cbranch_vccnz .LBB174_2335
; %bb.2271:
	s_and_not1_b32 vcc_lo, exec_lo, s10
	s_cbranch_vccnz .LBB174_2273
.LBB174_2272:
	global_load_u8 v2, v[4:5], off
	s_mov_b32 s14, -1
	s_waitcnt vmcnt(0)
	v_cmp_ne_u16_e32 vcc_lo, 0, v2
	v_cndmask_b32_e64 v2, 0, 1, vcc_lo
.LBB174_2273:
	s_mov_b32 s0, 0
.LBB174_2274:
	s_delay_alu instid0(SALU_CYCLE_1)
	s_and_b32 vcc_lo, exec_lo, s0
	s_cbranch_vccz .LBB174_2323
; %bb.2275:
	v_cmp_gt_i16_e32 vcc_lo, 5, v9
	s_cbranch_vccnz .LBB174_2280
; %bb.2276:
	v_cmp_gt_i16_e32 vcc_lo, 8, v9
	s_cbranch_vccnz .LBB174_2281
	;; [unrolled: 3-line block ×3, first 2 shown]
; %bb.2278:
	v_cmp_lt_i16_e32 vcc_lo, 9, v9
	s_cbranch_vccz .LBB174_2283
; %bb.2279:
	global_load_b64 v[2:3], v[4:5], off
	s_mov_b32 s0, 0
	s_waitcnt vmcnt(0)
	v_trunc_f64_e32 v[2:3], v[2:3]
	s_delay_alu instid0(VALU_DEP_1) | instskip(NEXT) | instid1(VALU_DEP_1)
	v_ldexp_f64 v[14:15], v[2:3], 0xffffffe0
	v_floor_f64_e32 v[14:15], v[14:15]
	s_delay_alu instid0(VALU_DEP_1) | instskip(NEXT) | instid1(VALU_DEP_1)
	v_fma_f64 v[2:3], 0xc1f00000, v[14:15], v[2:3]
	v_cvt_u32_f64_e32 v2, v[2:3]
	s_branch .LBB174_2284
.LBB174_2280:
	s_mov_b32 s0, -1
                                        ; implicit-def: $vgpr2
	s_branch .LBB174_2302
.LBB174_2281:
	s_mov_b32 s0, -1
                                        ; implicit-def: $vgpr2
	s_branch .LBB174_2290
.LBB174_2282:
	s_mov_b32 s0, -1
                                        ; implicit-def: $vgpr2
	s_branch .LBB174_2287
.LBB174_2283:
	s_mov_b32 s0, -1
                                        ; implicit-def: $vgpr2
.LBB174_2284:
	s_delay_alu instid0(SALU_CYCLE_1)
	s_and_not1_b32 vcc_lo, exec_lo, s0
	s_cbranch_vccnz .LBB174_2286
; %bb.2285:
	global_load_b32 v2, v[4:5], off
	s_waitcnt vmcnt(0)
	v_trunc_f32_e32 v2, v2
	s_delay_alu instid0(VALU_DEP_1) | instskip(NEXT) | instid1(VALU_DEP_1)
	v_mul_f32_e64 v3, 0x2f800000, |v2|
	v_floor_f32_e32 v3, v3
	s_delay_alu instid0(VALU_DEP_1) | instskip(SKIP_1) | instid1(VALU_DEP_2)
	v_fma_f32 v3, 0xcf800000, v3, |v2|
	v_ashrrev_i32_e32 v2, 31, v2
	v_cvt_u32_f32_e32 v3, v3
	s_delay_alu instid0(VALU_DEP_1) | instskip(NEXT) | instid1(VALU_DEP_1)
	v_xor_b32_e32 v3, v3, v2
	v_sub_nc_u32_e32 v2, v3, v2
.LBB174_2286:
	s_mov_b32 s0, 0
.LBB174_2287:
	s_delay_alu instid0(SALU_CYCLE_1)
	s_and_not1_b32 vcc_lo, exec_lo, s0
	s_cbranch_vccnz .LBB174_2289
; %bb.2288:
	global_load_b32 v2, v[4:5], off
	s_waitcnt vmcnt(0)
	v_cvt_f32_f16_e32 v2, v2
	s_delay_alu instid0(VALU_DEP_1)
	v_cvt_i32_f32_e32 v2, v2
.LBB174_2289:
	s_mov_b32 s0, 0
.LBB174_2290:
	s_delay_alu instid0(SALU_CYCLE_1)
	s_and_not1_b32 vcc_lo, exec_lo, s0
	s_cbranch_vccnz .LBB174_2301
; %bb.2291:
	v_cmp_gt_i16_e32 vcc_lo, 6, v9
	s_cbranch_vccnz .LBB174_2294
; %bb.2292:
	v_cmp_lt_i16_e32 vcc_lo, 6, v9
	s_cbranch_vccz .LBB174_2295
; %bb.2293:
	global_load_b64 v[2:3], v[4:5], off
	s_mov_b32 s0, 0
	s_waitcnt vmcnt(0)
	v_trunc_f64_e32 v[2:3], v[2:3]
	s_delay_alu instid0(VALU_DEP_1) | instskip(NEXT) | instid1(VALU_DEP_1)
	v_ldexp_f64 v[14:15], v[2:3], 0xffffffe0
	v_floor_f64_e32 v[14:15], v[14:15]
	s_delay_alu instid0(VALU_DEP_1) | instskip(NEXT) | instid1(VALU_DEP_1)
	v_fma_f64 v[2:3], 0xc1f00000, v[14:15], v[2:3]
	v_cvt_u32_f64_e32 v2, v[2:3]
	s_branch .LBB174_2296
.LBB174_2294:
	s_mov_b32 s0, -1
                                        ; implicit-def: $vgpr2
	s_branch .LBB174_2299
.LBB174_2295:
	s_mov_b32 s0, -1
                                        ; implicit-def: $vgpr2
.LBB174_2296:
	s_delay_alu instid0(SALU_CYCLE_1)
	s_and_not1_b32 vcc_lo, exec_lo, s0
	s_cbranch_vccnz .LBB174_2298
; %bb.2297:
	global_load_b32 v2, v[4:5], off
	s_waitcnt vmcnt(0)
	v_trunc_f32_e32 v2, v2
	s_delay_alu instid0(VALU_DEP_1) | instskip(NEXT) | instid1(VALU_DEP_1)
	v_mul_f32_e64 v3, 0x2f800000, |v2|
	v_floor_f32_e32 v3, v3
	s_delay_alu instid0(VALU_DEP_1) | instskip(SKIP_1) | instid1(VALU_DEP_2)
	v_fma_f32 v3, 0xcf800000, v3, |v2|
	v_ashrrev_i32_e32 v2, 31, v2
	v_cvt_u32_f32_e32 v3, v3
	s_delay_alu instid0(VALU_DEP_1) | instskip(NEXT) | instid1(VALU_DEP_1)
	v_xor_b32_e32 v3, v3, v2
	v_sub_nc_u32_e32 v2, v3, v2
.LBB174_2298:
	s_mov_b32 s0, 0
.LBB174_2299:
	s_delay_alu instid0(SALU_CYCLE_1)
	s_and_not1_b32 vcc_lo, exec_lo, s0
	s_cbranch_vccnz .LBB174_2301
; %bb.2300:
	global_load_u16 v2, v[4:5], off
	s_waitcnt vmcnt(0)
	v_cvt_f32_f16_e32 v2, v2
	s_delay_alu instid0(VALU_DEP_1)
	v_cvt_i32_f32_e32 v2, v2
.LBB174_2301:
	s_mov_b32 s0, 0
.LBB174_2302:
	s_delay_alu instid0(SALU_CYCLE_1)
	s_and_not1_b32 vcc_lo, exec_lo, s0
	s_cbranch_vccnz .LBB174_2322
; %bb.2303:
	v_cmp_gt_i16_e32 vcc_lo, 2, v9
	s_cbranch_vccnz .LBB174_2307
; %bb.2304:
	v_cmp_gt_i16_e32 vcc_lo, 3, v9
	s_cbranch_vccnz .LBB174_2308
; %bb.2305:
	v_cmp_lt_i16_e32 vcc_lo, 3, v9
	s_cbranch_vccz .LBB174_2309
; %bb.2306:
	global_load_b64 v[2:3], v[4:5], off
	s_mov_b32 s0, 0
	s_branch .LBB174_2310
.LBB174_2307:
	s_mov_b32 s0, -1
                                        ; implicit-def: $vgpr2
	s_branch .LBB174_2316
.LBB174_2308:
	s_mov_b32 s0, -1
                                        ; implicit-def: $vgpr2
	s_branch .LBB174_2313
.LBB174_2309:
	s_mov_b32 s0, -1
                                        ; implicit-def: $vgpr2
.LBB174_2310:
	s_delay_alu instid0(SALU_CYCLE_1)
	s_and_not1_b32 vcc_lo, exec_lo, s0
	s_cbranch_vccnz .LBB174_2312
; %bb.2311:
	global_load_b32 v2, v[4:5], off
.LBB174_2312:
	s_mov_b32 s0, 0
.LBB174_2313:
	s_delay_alu instid0(SALU_CYCLE_1)
	s_and_not1_b32 vcc_lo, exec_lo, s0
	s_cbranch_vccnz .LBB174_2315
; %bb.2314:
	global_load_u16 v2, v[4:5], off
.LBB174_2315:
	s_mov_b32 s0, 0
.LBB174_2316:
	s_delay_alu instid0(SALU_CYCLE_1)
	s_and_not1_b32 vcc_lo, exec_lo, s0
	s_cbranch_vccnz .LBB174_2322
; %bb.2317:
	v_cmp_lt_i16_e32 vcc_lo, 0, v9
	s_mov_b32 s0, 0
	s_cbranch_vccz .LBB174_2319
; %bb.2318:
	global_load_u8 v2, v[4:5], off
	s_branch .LBB174_2320
.LBB174_2319:
	s_mov_b32 s0, -1
                                        ; implicit-def: $vgpr2
.LBB174_2320:
	s_delay_alu instid0(SALU_CYCLE_1)
	s_and_not1_b32 vcc_lo, exec_lo, s0
	s_cbranch_vccnz .LBB174_2322
; %bb.2321:
	global_load_u8 v2, v[4:5], off
.LBB174_2322:
	s_mov_b32 s14, -1
.LBB174_2323:
	s_delay_alu instid0(SALU_CYCLE_1)
	s_and_not1_b32 vcc_lo, exec_lo, s14
	s_cbranch_vccnz .LBB174_3021
; %bb.2324:
	s_waitcnt vmcnt(0)
	v_add_nc_u32_e32 v3, s1, v12
	v_cmp_gt_i16_e32 vcc_lo, 11, v6
	s_delay_alu instid0(VALU_DEP_2) | instskip(SKIP_1) | instid1(VALU_DEP_1)
	v_ashrrev_i32_e32 v4, 31, v3
	v_add_co_u32 v3, s0, s6, v3
	v_add_co_ci_u32_e64 v4, s0, s7, v4, s0
	s_cbranch_vccnz .LBB174_2331
; %bb.2325:
	v_cmp_lt_i16_e32 vcc_lo, 25, v6
	s_mov_b32 s1, 0
	s_cbranch_vccz .LBB174_2332
; %bb.2326:
	v_cmp_lt_i16_e32 vcc_lo, 28, v6
	s_cbranch_vccz .LBB174_2333
; %bb.2327:
	v_cmp_lt_i16_e32 vcc_lo, 43, v6
	;; [unrolled: 3-line block ×3, first 2 shown]
	s_cbranch_vccz .LBB174_2337
; %bb.2329:
	v_cmp_eq_u16_e32 vcc_lo, 46, v6
	s_mov_b32 s7, 0
	s_cbranch_vccz .LBB174_2340
; %bb.2330:
	global_load_b32 v12, v[3:4], off
	s_mov_b32 s0, 0
	s_mov_b32 s6, -1
	s_branch .LBB174_2342
.LBB174_2331:
	s_mov_b32 s0, -1
	s_mov_b32 s6, 0
                                        ; implicit-def: $vgpr12
	s_branch .LBB174_2408
.LBB174_2332:
	s_mov_b32 s7, -1
	s_mov_b32 s6, 0
	s_mov_b32 s0, 0
                                        ; implicit-def: $vgpr12
	s_branch .LBB174_2371
.LBB174_2333:
	s_mov_b32 s7, -1
	s_mov_b32 s6, 0
	s_mov_b32 s0, 0
                                        ; implicit-def: $vgpr12
	s_branch .LBB174_2352
.LBB174_2334:
	s_mov_b32 s7, -1
	s_mov_b32 s6, 0
	s_mov_b32 s0, 0
                                        ; implicit-def: $vgpr12
	s_branch .LBB174_2347
.LBB174_2335:
	s_cbranch_execnz .LBB174_2338
; %bb.2336:
	s_or_b32 s13, s13, exec_lo
                                        ; implicit-def: $vgpr2
	s_cbranch_execz .LBB174_2272
	s_branch .LBB174_2273
.LBB174_2337:
	s_mov_b32 s7, -1
	s_mov_b32 s6, 0
	s_mov_b32 s0, 0
	s_branch .LBB174_2341
.LBB174_2338:
	s_trap 2
	s_sendmsg_rtn_b32 s0, sendmsg(MSG_RTN_GET_DOORBELL)
	s_mov_b32 ttmp2, m0
	s_waitcnt lgkmcnt(0)
	s_and_b32 s0, s0, 0x3ff
	s_delay_alu instid0(SALU_CYCLE_1) | instskip(NEXT) | instid1(SALU_CYCLE_1)
	s_bitset1_b32 s0, 10
	s_mov_b32 m0, s0
	s_sendmsg sendmsg(MSG_INTERRUPT)
	s_mov_b32 m0, ttmp2
.LBB174_2339:                           ; =>This Inner Loop Header: Depth=1
	s_sethalt 5
	s_branch .LBB174_2339
.LBB174_2340:
	s_mov_b32 s0, -1
	s_mov_b32 s6, 0
.LBB174_2341:
                                        ; implicit-def: $vgpr12
.LBB174_2342:
	s_and_b32 vcc_lo, exec_lo, s7
	s_cbranch_vccz .LBB174_2346
; %bb.2343:
	v_cmp_eq_u16_e32 vcc_lo, 44, v6
	s_cbranch_vccz .LBB174_2345
; %bb.2344:
	global_load_u8 v5, v[3:4], off
	s_mov_b32 s0, 0
	s_mov_b32 s6, -1
	s_waitcnt vmcnt(0)
	v_lshlrev_b32_e32 v12, 23, v5
	v_cmp_ne_u32_e32 vcc_lo, 0xff, v5
	s_delay_alu instid0(VALU_DEP_2) | instskip(SKIP_1) | instid1(VALU_DEP_2)
	v_cndmask_b32_e32 v12, 0x7f800001, v12, vcc_lo
	v_cmp_ne_u32_e32 vcc_lo, 0, v5
	v_cndmask_b32_e32 v5, 0x400000, v12, vcc_lo
	s_delay_alu instid0(VALU_DEP_1) | instskip(SKIP_1) | instid1(VALU_DEP_2)
	v_add_nc_u32_e32 v12, 0x7fff, v5
	v_cmp_o_f32_e32 vcc_lo, v5, v5
	v_lshrrev_b32_e32 v12, 16, v12
	s_delay_alu instid0(VALU_DEP_1)
	v_cndmask_b32_e32 v12, 0x7fc0, v12, vcc_lo
	s_branch .LBB174_2346
.LBB174_2345:
	s_mov_b32 s0, -1
                                        ; implicit-def: $vgpr12
.LBB174_2346:
	s_mov_b32 s7, 0
.LBB174_2347:
	s_delay_alu instid0(SALU_CYCLE_1)
	s_and_b32 vcc_lo, exec_lo, s7
	s_cbranch_vccz .LBB174_2351
; %bb.2348:
	v_cmp_eq_u16_e32 vcc_lo, 29, v6
	s_cbranch_vccz .LBB174_2350
; %bb.2349:
	global_load_b64 v[14:15], v[3:4], off
	s_mov_b32 s0, 0
	s_mov_b32 s6, -1
	s_mov_b32 s7, 0
	s_waitcnt vmcnt(0)
	v_clz_i32_u32_e32 v5, v15
	s_delay_alu instid0(VALU_DEP_1) | instskip(NEXT) | instid1(VALU_DEP_1)
	v_min_u32_e32 v5, 32, v5
	v_lshlrev_b64 v[14:15], v5, v[14:15]
	v_sub_nc_u32_e32 v5, 32, v5
	s_delay_alu instid0(VALU_DEP_2) | instskip(NEXT) | instid1(VALU_DEP_1)
	v_min_u32_e32 v12, 1, v14
	v_or_b32_e32 v12, v15, v12
	s_delay_alu instid0(VALU_DEP_1) | instskip(NEXT) | instid1(VALU_DEP_1)
	v_cvt_f32_u32_e32 v12, v12
	v_ldexp_f32 v5, v12, v5
	s_delay_alu instid0(VALU_DEP_1) | instskip(NEXT) | instid1(VALU_DEP_1)
	v_bfe_u32 v12, v5, 16, 1
	v_add3_u32 v5, v5, v12, 0x7fff
	s_delay_alu instid0(VALU_DEP_1)
	v_lshrrev_b32_e32 v12, 16, v5
	s_branch .LBB174_2352
.LBB174_2350:
	s_mov_b32 s0, -1
                                        ; implicit-def: $vgpr12
.LBB174_2351:
	s_mov_b32 s7, 0
.LBB174_2352:
	s_delay_alu instid0(SALU_CYCLE_1)
	s_and_b32 vcc_lo, exec_lo, s7
	s_cbranch_vccz .LBB174_2370
; %bb.2353:
	v_cmp_gt_i16_e32 vcc_lo, 27, v6
	s_cbranch_vccnz .LBB174_2356
; %bb.2354:
	v_cmp_lt_i16_e32 vcc_lo, 27, v6
	s_cbranch_vccz .LBB174_2357
; %bb.2355:
	global_load_b32 v5, v[3:4], off
	s_mov_b32 s6, 0
	s_waitcnt vmcnt(0)
	v_cvt_f32_u32_e32 v5, v5
	s_delay_alu instid0(VALU_DEP_1) | instskip(NEXT) | instid1(VALU_DEP_1)
	v_bfe_u32 v12, v5, 16, 1
	v_add3_u32 v5, v5, v12, 0x7fff
	s_delay_alu instid0(VALU_DEP_1)
	v_lshrrev_b32_e32 v12, 16, v5
	s_branch .LBB174_2358
.LBB174_2356:
	s_mov_b32 s6, -1
                                        ; implicit-def: $vgpr12
	s_branch .LBB174_2361
.LBB174_2357:
	s_mov_b32 s6, -1
                                        ; implicit-def: $vgpr12
.LBB174_2358:
	s_delay_alu instid0(SALU_CYCLE_1)
	s_and_not1_b32 vcc_lo, exec_lo, s6
	s_cbranch_vccnz .LBB174_2360
; %bb.2359:
	global_load_u16 v5, v[3:4], off
	s_waitcnt vmcnt(0)
	v_cvt_f32_u32_e32 v5, v5
	s_delay_alu instid0(VALU_DEP_1) | instskip(NEXT) | instid1(VALU_DEP_1)
	v_bfe_u32 v12, v5, 16, 1
	v_add3_u32 v5, v5, v12, 0x7fff
	s_delay_alu instid0(VALU_DEP_1)
	v_lshrrev_b32_e32 v12, 16, v5
.LBB174_2360:
	s_mov_b32 s6, 0
.LBB174_2361:
	s_delay_alu instid0(SALU_CYCLE_1)
	s_and_not1_b32 vcc_lo, exec_lo, s6
	s_cbranch_vccnz .LBB174_2369
; %bb.2362:
	global_load_u8 v5, v[3:4], off
	s_mov_b32 s6, 0
	s_mov_b32 s10, exec_lo
                                        ; implicit-def: $sgpr7
	s_waitcnt vmcnt(0)
	v_cmpx_lt_i16_e32 0x7f, v5
	s_xor_b32 s10, exec_lo, s10
	s_cbranch_execz .LBB174_2383
; %bb.2363:
	s_mov_b32 s6, -1
	s_mov_b32 s14, exec_lo
                                        ; implicit-def: $sgpr7
	v_cmpx_eq_u16_e32 0x80, v5
; %bb.2364:
	s_mov_b32 s7, 0x7f800001
	s_xor_b32 s6, exec_lo, -1
; %bb.2365:
	s_or_b32 exec_lo, exec_lo, s14
	s_delay_alu instid0(SALU_CYCLE_1)
	s_and_b32 s6, s6, exec_lo
	s_or_saveexec_b32 s10, s10
	v_mov_b32_e32 v12, s7
	s_xor_b32 exec_lo, exec_lo, s10
	s_cbranch_execnz .LBB174_2384
.LBB174_2366:
	s_or_b32 exec_lo, exec_lo, s10
	s_and_saveexec_b32 s7, s6
	s_cbranch_execz .LBB174_2368
.LBB174_2367:
	v_and_b32_e32 v12, 0xffff, v5
	s_delay_alu instid0(VALU_DEP_1) | instskip(NEXT) | instid1(VALU_DEP_1)
	v_and_b32_e32 v14, 7, v12
	v_clz_i32_u32_e32 v15, v14
	s_delay_alu instid0(VALU_DEP_1) | instskip(NEXT) | instid1(VALU_DEP_1)
	v_min_u32_e32 v15, 32, v15
	v_subrev_nc_u32_e32 v16, 28, v15
	v_sub_nc_u32_e32 v15, 29, v15
	s_delay_alu instid0(VALU_DEP_2) | instskip(SKIP_1) | instid1(VALU_DEP_2)
	v_lshlrev_b32_e32 v16, v16, v12
	v_bfe_u32 v12, v12, 3, 4
	v_and_b32_e32 v16, 7, v16
	s_delay_alu instid0(VALU_DEP_2) | instskip(SKIP_1) | instid1(VALU_DEP_1)
	v_cmp_eq_u32_e32 vcc_lo, 0, v12
	v_dual_cndmask_b32 v12, v12, v15 :: v_dual_lshlrev_b32 v5, 24, v5
	v_dual_cndmask_b32 v14, v14, v16 :: v_dual_and_b32 v5, 0x80000000, v5
	s_delay_alu instid0(VALU_DEP_2) | instskip(NEXT) | instid1(VALU_DEP_2)
	v_lshl_add_u32 v12, v12, 23, 0x3b800000
	v_lshlrev_b32_e32 v14, 20, v14
	s_delay_alu instid0(VALU_DEP_1)
	v_or3_b32 v12, v5, v12, v14
.LBB174_2368:
	s_or_b32 exec_lo, exec_lo, s7
	s_delay_alu instid0(VALU_DEP_1) | instskip(SKIP_1) | instid1(VALU_DEP_2)
	v_bfe_u32 v5, v12, 16, 1
	v_cmp_o_f32_e32 vcc_lo, v12, v12
	v_add3_u32 v5, v12, v5, 0x7fff
	s_delay_alu instid0(VALU_DEP_1) | instskip(NEXT) | instid1(VALU_DEP_1)
	v_lshrrev_b32_e32 v5, 16, v5
	v_cndmask_b32_e32 v12, 0x7fc0, v5, vcc_lo
.LBB174_2369:
	s_mov_b32 s6, -1
.LBB174_2370:
	s_mov_b32 s7, 0
.LBB174_2371:
	s_delay_alu instid0(SALU_CYCLE_1)
	s_and_b32 vcc_lo, exec_lo, s7
	s_cbranch_vccz .LBB174_2404
; %bb.2372:
	v_cmp_lt_i16_e32 vcc_lo, 22, v6
	s_cbranch_vccz .LBB174_2382
; %bb.2373:
	v_cmp_gt_i16_e32 vcc_lo, 24, v6
	s_cbranch_vccnz .LBB174_2385
; %bb.2374:
	v_cmp_lt_i16_e32 vcc_lo, 24, v6
	s_cbranch_vccz .LBB174_2386
; %bb.2375:
	global_load_u8 v5, v[3:4], off
	s_mov_b32 s7, exec_lo
                                        ; implicit-def: $sgpr6
	s_waitcnt vmcnt(0)
	v_cmpx_lt_i16_e32 0x7f, v5
	s_xor_b32 s7, exec_lo, s7
	s_cbranch_execz .LBB174_2398
; %bb.2376:
	s_mov_b32 s1, -1
	s_mov_b32 s10, exec_lo
                                        ; implicit-def: $sgpr6
	v_cmpx_eq_u16_e32 0x80, v5
; %bb.2377:
	s_mov_b32 s6, 0x7f800001
	s_xor_b32 s1, exec_lo, -1
; %bb.2378:
	s_or_b32 exec_lo, exec_lo, s10
	s_delay_alu instid0(SALU_CYCLE_1)
	s_and_b32 s1, s1, exec_lo
	s_or_saveexec_b32 s7, s7
	v_mov_b32_e32 v12, s6
	s_xor_b32 exec_lo, exec_lo, s7
	s_cbranch_execnz .LBB174_2399
.LBB174_2379:
	s_or_b32 exec_lo, exec_lo, s7
	s_and_saveexec_b32 s6, s1
	s_cbranch_execz .LBB174_2381
.LBB174_2380:
	v_and_b32_e32 v12, 0xffff, v5
	s_delay_alu instid0(VALU_DEP_1) | instskip(NEXT) | instid1(VALU_DEP_1)
	v_and_b32_e32 v14, 3, v12
	v_clz_i32_u32_e32 v15, v14
	s_delay_alu instid0(VALU_DEP_1) | instskip(NEXT) | instid1(VALU_DEP_1)
	v_min_u32_e32 v15, 32, v15
	v_subrev_nc_u32_e32 v16, 29, v15
	v_sub_nc_u32_e32 v15, 30, v15
	s_delay_alu instid0(VALU_DEP_2) | instskip(SKIP_1) | instid1(VALU_DEP_2)
	v_lshlrev_b32_e32 v16, v16, v12
	v_bfe_u32 v12, v12, 2, 5
	v_and_b32_e32 v16, 3, v16
	s_delay_alu instid0(VALU_DEP_2) | instskip(SKIP_1) | instid1(VALU_DEP_1)
	v_cmp_eq_u32_e32 vcc_lo, 0, v12
	v_dual_cndmask_b32 v12, v12, v15 :: v_dual_lshlrev_b32 v5, 24, v5
	v_dual_cndmask_b32 v14, v14, v16 :: v_dual_and_b32 v5, 0x80000000, v5
	s_delay_alu instid0(VALU_DEP_2) | instskip(NEXT) | instid1(VALU_DEP_2)
	v_lshl_add_u32 v12, v12, 23, 0x37800000
	v_lshlrev_b32_e32 v14, 21, v14
	s_delay_alu instid0(VALU_DEP_1)
	v_or3_b32 v12, v5, v12, v14
.LBB174_2381:
	s_or_b32 exec_lo, exec_lo, s6
	s_delay_alu instid0(VALU_DEP_1) | instskip(SKIP_2) | instid1(VALU_DEP_2)
	v_bfe_u32 v5, v12, 16, 1
	v_cmp_o_f32_e32 vcc_lo, v12, v12
	s_mov_b32 s1, 0
	v_add3_u32 v5, v12, v5, 0x7fff
	s_delay_alu instid0(VALU_DEP_1) | instskip(NEXT) | instid1(VALU_DEP_1)
	v_lshrrev_b32_e32 v5, 16, v5
	v_cndmask_b32_e32 v12, 0x7fc0, v5, vcc_lo
	s_branch .LBB174_2387
.LBB174_2382:
	s_mov_b32 s1, -1
                                        ; implicit-def: $vgpr12
	s_branch .LBB174_2393
.LBB174_2383:
	s_or_saveexec_b32 s10, s10
	v_mov_b32_e32 v12, s7
	s_xor_b32 exec_lo, exec_lo, s10
	s_cbranch_execz .LBB174_2366
.LBB174_2384:
	v_cmp_ne_u16_e32 vcc_lo, 0, v5
	v_mov_b32_e32 v12, 0
	s_and_not1_b32 s6, s6, exec_lo
	s_and_b32 s7, vcc_lo, exec_lo
	s_delay_alu instid0(SALU_CYCLE_1)
	s_or_b32 s6, s6, s7
	s_or_b32 exec_lo, exec_lo, s10
	s_and_saveexec_b32 s7, s6
	s_cbranch_execnz .LBB174_2367
	s_branch .LBB174_2368
.LBB174_2385:
	s_mov_b32 s1, -1
                                        ; implicit-def: $vgpr12
	s_branch .LBB174_2390
.LBB174_2386:
	s_mov_b32 s1, -1
                                        ; implicit-def: $vgpr12
.LBB174_2387:
	s_delay_alu instid0(SALU_CYCLE_1)
	s_and_b32 vcc_lo, exec_lo, s1
	s_cbranch_vccz .LBB174_2389
; %bb.2388:
	global_load_u8 v5, v[3:4], off
	s_waitcnt vmcnt(0)
	v_lshlrev_b32_e32 v5, 24, v5
	s_delay_alu instid0(VALU_DEP_1) | instskip(NEXT) | instid1(VALU_DEP_1)
	v_and_b32_e32 v12, 0x7f000000, v5
	v_clz_i32_u32_e32 v14, v12
	v_add_nc_u32_e32 v16, 0x1000000, v12
	v_cmp_ne_u32_e32 vcc_lo, 0, v12
	s_delay_alu instid0(VALU_DEP_3) | instskip(NEXT) | instid1(VALU_DEP_1)
	v_min_u32_e32 v14, 32, v14
	v_sub_nc_u32_e64 v14, v14, 4 clamp
	s_delay_alu instid0(VALU_DEP_1) | instskip(SKIP_1) | instid1(VALU_DEP_2)
	v_lshlrev_b32_e32 v15, v14, v12
	v_lshlrev_b32_e32 v14, 23, v14
	v_lshrrev_b32_e32 v15, 4, v15
	s_delay_alu instid0(VALU_DEP_1) | instskip(SKIP_1) | instid1(VALU_DEP_2)
	v_sub_nc_u32_e32 v14, v15, v14
	v_ashrrev_i32_e32 v15, 8, v16
	v_add_nc_u32_e32 v14, 0x3c000000, v14
	s_delay_alu instid0(VALU_DEP_1) | instskip(NEXT) | instid1(VALU_DEP_1)
	v_and_or_b32 v14, 0x7f800000, v15, v14
	v_cndmask_b32_e32 v12, 0, v14, vcc_lo
	s_delay_alu instid0(VALU_DEP_1) | instskip(SKIP_1) | instid1(VALU_DEP_2)
	v_and_or_b32 v5, 0x80000000, v5, v12
	v_bfe_u32 v12, v12, 16, 1
	v_cmp_o_f32_e32 vcc_lo, v5, v5
	s_delay_alu instid0(VALU_DEP_2) | instskip(NEXT) | instid1(VALU_DEP_1)
	v_add3_u32 v12, v5, v12, 0x7fff
	v_lshrrev_b32_e32 v12, 16, v12
	s_delay_alu instid0(VALU_DEP_1)
	v_cndmask_b32_e32 v12, 0x7fc0, v12, vcc_lo
.LBB174_2389:
	s_mov_b32 s1, 0
.LBB174_2390:
	s_delay_alu instid0(SALU_CYCLE_1)
	s_and_not1_b32 vcc_lo, exec_lo, s1
	s_cbranch_vccnz .LBB174_2392
; %bb.2391:
	global_load_u8 v5, v[3:4], off
	s_waitcnt vmcnt(0)
	v_lshlrev_b32_e32 v12, 25, v5
	v_lshlrev_b16 v5, 8, v5
	s_delay_alu instid0(VALU_DEP_1) | instskip(SKIP_1) | instid1(VALU_DEP_2)
	v_and_or_b32 v15, 0x7f00, v5, 0.5
	v_bfe_i32 v5, v5, 0, 16
	v_add_f32_e32 v15, -0.5, v15
	v_lshrrev_b32_e32 v14, 4, v12
	v_cmp_gt_u32_e32 vcc_lo, 0x8000000, v12
	s_delay_alu instid0(VALU_DEP_2) | instskip(NEXT) | instid1(VALU_DEP_1)
	v_or_b32_e32 v14, 0x70000000, v14
	v_mul_f32_e32 v14, 0x7800000, v14
	s_delay_alu instid0(VALU_DEP_1) | instskip(NEXT) | instid1(VALU_DEP_1)
	v_cndmask_b32_e32 v12, v14, v15, vcc_lo
	v_and_or_b32 v5, 0x80000000, v5, v12
	v_bfe_u32 v12, v12, 16, 1
	s_delay_alu instid0(VALU_DEP_2) | instskip(NEXT) | instid1(VALU_DEP_2)
	v_cmp_o_f32_e32 vcc_lo, v5, v5
	v_add3_u32 v12, v5, v12, 0x7fff
	s_delay_alu instid0(VALU_DEP_1) | instskip(NEXT) | instid1(VALU_DEP_1)
	v_lshrrev_b32_e32 v12, 16, v12
	v_cndmask_b32_e32 v12, 0x7fc0, v12, vcc_lo
.LBB174_2392:
	s_mov_b32 s1, 0
	s_mov_b32 s6, -1
.LBB174_2393:
	s_and_not1_b32 vcc_lo, exec_lo, s1
	s_mov_b32 s1, 0
	s_cbranch_vccnz .LBB174_2404
; %bb.2394:
	v_cmp_lt_i16_e32 vcc_lo, 14, v6
	s_cbranch_vccz .LBB174_2397
; %bb.2395:
	v_cmp_eq_u16_e32 vcc_lo, 15, v6
	s_cbranch_vccz .LBB174_2400
; %bb.2396:
	global_load_u16 v12, v[3:4], off
	s_mov_b32 s0, 0
	s_mov_b32 s6, -1
	s_branch .LBB174_2402
.LBB174_2397:
	s_mov_b32 s1, -1
	s_branch .LBB174_2401
.LBB174_2398:
	s_or_saveexec_b32 s7, s7
	v_mov_b32_e32 v12, s6
	s_xor_b32 exec_lo, exec_lo, s7
	s_cbranch_execz .LBB174_2379
.LBB174_2399:
	v_cmp_ne_u16_e32 vcc_lo, 0, v5
	v_mov_b32_e32 v12, 0
	s_and_not1_b32 s1, s1, exec_lo
	s_and_b32 s6, vcc_lo, exec_lo
	s_delay_alu instid0(SALU_CYCLE_1)
	s_or_b32 s1, s1, s6
	s_or_b32 exec_lo, exec_lo, s7
	s_and_saveexec_b32 s6, s1
	s_cbranch_execnz .LBB174_2380
	s_branch .LBB174_2381
.LBB174_2400:
	s_mov_b32 s0, -1
.LBB174_2401:
                                        ; implicit-def: $vgpr12
.LBB174_2402:
	s_and_b32 vcc_lo, exec_lo, s1
	s_mov_b32 s1, 0
	s_cbranch_vccz .LBB174_2404
; %bb.2403:
	v_cmp_ne_u16_e64 s0, 11, v6
	s_mov_b32 s1, -1
                                        ; implicit-def: $vgpr12
.LBB174_2404:
	s_delay_alu instid0(VALU_DEP_1)
	s_and_b32 vcc_lo, exec_lo, s0
	s_cbranch_vccnz .LBB174_2469
; %bb.2405:
	s_and_not1_b32 vcc_lo, exec_lo, s1
	s_cbranch_vccnz .LBB174_2407
.LBB174_2406:
	global_load_u8 v5, v[3:4], off
	s_mov_b32 s6, -1
	s_waitcnt vmcnt(0)
	v_cmp_ne_u16_e32 vcc_lo, 0, v5
	v_cndmask_b32_e64 v5, 0, 1.0, vcc_lo
	s_delay_alu instid0(VALU_DEP_1)
	v_lshrrev_b32_e32 v12, 16, v5
.LBB174_2407:
	s_mov_b32 s0, 0
.LBB174_2408:
	s_delay_alu instid0(SALU_CYCLE_1)
	s_and_b32 vcc_lo, exec_lo, s0
	s_cbranch_vccz .LBB174_2457
; %bb.2409:
	v_cmp_gt_i16_e32 vcc_lo, 5, v6
	s_cbranch_vccnz .LBB174_2414
; %bb.2410:
	v_cmp_gt_i16_e32 vcc_lo, 8, v6
	s_cbranch_vccnz .LBB174_2415
	;; [unrolled: 3-line block ×3, first 2 shown]
; %bb.2412:
	v_cmp_lt_i16_e32 vcc_lo, 9, v6
	s_cbranch_vccz .LBB174_2417
; %bb.2413:
	global_load_b64 v[14:15], v[3:4], off
	s_mov_b32 s0, 0
	s_waitcnt vmcnt(0)
	v_cvt_f32_f64_e32 v5, v[14:15]
	s_delay_alu instid0(VALU_DEP_1) | instskip(SKIP_1) | instid1(VALU_DEP_2)
	v_bfe_u32 v12, v5, 16, 1
	v_cmp_o_f32_e32 vcc_lo, v5, v5
	v_add3_u32 v12, v5, v12, 0x7fff
	s_delay_alu instid0(VALU_DEP_1) | instskip(NEXT) | instid1(VALU_DEP_1)
	v_lshrrev_b32_e32 v12, 16, v12
	v_cndmask_b32_e32 v12, 0x7fc0, v12, vcc_lo
	s_branch .LBB174_2418
.LBB174_2414:
	s_mov_b32 s0, -1
                                        ; implicit-def: $vgpr12
	s_branch .LBB174_2436
.LBB174_2415:
	s_mov_b32 s0, -1
                                        ; implicit-def: $vgpr12
	s_branch .LBB174_2424
.LBB174_2416:
	s_mov_b32 s0, -1
                                        ; implicit-def: $vgpr12
	s_branch .LBB174_2421
.LBB174_2417:
	s_mov_b32 s0, -1
                                        ; implicit-def: $vgpr12
.LBB174_2418:
	s_delay_alu instid0(SALU_CYCLE_1)
	s_and_not1_b32 vcc_lo, exec_lo, s0
	s_cbranch_vccnz .LBB174_2420
; %bb.2419:
	global_load_b32 v5, v[3:4], off
	s_waitcnt vmcnt(0)
	v_bfe_u32 v12, v5, 16, 1
	v_cmp_o_f32_e32 vcc_lo, v5, v5
	s_delay_alu instid0(VALU_DEP_2) | instskip(NEXT) | instid1(VALU_DEP_1)
	v_add3_u32 v12, v5, v12, 0x7fff
	v_lshrrev_b32_e32 v12, 16, v12
	s_delay_alu instid0(VALU_DEP_1)
	v_cndmask_b32_e32 v12, 0x7fc0, v12, vcc_lo
.LBB174_2420:
	s_mov_b32 s0, 0
.LBB174_2421:
	s_delay_alu instid0(SALU_CYCLE_1)
	s_and_not1_b32 vcc_lo, exec_lo, s0
	s_cbranch_vccnz .LBB174_2423
; %bb.2422:
	global_load_b32 v5, v[3:4], off
	s_waitcnt vmcnt(0)
	v_cvt_f32_f16_e32 v12, v5
	v_cmp_o_f16_e32 vcc_lo, v5, v5
	s_delay_alu instid0(VALU_DEP_2) | instskip(NEXT) | instid1(VALU_DEP_1)
	v_bfe_u32 v14, v12, 16, 1
	v_add3_u32 v12, v12, v14, 0x7fff
	s_delay_alu instid0(VALU_DEP_1) | instskip(NEXT) | instid1(VALU_DEP_1)
	v_lshrrev_b32_e32 v12, 16, v12
	v_cndmask_b32_e32 v12, 0x7fc0, v12, vcc_lo
.LBB174_2423:
	s_mov_b32 s0, 0
.LBB174_2424:
	s_delay_alu instid0(SALU_CYCLE_1)
	s_and_not1_b32 vcc_lo, exec_lo, s0
	s_cbranch_vccnz .LBB174_2435
; %bb.2425:
	v_cmp_gt_i16_e32 vcc_lo, 6, v6
	s_cbranch_vccnz .LBB174_2428
; %bb.2426:
	v_cmp_lt_i16_e32 vcc_lo, 6, v6
	s_cbranch_vccz .LBB174_2429
; %bb.2427:
	global_load_b64 v[14:15], v[3:4], off
	s_mov_b32 s0, 0
	s_waitcnt vmcnt(0)
	v_cvt_f32_f64_e32 v5, v[14:15]
	s_delay_alu instid0(VALU_DEP_1) | instskip(SKIP_1) | instid1(VALU_DEP_2)
	v_bfe_u32 v12, v5, 16, 1
	v_cmp_o_f32_e32 vcc_lo, v5, v5
	v_add3_u32 v12, v5, v12, 0x7fff
	s_delay_alu instid0(VALU_DEP_1) | instskip(NEXT) | instid1(VALU_DEP_1)
	v_lshrrev_b32_e32 v12, 16, v12
	v_cndmask_b32_e32 v12, 0x7fc0, v12, vcc_lo
	s_branch .LBB174_2430
.LBB174_2428:
	s_mov_b32 s0, -1
                                        ; implicit-def: $vgpr12
	s_branch .LBB174_2433
.LBB174_2429:
	s_mov_b32 s0, -1
                                        ; implicit-def: $vgpr12
.LBB174_2430:
	s_delay_alu instid0(SALU_CYCLE_1)
	s_and_not1_b32 vcc_lo, exec_lo, s0
	s_cbranch_vccnz .LBB174_2432
; %bb.2431:
	global_load_b32 v5, v[3:4], off
	s_waitcnt vmcnt(0)
	v_bfe_u32 v12, v5, 16, 1
	v_cmp_o_f32_e32 vcc_lo, v5, v5
	s_delay_alu instid0(VALU_DEP_2) | instskip(NEXT) | instid1(VALU_DEP_1)
	v_add3_u32 v12, v5, v12, 0x7fff
	v_lshrrev_b32_e32 v12, 16, v12
	s_delay_alu instid0(VALU_DEP_1)
	v_cndmask_b32_e32 v12, 0x7fc0, v12, vcc_lo
.LBB174_2432:
	s_mov_b32 s0, 0
.LBB174_2433:
	s_delay_alu instid0(SALU_CYCLE_1)
	s_and_not1_b32 vcc_lo, exec_lo, s0
	s_cbranch_vccnz .LBB174_2435
; %bb.2434:
	global_load_u16 v5, v[3:4], off
	s_waitcnt vmcnt(0)
	v_cvt_f32_f16_e32 v12, v5
	v_cmp_o_f16_e32 vcc_lo, v5, v5
	s_delay_alu instid0(VALU_DEP_2) | instskip(NEXT) | instid1(VALU_DEP_1)
	v_bfe_u32 v14, v12, 16, 1
	v_add3_u32 v12, v12, v14, 0x7fff
	s_delay_alu instid0(VALU_DEP_1) | instskip(NEXT) | instid1(VALU_DEP_1)
	v_lshrrev_b32_e32 v12, 16, v12
	v_cndmask_b32_e32 v12, 0x7fc0, v12, vcc_lo
.LBB174_2435:
	s_mov_b32 s0, 0
.LBB174_2436:
	s_delay_alu instid0(SALU_CYCLE_1)
	s_and_not1_b32 vcc_lo, exec_lo, s0
	s_cbranch_vccnz .LBB174_2456
; %bb.2437:
	v_cmp_gt_i16_e32 vcc_lo, 2, v6
	s_cbranch_vccnz .LBB174_2441
; %bb.2438:
	v_cmp_gt_i16_e32 vcc_lo, 3, v6
	s_cbranch_vccnz .LBB174_2442
; %bb.2439:
	v_cmp_lt_i16_e32 vcc_lo, 3, v6
	s_cbranch_vccz .LBB174_2443
; %bb.2440:
	global_load_b64 v[14:15], v[3:4], off
	s_mov_b32 s0, 0
	s_waitcnt vmcnt(0)
	v_xor_b32_e32 v5, v14, v15
	v_cls_i32_e32 v12, v15
	s_delay_alu instid0(VALU_DEP_2) | instskip(NEXT) | instid1(VALU_DEP_2)
	v_ashrrev_i32_e32 v5, 31, v5
	v_add_nc_u32_e32 v12, -1, v12
	s_delay_alu instid0(VALU_DEP_2) | instskip(NEXT) | instid1(VALU_DEP_1)
	v_add_nc_u32_e32 v5, 32, v5
	v_min_u32_e32 v5, v12, v5
	s_delay_alu instid0(VALU_DEP_1) | instskip(SKIP_1) | instid1(VALU_DEP_2)
	v_lshlrev_b64 v[14:15], v5, v[14:15]
	v_sub_nc_u32_e32 v5, 32, v5
	v_min_u32_e32 v12, 1, v14
	s_delay_alu instid0(VALU_DEP_1) | instskip(NEXT) | instid1(VALU_DEP_1)
	v_or_b32_e32 v12, v15, v12
	v_cvt_f32_i32_e32 v12, v12
	s_delay_alu instid0(VALU_DEP_1) | instskip(NEXT) | instid1(VALU_DEP_1)
	v_ldexp_f32 v5, v12, v5
	v_bfe_u32 v12, v5, 16, 1
	s_delay_alu instid0(VALU_DEP_1) | instskip(NEXT) | instid1(VALU_DEP_1)
	v_add3_u32 v5, v5, v12, 0x7fff
	v_lshrrev_b32_e32 v12, 16, v5
	s_branch .LBB174_2444
.LBB174_2441:
	s_mov_b32 s0, -1
                                        ; implicit-def: $vgpr12
	s_branch .LBB174_2450
.LBB174_2442:
	s_mov_b32 s0, -1
                                        ; implicit-def: $vgpr12
	s_branch .LBB174_2447
.LBB174_2443:
	s_mov_b32 s0, -1
                                        ; implicit-def: $vgpr12
.LBB174_2444:
	s_delay_alu instid0(SALU_CYCLE_1)
	s_and_not1_b32 vcc_lo, exec_lo, s0
	s_cbranch_vccnz .LBB174_2446
; %bb.2445:
	global_load_b32 v5, v[3:4], off
	s_waitcnt vmcnt(0)
	v_cvt_f32_i32_e32 v5, v5
	s_delay_alu instid0(VALU_DEP_1) | instskip(NEXT) | instid1(VALU_DEP_1)
	v_bfe_u32 v12, v5, 16, 1
	v_add3_u32 v5, v5, v12, 0x7fff
	s_delay_alu instid0(VALU_DEP_1)
	v_lshrrev_b32_e32 v12, 16, v5
.LBB174_2446:
	s_mov_b32 s0, 0
.LBB174_2447:
	s_delay_alu instid0(SALU_CYCLE_1)
	s_and_not1_b32 vcc_lo, exec_lo, s0
	s_cbranch_vccnz .LBB174_2449
; %bb.2448:
	global_load_i16 v5, v[3:4], off
	s_waitcnt vmcnt(0)
	v_cvt_f32_i32_e32 v5, v5
	s_delay_alu instid0(VALU_DEP_1) | instskip(NEXT) | instid1(VALU_DEP_1)
	v_bfe_u32 v12, v5, 16, 1
	v_add3_u32 v5, v5, v12, 0x7fff
	s_delay_alu instid0(VALU_DEP_1)
	v_lshrrev_b32_e32 v12, 16, v5
.LBB174_2449:
	s_mov_b32 s0, 0
.LBB174_2450:
	s_delay_alu instid0(SALU_CYCLE_1)
	s_and_not1_b32 vcc_lo, exec_lo, s0
	s_cbranch_vccnz .LBB174_2456
; %bb.2451:
	v_cmp_lt_i16_e32 vcc_lo, 0, v6
	s_mov_b32 s0, 0
	s_cbranch_vccz .LBB174_2453
; %bb.2452:
	global_load_i8 v5, v[3:4], off
	s_waitcnt vmcnt(0)
	v_cvt_f32_i32_e32 v5, v5
	s_delay_alu instid0(VALU_DEP_1) | instskip(NEXT) | instid1(VALU_DEP_1)
	v_bfe_u32 v6, v5, 16, 1
	v_add3_u32 v5, v5, v6, 0x7fff
	s_delay_alu instid0(VALU_DEP_1)
	v_lshrrev_b32_e32 v12, 16, v5
	s_branch .LBB174_2454
.LBB174_2453:
	s_mov_b32 s0, -1
                                        ; implicit-def: $vgpr12
.LBB174_2454:
	s_delay_alu instid0(SALU_CYCLE_1)
	s_and_not1_b32 vcc_lo, exec_lo, s0
	s_cbranch_vccnz .LBB174_2456
; %bb.2455:
	global_load_u8 v3, v[3:4], off
	s_waitcnt vmcnt(0)
	v_cvt_f32_ubyte0_e32 v3, v3
	s_delay_alu instid0(VALU_DEP_1) | instskip(NEXT) | instid1(VALU_DEP_1)
	v_bfe_u32 v4, v3, 16, 1
	v_add3_u32 v3, v3, v4, 0x7fff
	s_delay_alu instid0(VALU_DEP_1)
	v_lshrrev_b32_e32 v12, 16, v3
.LBB174_2456:
	s_mov_b32 s6, -1
.LBB174_2457:
	s_delay_alu instid0(SALU_CYCLE_1)
	s_and_not1_b32 vcc_lo, exec_lo, s6
	s_cbranch_vccnz .LBB174_3021
; %bb.2458:
	v_add_nc_u32_e32 v3, s9, v13
	v_cmp_gt_i16_e32 vcc_lo, 11, v9
	s_delay_alu instid0(VALU_DEP_2) | instskip(SKIP_1) | instid1(VALU_DEP_1)
	v_ashrrev_i32_e32 v4, 31, v3
	v_add_co_u32 v5, s0, s2, v3
	v_add_co_ci_u32_e64 v6, s0, s3, v4, s0
	s_cbranch_vccnz .LBB174_2465
; %bb.2459:
	v_cmp_lt_i16_e32 vcc_lo, 25, v9
	s_mov_b32 s1, 0
	s_cbranch_vccz .LBB174_2466
; %bb.2460:
	v_cmp_lt_i16_e32 vcc_lo, 28, v9
	s_cbranch_vccz .LBB174_2467
; %bb.2461:
	v_cmp_lt_i16_e32 vcc_lo, 43, v9
	;; [unrolled: 3-line block ×3, first 2 shown]
	s_cbranch_vccz .LBB174_2471
; %bb.2463:
	v_cmp_eq_u16_e32 vcc_lo, 46, v9
	s_mov_b32 s3, 0
	s_cbranch_vccz .LBB174_2474
; %bb.2464:
	global_load_b32 v3, v[5:6], off
	s_mov_b32 s0, 0
	s_mov_b32 s2, -1
	s_waitcnt vmcnt(0)
	v_lshlrev_b32_e32 v3, 16, v3
	s_delay_alu instid0(VALU_DEP_1) | instskip(NEXT) | instid1(VALU_DEP_1)
	v_trunc_f32_e32 v3, v3
	v_mul_f32_e64 v4, 0x2f800000, |v3|
	s_delay_alu instid0(VALU_DEP_1) | instskip(NEXT) | instid1(VALU_DEP_1)
	v_floor_f32_e32 v4, v4
	v_fma_f32 v4, 0xcf800000, v4, |v3|
	v_ashrrev_i32_e32 v3, 31, v3
	s_delay_alu instid0(VALU_DEP_2) | instskip(NEXT) | instid1(VALU_DEP_1)
	v_cvt_u32_f32_e32 v4, v4
	v_xor_b32_e32 v4, v4, v3
	s_delay_alu instid0(VALU_DEP_1)
	v_sub_nc_u32_e32 v3, v4, v3
	s_branch .LBB174_2476
.LBB174_2465:
	s_mov_b32 s0, -1
	s_mov_b32 s2, 0
                                        ; implicit-def: $vgpr3
	s_branch .LBB174_2538
.LBB174_2466:
	s_mov_b32 s3, -1
	s_mov_b32 s2, 0
	s_mov_b32 s0, 0
                                        ; implicit-def: $vgpr3
	s_branch .LBB174_2503
.LBB174_2467:
	s_mov_b32 s3, -1
	s_mov_b32 s2, 0
	s_mov_b32 s0, 0
                                        ; implicit-def: $vgpr3
	s_branch .LBB174_2486
.LBB174_2468:
	s_mov_b32 s3, -1
	s_mov_b32 s2, 0
	s_mov_b32 s0, 0
                                        ; implicit-def: $vgpr3
	s_branch .LBB174_2481
.LBB174_2469:
	s_cbranch_execnz .LBB174_2472
; %bb.2470:
	s_or_b32 s13, s13, exec_lo
                                        ; implicit-def: $vgpr12
	s_cbranch_execz .LBB174_2406
	s_branch .LBB174_2407
.LBB174_2471:
	s_mov_b32 s3, -1
	s_mov_b32 s2, 0
	s_mov_b32 s0, 0
	s_branch .LBB174_2475
.LBB174_2472:
	s_trap 2
	s_sendmsg_rtn_b32 s0, sendmsg(MSG_RTN_GET_DOORBELL)
	s_mov_b32 ttmp2, m0
	s_waitcnt lgkmcnt(0)
	s_and_b32 s0, s0, 0x3ff
	s_delay_alu instid0(SALU_CYCLE_1) | instskip(NEXT) | instid1(SALU_CYCLE_1)
	s_bitset1_b32 s0, 10
	s_mov_b32 m0, s0
	s_sendmsg sendmsg(MSG_INTERRUPT)
	s_mov_b32 m0, ttmp2
.LBB174_2473:                           ; =>This Inner Loop Header: Depth=1
	s_sethalt 5
	s_branch .LBB174_2473
.LBB174_2474:
	s_mov_b32 s0, -1
	s_mov_b32 s2, 0
.LBB174_2475:
                                        ; implicit-def: $vgpr3
.LBB174_2476:
	s_and_b32 vcc_lo, exec_lo, s3
	s_cbranch_vccz .LBB174_2480
; %bb.2477:
	v_cmp_eq_u16_e32 vcc_lo, 44, v9
	s_cbranch_vccz .LBB174_2479
; %bb.2478:
	global_load_u8 v3, v[5:6], off
	s_mov_b32 s0, 0
	s_mov_b32 s2, -1
	s_waitcnt vmcnt(0)
	v_lshlrev_b32_e32 v4, 23, v3
	v_cmp_ne_u32_e32 vcc_lo, 0, v3
	s_delay_alu instid0(VALU_DEP_2) | instskip(NEXT) | instid1(VALU_DEP_1)
	v_trunc_f32_e32 v4, v4
	v_mul_f32_e64 v13, 0x2f800000, |v4|
	s_delay_alu instid0(VALU_DEP_1) | instskip(NEXT) | instid1(VALU_DEP_1)
	v_floor_f32_e32 v13, v13
	v_fma_f32 v13, 0xcf800000, v13, |v4|
	v_ashrrev_i32_e32 v4, 31, v4
	s_delay_alu instid0(VALU_DEP_2) | instskip(NEXT) | instid1(VALU_DEP_1)
	v_cvt_u32_f32_e32 v13, v13
	v_xor_b32_e32 v13, v13, v4
	s_delay_alu instid0(VALU_DEP_1) | instskip(NEXT) | instid1(VALU_DEP_1)
	v_sub_nc_u32_e32 v4, v13, v4
	v_cndmask_b32_e32 v3, 0, v4, vcc_lo
	s_branch .LBB174_2480
.LBB174_2479:
	s_mov_b32 s0, -1
                                        ; implicit-def: $vgpr3
.LBB174_2480:
	s_mov_b32 s3, 0
.LBB174_2481:
	s_delay_alu instid0(SALU_CYCLE_1)
	s_and_b32 vcc_lo, exec_lo, s3
	s_cbranch_vccz .LBB174_2485
; %bb.2482:
	v_cmp_eq_u16_e32 vcc_lo, 29, v9
	s_cbranch_vccz .LBB174_2484
; %bb.2483:
	global_load_b64 v[3:4], v[5:6], off
	s_mov_b32 s0, 0
	s_mov_b32 s2, -1
	s_branch .LBB174_2485
.LBB174_2484:
	s_mov_b32 s0, -1
                                        ; implicit-def: $vgpr3
.LBB174_2485:
	s_mov_b32 s3, 0
.LBB174_2486:
	s_delay_alu instid0(SALU_CYCLE_1)
	s_and_b32 vcc_lo, exec_lo, s3
	s_cbranch_vccz .LBB174_2502
; %bb.2487:
	v_cmp_gt_i16_e32 vcc_lo, 27, v9
	s_cbranch_vccnz .LBB174_2490
; %bb.2488:
	v_cmp_lt_i16_e32 vcc_lo, 27, v9
	s_cbranch_vccz .LBB174_2491
; %bb.2489:
	global_load_b32 v3, v[5:6], off
	s_mov_b32 s2, 0
	s_branch .LBB174_2492
.LBB174_2490:
	s_mov_b32 s2, -1
                                        ; implicit-def: $vgpr3
	s_branch .LBB174_2495
.LBB174_2491:
	s_mov_b32 s2, -1
                                        ; implicit-def: $vgpr3
.LBB174_2492:
	s_delay_alu instid0(SALU_CYCLE_1)
	s_and_not1_b32 vcc_lo, exec_lo, s2
	s_cbranch_vccnz .LBB174_2494
; %bb.2493:
	global_load_u16 v3, v[5:6], off
.LBB174_2494:
	s_mov_b32 s2, 0
.LBB174_2495:
	s_delay_alu instid0(SALU_CYCLE_1)
	s_and_not1_b32 vcc_lo, exec_lo, s2
	s_cbranch_vccnz .LBB174_2501
; %bb.2496:
	global_load_u8 v4, v[5:6], off
	s_mov_b32 s3, 0
	s_mov_b32 s2, exec_lo
                                        ; implicit-def: $sgpr6
	s_waitcnt vmcnt(0)
	v_cmpx_lt_i16_e32 0x7f, v4
	s_xor_b32 s2, exec_lo, s2
	s_cbranch_execz .LBB174_2513
; %bb.2497:
	v_cmp_ne_u16_e32 vcc_lo, 0x80, v4
	s_mov_b32 s6, 0
	s_and_b32 s3, vcc_lo, exec_lo
	s_or_saveexec_b32 s2, s2
	v_mov_b32_e32 v3, s6
	s_xor_b32 exec_lo, exec_lo, s2
	s_cbranch_execnz .LBB174_2514
.LBB174_2498:
	s_or_b32 exec_lo, exec_lo, s2
	s_and_saveexec_b32 s2, s3
	s_cbranch_execz .LBB174_2500
.LBB174_2499:
	v_and_b32_e32 v3, 0xffff, v4
	s_delay_alu instid0(VALU_DEP_1) | instskip(NEXT) | instid1(VALU_DEP_1)
	v_and_b32_e32 v13, 7, v3
	v_clz_i32_u32_e32 v14, v13
	s_delay_alu instid0(VALU_DEP_1) | instskip(NEXT) | instid1(VALU_DEP_1)
	v_min_u32_e32 v14, 32, v14
	v_subrev_nc_u32_e32 v15, 28, v14
	v_sub_nc_u32_e32 v14, 29, v14
	s_delay_alu instid0(VALU_DEP_2) | instskip(SKIP_1) | instid1(VALU_DEP_2)
	v_lshlrev_b32_e32 v15, v15, v3
	v_bfe_u32 v3, v3, 3, 4
	v_and_b32_e32 v15, 7, v15
	s_delay_alu instid0(VALU_DEP_2) | instskip(SKIP_1) | instid1(VALU_DEP_1)
	v_cmp_eq_u32_e32 vcc_lo, 0, v3
	v_dual_cndmask_b32 v3, v3, v14 :: v_dual_lshlrev_b32 v4, 24, v4
	v_dual_cndmask_b32 v13, v13, v15 :: v_dual_and_b32 v4, 0x80000000, v4
	s_delay_alu instid0(VALU_DEP_2) | instskip(NEXT) | instid1(VALU_DEP_2)
	v_lshl_add_u32 v3, v3, 23, 0x3b800000
	v_lshlrev_b32_e32 v13, 20, v13
	s_delay_alu instid0(VALU_DEP_1) | instskip(NEXT) | instid1(VALU_DEP_1)
	v_or3_b32 v3, v4, v3, v13
	v_trunc_f32_e32 v3, v3
	s_delay_alu instid0(VALU_DEP_1) | instskip(NEXT) | instid1(VALU_DEP_1)
	v_mul_f32_e64 v4, 0x2f800000, |v3|
	v_floor_f32_e32 v4, v4
	s_delay_alu instid0(VALU_DEP_1) | instskip(SKIP_1) | instid1(VALU_DEP_2)
	v_fma_f32 v4, 0xcf800000, v4, |v3|
	v_ashrrev_i32_e32 v3, 31, v3
	v_cvt_u32_f32_e32 v4, v4
	s_delay_alu instid0(VALU_DEP_1) | instskip(NEXT) | instid1(VALU_DEP_1)
	v_xor_b32_e32 v4, v4, v3
	v_sub_nc_u32_e32 v3, v4, v3
.LBB174_2500:
	s_or_b32 exec_lo, exec_lo, s2
.LBB174_2501:
	s_mov_b32 s2, -1
.LBB174_2502:
	s_mov_b32 s3, 0
.LBB174_2503:
	s_delay_alu instid0(SALU_CYCLE_1)
	s_and_b32 vcc_lo, exec_lo, s3
	s_cbranch_vccz .LBB174_2534
; %bb.2504:
	v_cmp_lt_i16_e32 vcc_lo, 22, v9
	s_cbranch_vccz .LBB174_2512
; %bb.2505:
	v_cmp_gt_i16_e32 vcc_lo, 24, v9
	s_cbranch_vccnz .LBB174_2515
; %bb.2506:
	v_cmp_lt_i16_e32 vcc_lo, 24, v9
	s_cbranch_vccz .LBB174_2516
; %bb.2507:
	global_load_u8 v4, v[5:6], off
	s_mov_b32 s2, 0
	s_mov_b32 s1, exec_lo
                                        ; implicit-def: $sgpr3
	s_waitcnt vmcnt(0)
	v_cmpx_lt_i16_e32 0x7f, v4
	s_xor_b32 s1, exec_lo, s1
	s_cbranch_execz .LBB174_2528
; %bb.2508:
	v_cmp_ne_u16_e32 vcc_lo, 0x80, v4
	s_mov_b32 s3, 0
	s_and_b32 s2, vcc_lo, exec_lo
	s_or_saveexec_b32 s1, s1
	v_mov_b32_e32 v3, s3
	s_xor_b32 exec_lo, exec_lo, s1
	s_cbranch_execnz .LBB174_2529
.LBB174_2509:
	s_or_b32 exec_lo, exec_lo, s1
	s_and_saveexec_b32 s1, s2
	s_cbranch_execz .LBB174_2511
.LBB174_2510:
	v_and_b32_e32 v3, 0xffff, v4
	s_delay_alu instid0(VALU_DEP_1) | instskip(NEXT) | instid1(VALU_DEP_1)
	v_and_b32_e32 v13, 3, v3
	v_clz_i32_u32_e32 v14, v13
	s_delay_alu instid0(VALU_DEP_1) | instskip(NEXT) | instid1(VALU_DEP_1)
	v_min_u32_e32 v14, 32, v14
	v_subrev_nc_u32_e32 v15, 29, v14
	v_sub_nc_u32_e32 v14, 30, v14
	s_delay_alu instid0(VALU_DEP_2) | instskip(SKIP_1) | instid1(VALU_DEP_2)
	v_lshlrev_b32_e32 v15, v15, v3
	v_bfe_u32 v3, v3, 2, 5
	v_and_b32_e32 v15, 3, v15
	s_delay_alu instid0(VALU_DEP_2) | instskip(SKIP_1) | instid1(VALU_DEP_1)
	v_cmp_eq_u32_e32 vcc_lo, 0, v3
	v_dual_cndmask_b32 v3, v3, v14 :: v_dual_lshlrev_b32 v4, 24, v4
	v_dual_cndmask_b32 v13, v13, v15 :: v_dual_and_b32 v4, 0x80000000, v4
	s_delay_alu instid0(VALU_DEP_2) | instskip(NEXT) | instid1(VALU_DEP_2)
	v_lshl_add_u32 v3, v3, 23, 0x37800000
	v_lshlrev_b32_e32 v13, 21, v13
	s_delay_alu instid0(VALU_DEP_1) | instskip(NEXT) | instid1(VALU_DEP_1)
	v_or3_b32 v3, v4, v3, v13
	v_trunc_f32_e32 v3, v3
	s_delay_alu instid0(VALU_DEP_1) | instskip(NEXT) | instid1(VALU_DEP_1)
	v_mul_f32_e64 v4, 0x2f800000, |v3|
	v_floor_f32_e32 v4, v4
	s_delay_alu instid0(VALU_DEP_1) | instskip(SKIP_1) | instid1(VALU_DEP_2)
	v_fma_f32 v4, 0xcf800000, v4, |v3|
	v_ashrrev_i32_e32 v3, 31, v3
	v_cvt_u32_f32_e32 v4, v4
	s_delay_alu instid0(VALU_DEP_1) | instskip(NEXT) | instid1(VALU_DEP_1)
	v_xor_b32_e32 v4, v4, v3
	v_sub_nc_u32_e32 v3, v4, v3
.LBB174_2511:
	s_or_b32 exec_lo, exec_lo, s1
	s_mov_b32 s1, 0
	s_branch .LBB174_2517
.LBB174_2512:
	s_mov_b32 s1, -1
                                        ; implicit-def: $vgpr3
	s_branch .LBB174_2523
.LBB174_2513:
	s_or_saveexec_b32 s2, s2
	v_mov_b32_e32 v3, s6
	s_xor_b32 exec_lo, exec_lo, s2
	s_cbranch_execz .LBB174_2498
.LBB174_2514:
	v_cmp_ne_u16_e32 vcc_lo, 0, v4
	v_mov_b32_e32 v3, 0
	s_and_not1_b32 s3, s3, exec_lo
	s_and_b32 s6, vcc_lo, exec_lo
	s_delay_alu instid0(SALU_CYCLE_1)
	s_or_b32 s3, s3, s6
	s_or_b32 exec_lo, exec_lo, s2
	s_and_saveexec_b32 s2, s3
	s_cbranch_execnz .LBB174_2499
	s_branch .LBB174_2500
.LBB174_2515:
	s_mov_b32 s1, -1
                                        ; implicit-def: $vgpr3
	s_branch .LBB174_2520
.LBB174_2516:
	s_mov_b32 s1, -1
                                        ; implicit-def: $vgpr3
.LBB174_2517:
	s_delay_alu instid0(SALU_CYCLE_1)
	s_and_b32 vcc_lo, exec_lo, s1
	s_cbranch_vccz .LBB174_2519
; %bb.2518:
	global_load_u8 v3, v[5:6], off
	s_waitcnt vmcnt(0)
	v_lshlrev_b32_e32 v3, 24, v3
	s_delay_alu instid0(VALU_DEP_1) | instskip(NEXT) | instid1(VALU_DEP_1)
	v_and_b32_e32 v4, 0x7f000000, v3
	v_clz_i32_u32_e32 v13, v4
	v_add_nc_u32_e32 v15, 0x1000000, v4
	v_cmp_ne_u32_e32 vcc_lo, 0, v4
	s_delay_alu instid0(VALU_DEP_3) | instskip(NEXT) | instid1(VALU_DEP_1)
	v_min_u32_e32 v13, 32, v13
	v_sub_nc_u32_e64 v13, v13, 4 clamp
	s_delay_alu instid0(VALU_DEP_1) | instskip(SKIP_1) | instid1(VALU_DEP_2)
	v_lshlrev_b32_e32 v14, v13, v4
	v_lshlrev_b32_e32 v13, 23, v13
	v_lshrrev_b32_e32 v14, 4, v14
	s_delay_alu instid0(VALU_DEP_1) | instskip(SKIP_1) | instid1(VALU_DEP_2)
	v_sub_nc_u32_e32 v13, v14, v13
	v_ashrrev_i32_e32 v14, 8, v15
	v_add_nc_u32_e32 v13, 0x3c000000, v13
	s_delay_alu instid0(VALU_DEP_1) | instskip(NEXT) | instid1(VALU_DEP_1)
	v_and_or_b32 v13, 0x7f800000, v14, v13
	v_cndmask_b32_e32 v4, 0, v13, vcc_lo
	s_delay_alu instid0(VALU_DEP_1) | instskip(NEXT) | instid1(VALU_DEP_1)
	v_and_or_b32 v3, 0x80000000, v3, v4
	v_trunc_f32_e32 v3, v3
	s_delay_alu instid0(VALU_DEP_1) | instskip(NEXT) | instid1(VALU_DEP_1)
	v_mul_f32_e64 v4, 0x2f800000, |v3|
	v_floor_f32_e32 v4, v4
	s_delay_alu instid0(VALU_DEP_1) | instskip(SKIP_1) | instid1(VALU_DEP_2)
	v_fma_f32 v4, 0xcf800000, v4, |v3|
	v_ashrrev_i32_e32 v3, 31, v3
	v_cvt_u32_f32_e32 v4, v4
	s_delay_alu instid0(VALU_DEP_1) | instskip(NEXT) | instid1(VALU_DEP_1)
	v_xor_b32_e32 v4, v4, v3
	v_sub_nc_u32_e32 v3, v4, v3
.LBB174_2519:
	s_mov_b32 s1, 0
.LBB174_2520:
	s_delay_alu instid0(SALU_CYCLE_1)
	s_and_not1_b32 vcc_lo, exec_lo, s1
	s_cbranch_vccnz .LBB174_2522
; %bb.2521:
	global_load_u8 v3, v[5:6], off
	s_waitcnt vmcnt(0)
	v_lshlrev_b32_e32 v4, 25, v3
	v_lshlrev_b16 v3, 8, v3
	s_delay_alu instid0(VALU_DEP_2) | instskip(NEXT) | instid1(VALU_DEP_2)
	v_lshrrev_b32_e32 v13, 4, v4
	v_and_or_b32 v14, 0x7f00, v3, 0.5
	v_bfe_i32 v3, v3, 0, 16
	s_delay_alu instid0(VALU_DEP_3) | instskip(NEXT) | instid1(VALU_DEP_1)
	v_or_b32_e32 v13, 0x70000000, v13
	v_dual_add_f32 v14, -0.5, v14 :: v_dual_mul_f32 v13, 0x7800000, v13
	v_cmp_gt_u32_e32 vcc_lo, 0x8000000, v4
	s_delay_alu instid0(VALU_DEP_2) | instskip(NEXT) | instid1(VALU_DEP_1)
	v_cndmask_b32_e32 v4, v13, v14, vcc_lo
	v_and_or_b32 v3, 0x80000000, v3, v4
	s_delay_alu instid0(VALU_DEP_1) | instskip(NEXT) | instid1(VALU_DEP_1)
	v_trunc_f32_e32 v3, v3
	v_mul_f32_e64 v4, 0x2f800000, |v3|
	s_delay_alu instid0(VALU_DEP_1) | instskip(NEXT) | instid1(VALU_DEP_1)
	v_floor_f32_e32 v4, v4
	v_fma_f32 v4, 0xcf800000, v4, |v3|
	v_ashrrev_i32_e32 v3, 31, v3
	s_delay_alu instid0(VALU_DEP_2) | instskip(NEXT) | instid1(VALU_DEP_1)
	v_cvt_u32_f32_e32 v4, v4
	v_xor_b32_e32 v4, v4, v3
	s_delay_alu instid0(VALU_DEP_1)
	v_sub_nc_u32_e32 v3, v4, v3
.LBB174_2522:
	s_mov_b32 s1, 0
	s_mov_b32 s2, -1
.LBB174_2523:
	s_and_not1_b32 vcc_lo, exec_lo, s1
	s_mov_b32 s1, 0
	s_cbranch_vccnz .LBB174_2534
; %bb.2524:
	v_cmp_lt_i16_e32 vcc_lo, 14, v9
	s_cbranch_vccz .LBB174_2527
; %bb.2525:
	v_cmp_eq_u16_e32 vcc_lo, 15, v9
	s_cbranch_vccz .LBB174_2530
; %bb.2526:
	global_load_u16 v3, v[5:6], off
	s_mov_b32 s0, 0
	s_mov_b32 s2, -1
	s_waitcnt vmcnt(0)
	v_lshlrev_b32_e32 v3, 16, v3
	s_delay_alu instid0(VALU_DEP_1) | instskip(NEXT) | instid1(VALU_DEP_1)
	v_trunc_f32_e32 v3, v3
	v_mul_f32_e64 v4, 0x2f800000, |v3|
	s_delay_alu instid0(VALU_DEP_1) | instskip(NEXT) | instid1(VALU_DEP_1)
	v_floor_f32_e32 v4, v4
	v_fma_f32 v4, 0xcf800000, v4, |v3|
	v_ashrrev_i32_e32 v3, 31, v3
	s_delay_alu instid0(VALU_DEP_2) | instskip(NEXT) | instid1(VALU_DEP_1)
	v_cvt_u32_f32_e32 v4, v4
	v_xor_b32_e32 v4, v4, v3
	s_delay_alu instid0(VALU_DEP_1)
	v_sub_nc_u32_e32 v3, v4, v3
	s_branch .LBB174_2532
.LBB174_2527:
	s_mov_b32 s1, -1
	s_branch .LBB174_2531
.LBB174_2528:
	s_or_saveexec_b32 s1, s1
	v_mov_b32_e32 v3, s3
	s_xor_b32 exec_lo, exec_lo, s1
	s_cbranch_execz .LBB174_2509
.LBB174_2529:
	v_cmp_ne_u16_e32 vcc_lo, 0, v4
	v_mov_b32_e32 v3, 0
	s_and_not1_b32 s2, s2, exec_lo
	s_and_b32 s3, vcc_lo, exec_lo
	s_delay_alu instid0(SALU_CYCLE_1)
	s_or_b32 s2, s2, s3
	s_or_b32 exec_lo, exec_lo, s1
	s_and_saveexec_b32 s1, s2
	s_cbranch_execnz .LBB174_2510
	s_branch .LBB174_2511
.LBB174_2530:
	s_mov_b32 s0, -1
.LBB174_2531:
                                        ; implicit-def: $vgpr3
.LBB174_2532:
	s_and_b32 vcc_lo, exec_lo, s1
	s_mov_b32 s1, 0
	s_cbranch_vccz .LBB174_2534
; %bb.2533:
	v_cmp_ne_u16_e64 s0, 11, v9
	s_mov_b32 s1, -1
                                        ; implicit-def: $vgpr3
.LBB174_2534:
	s_delay_alu instid0(VALU_DEP_1)
	s_and_b32 vcc_lo, exec_lo, s0
	s_cbranch_vccnz .LBB174_3067
; %bb.2535:
	s_and_not1_b32 vcc_lo, exec_lo, s1
	s_cbranch_vccnz .LBB174_2537
.LBB174_2536:
	global_load_u8 v3, v[5:6], off
	s_mov_b32 s2, -1
	s_waitcnt vmcnt(0)
	v_cmp_ne_u16_e32 vcc_lo, 0, v3
	v_cndmask_b32_e64 v3, 0, 1, vcc_lo
.LBB174_2537:
	s_mov_b32 s0, 0
.LBB174_2538:
	s_delay_alu instid0(SALU_CYCLE_1)
	s_and_b32 vcc_lo, exec_lo, s0
	s_cbranch_vccz .LBB174_2587
; %bb.2539:
	v_cmp_gt_i16_e32 vcc_lo, 5, v9
	s_cbranch_vccnz .LBB174_2544
; %bb.2540:
	v_cmp_gt_i16_e32 vcc_lo, 8, v9
	s_cbranch_vccnz .LBB174_2545
	;; [unrolled: 3-line block ×3, first 2 shown]
; %bb.2542:
	v_cmp_lt_i16_e32 vcc_lo, 9, v9
	s_cbranch_vccz .LBB174_2547
; %bb.2543:
	global_load_b64 v[3:4], v[5:6], off
	s_mov_b32 s0, 0
	s_waitcnt vmcnt(0)
	v_trunc_f64_e32 v[3:4], v[3:4]
	s_delay_alu instid0(VALU_DEP_1) | instskip(NEXT) | instid1(VALU_DEP_1)
	v_ldexp_f64 v[13:14], v[3:4], 0xffffffe0
	v_floor_f64_e32 v[13:14], v[13:14]
	s_delay_alu instid0(VALU_DEP_1) | instskip(NEXT) | instid1(VALU_DEP_1)
	v_fma_f64 v[3:4], 0xc1f00000, v[13:14], v[3:4]
	v_cvt_u32_f64_e32 v3, v[3:4]
	s_branch .LBB174_2548
.LBB174_2544:
	s_mov_b32 s0, -1
                                        ; implicit-def: $vgpr3
	s_branch .LBB174_2566
.LBB174_2545:
	s_mov_b32 s0, -1
                                        ; implicit-def: $vgpr3
	s_branch .LBB174_2554
.LBB174_2546:
	s_mov_b32 s0, -1
                                        ; implicit-def: $vgpr3
	s_branch .LBB174_2551
.LBB174_2547:
	s_mov_b32 s0, -1
                                        ; implicit-def: $vgpr3
.LBB174_2548:
	s_delay_alu instid0(SALU_CYCLE_1)
	s_and_not1_b32 vcc_lo, exec_lo, s0
	s_cbranch_vccnz .LBB174_2550
; %bb.2549:
	global_load_b32 v3, v[5:6], off
	s_waitcnt vmcnt(0)
	v_trunc_f32_e32 v3, v3
	s_delay_alu instid0(VALU_DEP_1) | instskip(NEXT) | instid1(VALU_DEP_1)
	v_mul_f32_e64 v4, 0x2f800000, |v3|
	v_floor_f32_e32 v4, v4
	s_delay_alu instid0(VALU_DEP_1) | instskip(SKIP_1) | instid1(VALU_DEP_2)
	v_fma_f32 v4, 0xcf800000, v4, |v3|
	v_ashrrev_i32_e32 v3, 31, v3
	v_cvt_u32_f32_e32 v4, v4
	s_delay_alu instid0(VALU_DEP_1) | instskip(NEXT) | instid1(VALU_DEP_1)
	v_xor_b32_e32 v4, v4, v3
	v_sub_nc_u32_e32 v3, v4, v3
.LBB174_2550:
	s_mov_b32 s0, 0
.LBB174_2551:
	s_delay_alu instid0(SALU_CYCLE_1)
	s_and_not1_b32 vcc_lo, exec_lo, s0
	s_cbranch_vccnz .LBB174_2553
; %bb.2552:
	global_load_b32 v3, v[5:6], off
	s_waitcnt vmcnt(0)
	v_cvt_f32_f16_e32 v3, v3
	s_delay_alu instid0(VALU_DEP_1)
	v_cvt_i32_f32_e32 v3, v3
.LBB174_2553:
	s_mov_b32 s0, 0
.LBB174_2554:
	s_delay_alu instid0(SALU_CYCLE_1)
	s_and_not1_b32 vcc_lo, exec_lo, s0
	s_cbranch_vccnz .LBB174_2565
; %bb.2555:
	v_cmp_gt_i16_e32 vcc_lo, 6, v9
	s_cbranch_vccnz .LBB174_2558
; %bb.2556:
	v_cmp_lt_i16_e32 vcc_lo, 6, v9
	s_cbranch_vccz .LBB174_2559
; %bb.2557:
	global_load_b64 v[3:4], v[5:6], off
	s_mov_b32 s0, 0
	s_waitcnt vmcnt(0)
	v_trunc_f64_e32 v[3:4], v[3:4]
	s_delay_alu instid0(VALU_DEP_1) | instskip(NEXT) | instid1(VALU_DEP_1)
	v_ldexp_f64 v[13:14], v[3:4], 0xffffffe0
	v_floor_f64_e32 v[13:14], v[13:14]
	s_delay_alu instid0(VALU_DEP_1) | instskip(NEXT) | instid1(VALU_DEP_1)
	v_fma_f64 v[3:4], 0xc1f00000, v[13:14], v[3:4]
	v_cvt_u32_f64_e32 v3, v[3:4]
	s_branch .LBB174_2560
.LBB174_2558:
	s_mov_b32 s0, -1
                                        ; implicit-def: $vgpr3
	s_branch .LBB174_2563
.LBB174_2559:
	s_mov_b32 s0, -1
                                        ; implicit-def: $vgpr3
.LBB174_2560:
	s_delay_alu instid0(SALU_CYCLE_1)
	s_and_not1_b32 vcc_lo, exec_lo, s0
	s_cbranch_vccnz .LBB174_2562
; %bb.2561:
	global_load_b32 v3, v[5:6], off
	s_waitcnt vmcnt(0)
	v_trunc_f32_e32 v3, v3
	s_delay_alu instid0(VALU_DEP_1) | instskip(NEXT) | instid1(VALU_DEP_1)
	v_mul_f32_e64 v4, 0x2f800000, |v3|
	v_floor_f32_e32 v4, v4
	s_delay_alu instid0(VALU_DEP_1) | instskip(SKIP_1) | instid1(VALU_DEP_2)
	v_fma_f32 v4, 0xcf800000, v4, |v3|
	v_ashrrev_i32_e32 v3, 31, v3
	v_cvt_u32_f32_e32 v4, v4
	s_delay_alu instid0(VALU_DEP_1) | instskip(NEXT) | instid1(VALU_DEP_1)
	v_xor_b32_e32 v4, v4, v3
	v_sub_nc_u32_e32 v3, v4, v3
.LBB174_2562:
	s_mov_b32 s0, 0
.LBB174_2563:
	s_delay_alu instid0(SALU_CYCLE_1)
	s_and_not1_b32 vcc_lo, exec_lo, s0
	s_cbranch_vccnz .LBB174_2565
; %bb.2564:
	global_load_u16 v3, v[5:6], off
	s_waitcnt vmcnt(0)
	v_cvt_f32_f16_e32 v3, v3
	s_delay_alu instid0(VALU_DEP_1)
	v_cvt_i32_f32_e32 v3, v3
.LBB174_2565:
	s_mov_b32 s0, 0
.LBB174_2566:
	s_delay_alu instid0(SALU_CYCLE_1)
	s_and_not1_b32 vcc_lo, exec_lo, s0
	s_cbranch_vccnz .LBB174_2586
; %bb.2567:
	v_cmp_gt_i16_e32 vcc_lo, 2, v9
	s_cbranch_vccnz .LBB174_2571
; %bb.2568:
	v_cmp_gt_i16_e32 vcc_lo, 3, v9
	s_cbranch_vccnz .LBB174_2572
; %bb.2569:
	v_cmp_lt_i16_e32 vcc_lo, 3, v9
	s_cbranch_vccz .LBB174_2573
; %bb.2570:
	global_load_b64 v[3:4], v[5:6], off
	s_mov_b32 s0, 0
	s_branch .LBB174_2574
.LBB174_2571:
	s_mov_b32 s0, -1
                                        ; implicit-def: $vgpr3
	s_branch .LBB174_2580
.LBB174_2572:
	s_mov_b32 s0, -1
                                        ; implicit-def: $vgpr3
	s_branch .LBB174_2577
.LBB174_2573:
	s_mov_b32 s0, -1
                                        ; implicit-def: $vgpr3
.LBB174_2574:
	s_delay_alu instid0(SALU_CYCLE_1)
	s_and_not1_b32 vcc_lo, exec_lo, s0
	s_cbranch_vccnz .LBB174_2576
; %bb.2575:
	global_load_b32 v3, v[5:6], off
.LBB174_2576:
	s_mov_b32 s0, 0
.LBB174_2577:
	s_delay_alu instid0(SALU_CYCLE_1)
	s_and_not1_b32 vcc_lo, exec_lo, s0
	s_cbranch_vccnz .LBB174_2579
; %bb.2578:
	global_load_u16 v3, v[5:6], off
.LBB174_2579:
	s_mov_b32 s0, 0
.LBB174_2580:
	s_delay_alu instid0(SALU_CYCLE_1)
	s_and_not1_b32 vcc_lo, exec_lo, s0
	s_cbranch_vccnz .LBB174_2586
; %bb.2581:
	v_cmp_lt_i16_e32 vcc_lo, 0, v9
	s_mov_b32 s0, 0
	s_cbranch_vccz .LBB174_2583
; %bb.2582:
	global_load_u8 v3, v[5:6], off
	s_branch .LBB174_2584
.LBB174_2583:
	s_mov_b32 s0, -1
                                        ; implicit-def: $vgpr3
.LBB174_2584:
	s_delay_alu instid0(SALU_CYCLE_1)
	s_and_not1_b32 vcc_lo, exec_lo, s0
	s_cbranch_vccnz .LBB174_2586
; %bb.2585:
	global_load_u8 v3, v[5:6], off
.LBB174_2586:
	s_mov_b32 s2, -1
.LBB174_2587:
	s_delay_alu instid0(SALU_CYCLE_1)
	s_and_not1_b32 vcc_lo, exec_lo, s2
	s_cbranch_vccnz .LBB174_3021
; %bb.2588:
	v_cvt_f32_ubyte0_e32 v0, v0
	s_waitcnt vmcnt(0)
	v_lshlrev_b32_e32 v4, 16, v8
	v_and_b32_e64 v6, 0xff, s12
	s_delay_alu instid0(VALU_DEP_2) | instskip(NEXT) | instid1(VALU_DEP_2)
	v_mul_f32_e32 v0, v4, v0
	v_cmp_gt_i16_e32 vcc_lo, 11, v6
	s_delay_alu instid0(VALU_DEP_2) | instskip(SKIP_2) | instid1(VALU_DEP_2)
	v_mul_f32_e32 v8, s11, v0
	v_mul_lo_u32 v0, s8, v7
	s_and_b32 vcc_lo, exec_lo, vcc_lo
	v_bfe_u32 v4, v8, 16, 1
	s_delay_alu instid0(VALU_DEP_2) | instskip(NEXT) | instid1(VALU_DEP_2)
	v_ashrrev_i32_e32 v5, 31, v0
	v_add3_u32 v4, v8, v4, 0x7fff
	s_delay_alu instid0(VALU_DEP_1) | instskip(SKIP_1) | instid1(VALU_DEP_1)
	v_lshrrev_b32_e32 v7, 16, v4
	v_add_co_u32 v4, s0, s4, v0
	v_add_co_ci_u32_e64 v5, s0, s5, v5, s0
	v_cmp_o_f32_e64 s0, v8, v8
	s_delay_alu instid0(VALU_DEP_1)
	v_cndmask_b32_e64 v7, 0x7fc0, v7, s0
	s_cbranch_vccnz .LBB174_2666
; %bb.2589:
	v_cmp_lt_i16_e32 vcc_lo, 25, v6
	s_mov_b32 s3, -1
	s_mov_b32 s1, 0
	s_mov_b32 s2, 0
	;; [unrolled: 1-line block ×3, first 2 shown]
	s_cbranch_vccz .LBB174_2622
; %bb.2590:
	v_cmp_lt_i16_e32 vcc_lo, 28, v6
	s_cbranch_vccz .LBB174_2605
; %bb.2591:
	v_cmp_lt_i16_e32 vcc_lo, 43, v6
	;; [unrolled: 3-line block ×3, first 2 shown]
	s_cbranch_vccz .LBB174_2595
; %bb.2593:
	v_cmp_eq_u16_e32 vcc_lo, 46, v6
	s_mov_b32 s0, -1
	s_mov_b32 s3, 0
	s_cbranch_vccz .LBB174_2595
; %bb.2594:
	v_and_b32_e32 v8, 0xffff, v7
	s_mov_b32 s0, 0
	s_mov_b32 s2, -1
	global_store_b32 v[4:5], v8, off
.LBB174_2595:
	s_and_b32 vcc_lo, exec_lo, s3
	s_cbranch_vccz .LBB174_2600
; %bb.2596:
	v_cmp_eq_u16_e32 vcc_lo, 44, v6
	s_mov_b32 s0, -1
	s_cbranch_vccz .LBB174_2600
; %bb.2597:
	v_and_b32_e32 v8, 0xffff, v7
	v_mov_b32_e32 v9, 0xff
	s_mov_b32 s2, exec_lo
	s_delay_alu instid0(VALU_DEP_2) | instskip(NEXT) | instid1(VALU_DEP_1)
	v_bfe_u32 v13, v8, 7, 8
	v_cmpx_ne_u32_e32 0xff, v13
; %bb.2598:
	v_lshlrev_b32_e32 v9, 16, v8
	v_and_b32_e32 v14, 64, v8
	v_lshrrev_b32_e32 v8, 7, v8
	s_delay_alu instid0(VALU_DEP_3) | instskip(NEXT) | instid1(VALU_DEP_3)
	v_and_or_b32 v9, 0x3f0000, v9, v13
	v_cmp_ne_u32_e32 vcc_lo, 0, v14
	s_delay_alu instid0(VALU_DEP_2) | instskip(NEXT) | instid1(VALU_DEP_1)
	v_cmp_ne_u32_e64 s0, 0, v9
	s_and_b32 s0, vcc_lo, s0
	s_delay_alu instid0(SALU_CYCLE_1) | instskip(NEXT) | instid1(VALU_DEP_1)
	v_cndmask_b32_e64 v9, 0, 1, s0
	v_add_nc_u32_e32 v9, v8, v9
; %bb.2599:
	s_or_b32 exec_lo, exec_lo, s2
	s_mov_b32 s0, 0
	s_mov_b32 s2, -1
	global_store_b8 v[4:5], v9, off
.LBB174_2600:
	s_mov_b32 s3, 0
.LBB174_2601:
	s_delay_alu instid0(SALU_CYCLE_1)
	s_and_b32 vcc_lo, exec_lo, s3
	s_cbranch_vccz .LBB174_2604
; %bb.2602:
	v_cmp_eq_u16_e32 vcc_lo, 29, v6
	s_mov_b32 s0, -1
	s_cbranch_vccz .LBB174_2604
; %bb.2603:
	v_lshlrev_b32_e32 v8, 16, v7
	s_mov_b32 s0, 0
	s_mov_b32 s2, -1
	s_delay_alu instid0(VALU_DEP_1) | instskip(NEXT) | instid1(VALU_DEP_1)
	v_trunc_f32_e32 v8, v8
	v_mul_f32_e32 v9, 0x2f800000, v8
	s_delay_alu instid0(VALU_DEP_1) | instskip(NEXT) | instid1(VALU_DEP_1)
	v_floor_f32_e32 v9, v9
	v_fmamk_f32 v8, v9, 0xcf800000, v8
	v_cvt_u32_f32_e32 v9, v9
	s_delay_alu instid0(VALU_DEP_2)
	v_cvt_u32_f32_e32 v8, v8
	global_store_b64 v[4:5], v[8:9], off
.LBB174_2604:
	s_mov_b32 s3, 0
.LBB174_2605:
	s_delay_alu instid0(SALU_CYCLE_1)
	s_and_b32 vcc_lo, exec_lo, s3
	s_cbranch_vccz .LBB174_2621
; %bb.2606:
	v_cmp_gt_i16_e32 vcc_lo, 27, v6
	s_mov_b32 s2, -1
	s_cbranch_vccnz .LBB174_2612
; %bb.2607:
	v_cmp_lt_i16_e32 vcc_lo, 27, v6
	s_cbranch_vccz .LBB174_2609
; %bb.2608:
	v_lshlrev_b32_e32 v8, 16, v7
	s_mov_b32 s2, 0
	s_delay_alu instid0(VALU_DEP_1)
	v_cvt_u32_f32_e32 v8, v8
	global_store_b32 v[4:5], v8, off
.LBB174_2609:
	s_and_not1_b32 vcc_lo, exec_lo, s2
	s_cbranch_vccnz .LBB174_2611
; %bb.2610:
	v_lshlrev_b32_e32 v8, 16, v7
	s_delay_alu instid0(VALU_DEP_1)
	v_cvt_u32_f32_e32 v8, v8
	global_store_b16 v[4:5], v8, off
.LBB174_2611:
	s_mov_b32 s2, 0
.LBB174_2612:
	s_delay_alu instid0(SALU_CYCLE_1)
	s_and_not1_b32 vcc_lo, exec_lo, s2
	s_cbranch_vccnz .LBB174_2620
; %bb.2613:
	v_dual_mov_b32 v14, 0x80 :: v_dual_lshlrev_b32 v13, 16, v7
	s_mov_b32 s2, exec_lo
	s_delay_alu instid0(VALU_DEP_1) | instskip(NEXT) | instid1(VALU_DEP_1)
	v_and_b32_e32 v9, 0x7fffffff, v13
	v_cmpx_gt_u32_e32 0x43800000, v9
	s_cbranch_execz .LBB174_2619
; %bb.2614:
	v_and_b32_e32 v8, 0xffff, v7
	v_cmp_lt_u32_e32 vcc_lo, 0x3bffffff, v9
	s_mov_b32 s3, 0
                                        ; implicit-def: $vgpr9
	s_and_saveexec_b32 s6, vcc_lo
	s_delay_alu instid0(SALU_CYCLE_1)
	s_xor_b32 s6, exec_lo, s6
	s_cbranch_execz .LBB174_3069
; %bb.2615:
	v_bfe_u32 v9, v8, 4, 1
	s_mov_b32 s3, exec_lo
	s_delay_alu instid0(VALU_DEP_1) | instskip(NEXT) | instid1(VALU_DEP_1)
	v_add3_u32 v9, v13, v9, 0x487ffff
                                        ; implicit-def: $vgpr13
	v_lshrrev_b32_e32 v9, 20, v9
	s_or_saveexec_b32 s6, s6
                                        ; implicit-def: $sgpr7
	s_delay_alu instid0(SALU_CYCLE_1)
	s_xor_b32 exec_lo, exec_lo, s6
	s_cbranch_execnz .LBB174_3070
.LBB174_2616:
	s_or_b32 exec_lo, exec_lo, s6
	v_mov_b32_e32 v14, s7
	s_and_saveexec_b32 s6, s3
.LBB174_2617:
	v_lshrrev_b32_e32 v8, 8, v8
	s_delay_alu instid0(VALU_DEP_1)
	v_and_or_b32 v14, 0x80, v8, v9
.LBB174_2618:
	s_or_b32 exec_lo, exec_lo, s6
.LBB174_2619:
	s_delay_alu instid0(SALU_CYCLE_1)
	s_or_b32 exec_lo, exec_lo, s2
	global_store_b8 v[4:5], v14, off
.LBB174_2620:
	s_mov_b32 s2, -1
.LBB174_2621:
	s_mov_b32 s3, 0
.LBB174_2622:
	s_delay_alu instid0(SALU_CYCLE_1)
	s_and_b32 vcc_lo, exec_lo, s3
	s_cbranch_vccz .LBB174_2662
; %bb.2623:
	v_cmp_lt_i16_e32 vcc_lo, 22, v6
	s_mov_b32 s1, -1
	s_cbranch_vccz .LBB174_2655
; %bb.2624:
	v_cmp_gt_i16_e32 vcc_lo, 24, v6
	s_cbranch_vccnz .LBB174_2644
; %bb.2625:
	v_cmp_lt_i16_e32 vcc_lo, 24, v6
	s_cbranch_vccz .LBB174_2633
; %bb.2626:
	v_dual_mov_b32 v14, 0x80 :: v_dual_lshlrev_b32 v13, 16, v7
	s_mov_b32 s1, exec_lo
	s_delay_alu instid0(VALU_DEP_1) | instskip(NEXT) | instid1(VALU_DEP_1)
	v_and_b32_e32 v9, 0x7fffffff, v13
	v_cmpx_gt_u32_e32 0x47800000, v9
	s_cbranch_execz .LBB174_2632
; %bb.2627:
	v_and_b32_e32 v8, 0xffff, v7
	v_cmp_lt_u32_e32 vcc_lo, 0x37ffffff, v9
	s_mov_b32 s2, 0
                                        ; implicit-def: $vgpr9
	s_and_saveexec_b32 s3, vcc_lo
	s_delay_alu instid0(SALU_CYCLE_1)
	s_xor_b32 s3, exec_lo, s3
	s_cbranch_execz .LBB174_3075
; %bb.2628:
	v_bfe_u32 v9, v8, 5, 1
	s_mov_b32 s2, exec_lo
	s_delay_alu instid0(VALU_DEP_1) | instskip(NEXT) | instid1(VALU_DEP_1)
	v_add3_u32 v9, v13, v9, 0x88fffff
                                        ; implicit-def: $vgpr13
	v_lshrrev_b32_e32 v9, 21, v9
	s_or_saveexec_b32 s3, s3
                                        ; implicit-def: $sgpr6
	s_delay_alu instid0(SALU_CYCLE_1)
	s_xor_b32 exec_lo, exec_lo, s3
	s_cbranch_execnz .LBB174_3076
.LBB174_2629:
	s_or_b32 exec_lo, exec_lo, s3
	v_mov_b32_e32 v14, s6
	s_and_saveexec_b32 s3, s2
.LBB174_2630:
	v_lshrrev_b32_e32 v8, 8, v8
	s_delay_alu instid0(VALU_DEP_1)
	v_and_or_b32 v14, 0x80, v8, v9
.LBB174_2631:
	s_or_b32 exec_lo, exec_lo, s3
.LBB174_2632:
	s_delay_alu instid0(SALU_CYCLE_1)
	s_or_b32 exec_lo, exec_lo, s1
	s_mov_b32 s1, 0
	global_store_b8 v[4:5], v14, off
.LBB174_2633:
	s_and_b32 vcc_lo, exec_lo, s1
	s_cbranch_vccz .LBB174_2643
; %bb.2634:
	v_lshlrev_b32_e32 v13, 16, v7
	v_and_b32_e32 v8, 0xffff, v7
	s_mov_b32 s1, exec_lo
                                        ; implicit-def: $vgpr9
	s_delay_alu instid0(VALU_DEP_2) | instskip(NEXT) | instid1(VALU_DEP_1)
	v_and_b32_e32 v14, 0x7fffffff, v13
	v_cmpx_gt_u32_e32 0x43f00000, v14
	s_xor_b32 s1, exec_lo, s1
	s_cbranch_execz .LBB174_2640
; %bb.2635:
	s_mov_b32 s2, exec_lo
                                        ; implicit-def: $vgpr9
	v_cmpx_lt_u32_e32 0x3c7fffff, v14
	s_xor_b32 s2, exec_lo, s2
; %bb.2636:
	v_bfe_u32 v9, v8, 4, 1
	s_delay_alu instid0(VALU_DEP_1) | instskip(NEXT) | instid1(VALU_DEP_1)
	v_add3_u32 v9, v13, v9, 0x407ffff
	v_and_b32_e32 v13, 0xff00000, v9
	v_lshrrev_b32_e32 v9, 20, v9
	s_delay_alu instid0(VALU_DEP_2) | instskip(NEXT) | instid1(VALU_DEP_2)
	v_cmp_ne_u32_e32 vcc_lo, 0x7f00000, v13
                                        ; implicit-def: $vgpr13
	v_cndmask_b32_e32 v9, 0x7e, v9, vcc_lo
; %bb.2637:
	s_and_not1_saveexec_b32 s2, s2
; %bb.2638:
	v_add_f32_e64 v9, 0x46800000, |v13|
; %bb.2639:
	s_or_b32 exec_lo, exec_lo, s2
                                        ; implicit-def: $vgpr14
.LBB174_2640:
	s_and_not1_saveexec_b32 s1, s1
; %bb.2641:
	v_mov_b32_e32 v9, 0x7f
	v_cmp_lt_u32_e32 vcc_lo, 0x7f800000, v14
	s_delay_alu instid0(VALU_DEP_2)
	v_cndmask_b32_e32 v9, 0x7e, v9, vcc_lo
; %bb.2642:
	s_or_b32 exec_lo, exec_lo, s1
	v_lshrrev_b32_e32 v8, 8, v8
	s_delay_alu instid0(VALU_DEP_1)
	v_and_or_b32 v8, 0x80, v8, v9
	global_store_b8 v[4:5], v8, off
.LBB174_2643:
	s_mov_b32 s1, 0
.LBB174_2644:
	s_delay_alu instid0(SALU_CYCLE_1)
	s_and_not1_b32 vcc_lo, exec_lo, s1
	s_cbranch_vccnz .LBB174_2654
; %bb.2645:
	v_lshlrev_b32_e32 v13, 16, v7
	v_and_b32_e32 v8, 0xffff, v7
	s_mov_b32 s1, exec_lo
                                        ; implicit-def: $vgpr9
	s_delay_alu instid0(VALU_DEP_2) | instskip(NEXT) | instid1(VALU_DEP_1)
	v_and_b32_e32 v14, 0x7fffffff, v13
	v_cmpx_gt_u32_e32 0x47800000, v14
	s_xor_b32 s1, exec_lo, s1
	s_cbranch_execz .LBB174_2651
; %bb.2646:
	s_mov_b32 s2, exec_lo
                                        ; implicit-def: $vgpr9
	v_cmpx_lt_u32_e32 0x387fffff, v14
	s_xor_b32 s2, exec_lo, s2
; %bb.2647:
	v_bfe_u32 v9, v8, 5, 1
	s_delay_alu instid0(VALU_DEP_1) | instskip(NEXT) | instid1(VALU_DEP_1)
	v_add3_u32 v9, v13, v9, 0x80fffff
                                        ; implicit-def: $vgpr13
	v_lshrrev_b32_e32 v9, 21, v9
; %bb.2648:
	s_and_not1_saveexec_b32 s2, s2
; %bb.2649:
	v_add_f32_e64 v9, 0x43000000, |v13|
; %bb.2650:
	s_or_b32 exec_lo, exec_lo, s2
                                        ; implicit-def: $vgpr14
.LBB174_2651:
	s_and_not1_saveexec_b32 s1, s1
; %bb.2652:
	v_mov_b32_e32 v9, 0x7f
	v_cmp_lt_u32_e32 vcc_lo, 0x7f800000, v14
	s_delay_alu instid0(VALU_DEP_2)
	v_cndmask_b32_e32 v9, 0x7c, v9, vcc_lo
; %bb.2653:
	s_or_b32 exec_lo, exec_lo, s1
	v_lshrrev_b32_e32 v8, 8, v8
	s_delay_alu instid0(VALU_DEP_1)
	v_and_or_b32 v8, 0x80, v8, v9
	global_store_b8 v[4:5], v8, off
.LBB174_2654:
	s_mov_b32 s1, 0
	s_mov_b32 s2, -1
.LBB174_2655:
	s_and_not1_b32 vcc_lo, exec_lo, s1
	s_mov_b32 s1, 0
	s_cbranch_vccnz .LBB174_2662
; %bb.2656:
	v_cmp_lt_i16_e32 vcc_lo, 14, v6
	s_mov_b32 s1, -1
	s_cbranch_vccz .LBB174_2660
; %bb.2657:
	v_cmp_eq_u16_e32 vcc_lo, 15, v6
	s_mov_b32 s0, -1
	s_cbranch_vccz .LBB174_2659
; %bb.2658:
	s_mov_b32 s0, 0
	s_mov_b32 s2, -1
	global_store_b16 v[4:5], v7, off
.LBB174_2659:
	s_mov_b32 s1, 0
.LBB174_2660:
	s_delay_alu instid0(SALU_CYCLE_1)
	s_and_b32 vcc_lo, exec_lo, s1
	s_mov_b32 s1, 0
	s_cbranch_vccz .LBB174_2662
; %bb.2661:
	v_cmp_ne_u16_e64 s0, 11, v6
	s_mov_b32 s1, -1
.LBB174_2662:
	s_delay_alu instid0(VALU_DEP_1)
	s_and_b32 vcc_lo, exec_lo, s0
	s_cbranch_vccnz .LBB174_3073
; %bb.2663:
	s_and_not1_b32 vcc_lo, exec_lo, s1
	s_cbranch_vccnz .LBB174_2665
.LBB174_2664:
	v_and_b32_e32 v8, 0x7fff, v7
	s_mov_b32 s2, -1
	s_delay_alu instid0(VALU_DEP_1)
	v_cmp_ne_u16_e32 vcc_lo, 0, v8
	v_cndmask_b32_e64 v8, 0, 1, vcc_lo
	global_store_b8 v[4:5], v8, off
.LBB174_2665:
	s_mov_b32 s0, 0
	s_branch .LBB174_2667
.LBB174_2666:
	s_mov_b32 s0, -1
	s_mov_b32 s2, 0
.LBB174_2667:
	s_and_b32 vcc_lo, exec_lo, s0
	s_cbranch_vccz .LBB174_2706
; %bb.2668:
	v_cmp_gt_i16_e32 vcc_lo, 5, v6
	s_mov_b32 s0, -1
	s_cbranch_vccnz .LBB174_2689
; %bb.2669:
	v_cmp_gt_i16_e32 vcc_lo, 8, v6
	s_cbranch_vccnz .LBB174_2679
; %bb.2670:
	v_cmp_gt_i16_e32 vcc_lo, 9, v6
	s_cbranch_vccnz .LBB174_2676
; %bb.2671:
	v_cmp_lt_i16_e32 vcc_lo, 9, v6
	s_cbranch_vccz .LBB174_2673
; %bb.2672:
	v_dual_mov_b32 v15, 0 :: v_dual_lshlrev_b32 v8, 16, v7
	s_mov_b32 s0, 0
	s_delay_alu instid0(VALU_DEP_1) | instskip(NEXT) | instid1(VALU_DEP_2)
	v_cvt_f64_f32_e32 v[13:14], v8
	v_mov_b32_e32 v16, v15
	global_store_b128 v[4:5], v[13:16], off
.LBB174_2673:
	s_and_not1_b32 vcc_lo, exec_lo, s0
	s_cbranch_vccnz .LBB174_2675
; %bb.2674:
	v_dual_mov_b32 v9, 0 :: v_dual_lshlrev_b32 v8, 16, v7
	global_store_b64 v[4:5], v[8:9], off
.LBB174_2675:
	s_mov_b32 s0, 0
.LBB174_2676:
	s_delay_alu instid0(SALU_CYCLE_1)
	s_and_not1_b32 vcc_lo, exec_lo, s0
	s_cbranch_vccnz .LBB174_2678
; %bb.2677:
	v_lshlrev_b32_e32 v8, 16, v7
	s_delay_alu instid0(VALU_DEP_1) | instskip(NEXT) | instid1(VALU_DEP_1)
	v_cvt_f16_f32_e32 v8, v8
	v_and_b32_e32 v8, 0xffff, v8
	global_store_b32 v[4:5], v8, off
.LBB174_2678:
	s_mov_b32 s0, 0
.LBB174_2679:
	s_delay_alu instid0(SALU_CYCLE_1)
	s_and_not1_b32 vcc_lo, exec_lo, s0
	s_cbranch_vccnz .LBB174_2688
; %bb.2680:
	v_cmp_gt_i16_e32 vcc_lo, 6, v6
	s_mov_b32 s0, -1
	s_cbranch_vccnz .LBB174_2686
; %bb.2681:
	v_cmp_lt_i16_e32 vcc_lo, 6, v6
	s_cbranch_vccz .LBB174_2683
; %bb.2682:
	v_lshlrev_b32_e32 v8, 16, v7
	s_mov_b32 s0, 0
	s_delay_alu instid0(VALU_DEP_1)
	v_cvt_f64_f32_e32 v[8:9], v8
	global_store_b64 v[4:5], v[8:9], off
.LBB174_2683:
	s_and_not1_b32 vcc_lo, exec_lo, s0
	s_cbranch_vccnz .LBB174_2685
; %bb.2684:
	v_lshlrev_b32_e32 v8, 16, v7
	global_store_b32 v[4:5], v8, off
.LBB174_2685:
	s_mov_b32 s0, 0
.LBB174_2686:
	s_delay_alu instid0(SALU_CYCLE_1)
	s_and_not1_b32 vcc_lo, exec_lo, s0
	s_cbranch_vccnz .LBB174_2688
; %bb.2687:
	v_lshlrev_b32_e32 v8, 16, v7
	s_delay_alu instid0(VALU_DEP_1)
	v_cvt_f16_f32_e32 v8, v8
	global_store_b16 v[4:5], v8, off
.LBB174_2688:
	s_mov_b32 s0, 0
.LBB174_2689:
	s_delay_alu instid0(SALU_CYCLE_1)
	s_and_not1_b32 vcc_lo, exec_lo, s0
	s_cbranch_vccnz .LBB174_2705
; %bb.2690:
	v_cmp_gt_i16_e32 vcc_lo, 2, v6
	s_mov_b32 s0, -1
	s_cbranch_vccnz .LBB174_2700
; %bb.2691:
	v_cmp_gt_i16_e32 vcc_lo, 3, v6
	s_cbranch_vccnz .LBB174_2697
; %bb.2692:
	v_cmp_lt_i16_e32 vcc_lo, 3, v6
	s_cbranch_vccz .LBB174_2694
; %bb.2693:
	v_lshlrev_b32_e32 v8, 16, v7
	s_mov_b32 s0, 0
	s_delay_alu instid0(VALU_DEP_1) | instskip(NEXT) | instid1(VALU_DEP_1)
	v_trunc_f32_e32 v8, v8
	v_mul_f32_e64 v9, 0x2f800000, |v8|
	v_ashrrev_i32_e32 v14, 31, v8
	s_delay_alu instid0(VALU_DEP_2) | instskip(NEXT) | instid1(VALU_DEP_1)
	v_floor_f32_e32 v9, v9
	v_fma_f32 v13, 0xcf800000, v9, |v8|
	v_cvt_u32_f32_e32 v9, v9
	s_delay_alu instid0(VALU_DEP_2) | instskip(NEXT) | instid1(VALU_DEP_2)
	v_cvt_u32_f32_e32 v8, v13
	v_xor_b32_e32 v9, v9, v14
	s_delay_alu instid0(VALU_DEP_2) | instskip(NEXT) | instid1(VALU_DEP_1)
	v_xor_b32_e32 v8, v8, v14
	v_sub_co_u32 v8, vcc_lo, v8, v14
	s_delay_alu instid0(VALU_DEP_3)
	v_sub_co_ci_u32_e32 v9, vcc_lo, v9, v14, vcc_lo
	global_store_b64 v[4:5], v[8:9], off
.LBB174_2694:
	s_and_not1_b32 vcc_lo, exec_lo, s0
	s_cbranch_vccnz .LBB174_2696
; %bb.2695:
	v_lshlrev_b32_e32 v8, 16, v7
	s_delay_alu instid0(VALU_DEP_1)
	v_cvt_i32_f32_e32 v8, v8
	global_store_b32 v[4:5], v8, off
.LBB174_2696:
	s_mov_b32 s0, 0
.LBB174_2697:
	s_delay_alu instid0(SALU_CYCLE_1)
	s_and_not1_b32 vcc_lo, exec_lo, s0
	s_cbranch_vccnz .LBB174_2699
; %bb.2698:
	v_lshlrev_b32_e32 v8, 16, v7
	s_delay_alu instid0(VALU_DEP_1)
	v_cvt_i32_f32_e32 v8, v8
	global_store_b16 v[4:5], v8, off
.LBB174_2699:
	s_mov_b32 s0, 0
.LBB174_2700:
	s_delay_alu instid0(SALU_CYCLE_1)
	s_and_not1_b32 vcc_lo, exec_lo, s0
	s_cbranch_vccnz .LBB174_2705
; %bb.2701:
	v_cmp_lt_i16_e32 vcc_lo, 0, v6
	s_mov_b32 s0, -1
	s_cbranch_vccz .LBB174_2703
; %bb.2702:
	v_lshlrev_b32_e32 v8, 16, v7
	s_mov_b32 s0, 0
	s_delay_alu instid0(VALU_DEP_1)
	v_cvt_i32_f32_e32 v8, v8
	global_store_b8 v[4:5], v8, off
.LBB174_2703:
	s_and_not1_b32 vcc_lo, exec_lo, s0
	s_cbranch_vccnz .LBB174_2705
; %bb.2704:
	v_lshlrev_b32_e32 v7, 16, v7
	s_delay_alu instid0(VALU_DEP_1) | instskip(NEXT) | instid1(VALU_DEP_1)
	v_trunc_f32_e32 v7, v7
	v_mul_f32_e64 v8, 0x2f800000, |v7|
	s_delay_alu instid0(VALU_DEP_1) | instskip(NEXT) | instid1(VALU_DEP_1)
	v_floor_f32_e32 v8, v8
	v_fma_f32 v8, 0xcf800000, v8, |v7|
	v_ashrrev_i32_e32 v7, 31, v7
	s_delay_alu instid0(VALU_DEP_2) | instskip(NEXT) | instid1(VALU_DEP_1)
	v_cvt_u32_f32_e32 v8, v8
	v_xor_b32_e32 v8, v8, v7
	s_delay_alu instid0(VALU_DEP_1)
	v_sub_nc_u32_e32 v7, v8, v7
	global_store_b8 v[4:5], v7, off
.LBB174_2705:
	s_mov_b32 s2, -1
.LBB174_2706:
	s_delay_alu instid0(SALU_CYCLE_1)
	s_and_not1_b32 vcc_lo, exec_lo, s2
	s_cbranch_vccnz .LBB174_3021
; %bb.2707:
	v_cvt_f32_ubyte0_e32 v1, v1
	v_lshlrev_b32_e32 v4, 16, v10
	s_lshl_b32 s1, s8, 7
	v_cmp_gt_i16_e32 vcc_lo, 11, v6
	s_delay_alu instid0(VALU_DEP_2) | instskip(SKIP_1) | instid1(VALU_DEP_1)
	v_dual_mul_f32 v1, v4, v1 :: v_dual_add_nc_u32 v4, s1, v0
	s_and_b32 vcc_lo, exec_lo, vcc_lo
	v_mul_f32_e32 v5, s11, v1
	s_delay_alu instid0(VALU_DEP_1) | instskip(NEXT) | instid1(VALU_DEP_1)
	v_bfe_u32 v1, v5, 16, 1
	v_add3_u32 v0, v5, v1, 0x7fff
	v_ashrrev_i32_e32 v1, 31, v4
	s_delay_alu instid0(VALU_DEP_2) | instskip(SKIP_1) | instid1(VALU_DEP_1)
	v_lshrrev_b32_e32 v7, 16, v0
	v_add_co_u32 v0, s0, s4, v4
	v_add_co_ci_u32_e64 v1, s0, s5, v1, s0
	v_cmp_o_f32_e64 s0, v5, v5
	s_delay_alu instid0(VALU_DEP_1)
	v_cndmask_b32_e64 v5, 0x7fc0, v7, s0
	s_cbranch_vccnz .LBB174_2785
; %bb.2708:
	v_cmp_lt_i16_e32 vcc_lo, 25, v6
	s_mov_b32 s6, -1
	s_mov_b32 s2, 0
	s_mov_b32 s3, 0
	;; [unrolled: 1-line block ×3, first 2 shown]
	s_cbranch_vccz .LBB174_2741
; %bb.2709:
	v_cmp_lt_i16_e32 vcc_lo, 28, v6
	s_cbranch_vccz .LBB174_2724
; %bb.2710:
	v_cmp_lt_i16_e32 vcc_lo, 43, v6
	;; [unrolled: 3-line block ×3, first 2 shown]
	s_cbranch_vccz .LBB174_2714
; %bb.2712:
	v_cmp_eq_u16_e32 vcc_lo, 46, v6
	s_mov_b32 s0, -1
	s_mov_b32 s6, 0
	s_cbranch_vccz .LBB174_2714
; %bb.2713:
	v_and_b32_e32 v7, 0xffff, v5
	s_mov_b32 s0, 0
	s_mov_b32 s3, -1
	global_store_b32 v[0:1], v7, off
.LBB174_2714:
	s_and_b32 vcc_lo, exec_lo, s6
	s_cbranch_vccz .LBB174_2719
; %bb.2715:
	v_cmp_eq_u16_e32 vcc_lo, 44, v6
	s_mov_b32 s0, -1
	s_cbranch_vccz .LBB174_2719
; %bb.2716:
	v_and_b32_e32 v7, 0xffff, v5
	v_mov_b32_e32 v8, 0xff
	s_mov_b32 s3, exec_lo
	s_delay_alu instid0(VALU_DEP_2) | instskip(NEXT) | instid1(VALU_DEP_1)
	v_bfe_u32 v9, v7, 7, 8
	v_cmpx_ne_u32_e32 0xff, v9
; %bb.2717:
	v_lshlrev_b32_e32 v8, 16, v7
	v_and_b32_e32 v10, 64, v7
	v_lshrrev_b32_e32 v7, 7, v7
	s_delay_alu instid0(VALU_DEP_3) | instskip(NEXT) | instid1(VALU_DEP_3)
	v_and_or_b32 v8, 0x3f0000, v8, v9
	v_cmp_ne_u32_e32 vcc_lo, 0, v10
	s_delay_alu instid0(VALU_DEP_2) | instskip(NEXT) | instid1(VALU_DEP_1)
	v_cmp_ne_u32_e64 s0, 0, v8
	s_and_b32 s0, vcc_lo, s0
	s_delay_alu instid0(SALU_CYCLE_1) | instskip(NEXT) | instid1(VALU_DEP_1)
	v_cndmask_b32_e64 v8, 0, 1, s0
	v_add_nc_u32_e32 v8, v7, v8
; %bb.2718:
	s_or_b32 exec_lo, exec_lo, s3
	s_mov_b32 s0, 0
	s_mov_b32 s3, -1
	global_store_b8 v[0:1], v8, off
.LBB174_2719:
	s_mov_b32 s6, 0
.LBB174_2720:
	s_delay_alu instid0(SALU_CYCLE_1)
	s_and_b32 vcc_lo, exec_lo, s6
	s_cbranch_vccz .LBB174_2723
; %bb.2721:
	v_cmp_eq_u16_e32 vcc_lo, 29, v6
	s_mov_b32 s0, -1
	s_cbranch_vccz .LBB174_2723
; %bb.2722:
	v_lshlrev_b32_e32 v7, 16, v5
	s_mov_b32 s0, 0
	s_mov_b32 s3, -1
	s_delay_alu instid0(VALU_DEP_1) | instskip(NEXT) | instid1(VALU_DEP_1)
	v_trunc_f32_e32 v7, v7
	v_mul_f32_e32 v8, 0x2f800000, v7
	s_delay_alu instid0(VALU_DEP_1) | instskip(NEXT) | instid1(VALU_DEP_1)
	v_floor_f32_e32 v8, v8
	v_fmamk_f32 v7, v8, 0xcf800000, v7
	v_cvt_u32_f32_e32 v8, v8
	s_delay_alu instid0(VALU_DEP_2)
	v_cvt_u32_f32_e32 v7, v7
	global_store_b64 v[0:1], v[7:8], off
.LBB174_2723:
	s_mov_b32 s6, 0
.LBB174_2724:
	s_delay_alu instid0(SALU_CYCLE_1)
	s_and_b32 vcc_lo, exec_lo, s6
	s_cbranch_vccz .LBB174_2740
; %bb.2725:
	v_cmp_gt_i16_e32 vcc_lo, 27, v6
	s_mov_b32 s3, -1
	s_cbranch_vccnz .LBB174_2731
; %bb.2726:
	v_cmp_lt_i16_e32 vcc_lo, 27, v6
	s_cbranch_vccz .LBB174_2728
; %bb.2727:
	v_lshlrev_b32_e32 v7, 16, v5
	s_mov_b32 s3, 0
	s_delay_alu instid0(VALU_DEP_1)
	v_cvt_u32_f32_e32 v7, v7
	global_store_b32 v[0:1], v7, off
.LBB174_2728:
	s_and_not1_b32 vcc_lo, exec_lo, s3
	s_cbranch_vccnz .LBB174_2730
; %bb.2729:
	v_lshlrev_b32_e32 v7, 16, v5
	s_delay_alu instid0(VALU_DEP_1)
	v_cvt_u32_f32_e32 v7, v7
	global_store_b16 v[0:1], v7, off
.LBB174_2730:
	s_mov_b32 s3, 0
.LBB174_2731:
	s_delay_alu instid0(SALU_CYCLE_1)
	s_and_not1_b32 vcc_lo, exec_lo, s3
	s_cbranch_vccnz .LBB174_2739
; %bb.2732:
	v_dual_mov_b32 v10, 0x80 :: v_dual_lshlrev_b32 v9, 16, v5
	s_mov_b32 s3, exec_lo
	s_delay_alu instid0(VALU_DEP_1) | instskip(NEXT) | instid1(VALU_DEP_1)
	v_and_b32_e32 v8, 0x7fffffff, v9
	v_cmpx_gt_u32_e32 0x43800000, v8
	s_cbranch_execz .LBB174_2738
; %bb.2733:
	v_and_b32_e32 v7, 0xffff, v5
	v_cmp_lt_u32_e32 vcc_lo, 0x3bffffff, v8
	s_mov_b32 s6, 0
                                        ; implicit-def: $vgpr8
	s_and_saveexec_b32 s7, vcc_lo
	s_delay_alu instid0(SALU_CYCLE_1)
	s_xor_b32 s7, exec_lo, s7
	s_cbranch_execz .LBB174_3077
; %bb.2734:
	v_bfe_u32 v8, v7, 4, 1
	s_mov_b32 s6, exec_lo
	s_delay_alu instid0(VALU_DEP_1) | instskip(NEXT) | instid1(VALU_DEP_1)
	v_add3_u32 v8, v9, v8, 0x487ffff
                                        ; implicit-def: $vgpr9
	v_lshrrev_b32_e32 v8, 20, v8
	s_or_saveexec_b32 s7, s7
                                        ; implicit-def: $sgpr8
	s_delay_alu instid0(SALU_CYCLE_1)
	s_xor_b32 exec_lo, exec_lo, s7
	s_cbranch_execnz .LBB174_3078
.LBB174_2735:
	s_or_b32 exec_lo, exec_lo, s7
	v_mov_b32_e32 v10, s8
	s_and_saveexec_b32 s7, s6
.LBB174_2736:
	v_lshrrev_b32_e32 v7, 8, v7
	s_delay_alu instid0(VALU_DEP_1)
	v_and_or_b32 v10, 0x80, v7, v8
.LBB174_2737:
	s_or_b32 exec_lo, exec_lo, s7
.LBB174_2738:
	s_delay_alu instid0(SALU_CYCLE_1)
	s_or_b32 exec_lo, exec_lo, s3
	global_store_b8 v[0:1], v10, off
.LBB174_2739:
	s_mov_b32 s3, -1
.LBB174_2740:
	s_mov_b32 s6, 0
.LBB174_2741:
	s_delay_alu instid0(SALU_CYCLE_1)
	s_and_b32 vcc_lo, exec_lo, s6
	s_cbranch_vccz .LBB174_2781
; %bb.2742:
	v_cmp_lt_i16_e32 vcc_lo, 22, v6
	s_mov_b32 s2, -1
	s_cbranch_vccz .LBB174_2774
; %bb.2743:
	v_cmp_gt_i16_e32 vcc_lo, 24, v6
	s_cbranch_vccnz .LBB174_2763
; %bb.2744:
	v_cmp_lt_i16_e32 vcc_lo, 24, v6
	s_cbranch_vccz .LBB174_2752
; %bb.2745:
	v_dual_mov_b32 v10, 0x80 :: v_dual_lshlrev_b32 v9, 16, v5
	s_mov_b32 s2, exec_lo
	s_delay_alu instid0(VALU_DEP_1) | instskip(NEXT) | instid1(VALU_DEP_1)
	v_and_b32_e32 v8, 0x7fffffff, v9
	v_cmpx_gt_u32_e32 0x47800000, v8
	s_cbranch_execz .LBB174_2751
; %bb.2746:
	v_and_b32_e32 v7, 0xffff, v5
	v_cmp_lt_u32_e32 vcc_lo, 0x37ffffff, v8
	s_mov_b32 s3, 0
                                        ; implicit-def: $vgpr8
	s_and_saveexec_b32 s6, vcc_lo
	s_delay_alu instid0(SALU_CYCLE_1)
	s_xor_b32 s6, exec_lo, s6
	s_cbranch_execz .LBB174_3083
; %bb.2747:
	v_bfe_u32 v8, v7, 5, 1
	s_mov_b32 s3, exec_lo
	s_delay_alu instid0(VALU_DEP_1) | instskip(NEXT) | instid1(VALU_DEP_1)
	v_add3_u32 v8, v9, v8, 0x88fffff
                                        ; implicit-def: $vgpr9
	v_lshrrev_b32_e32 v8, 21, v8
	s_or_saveexec_b32 s6, s6
                                        ; implicit-def: $sgpr7
	s_delay_alu instid0(SALU_CYCLE_1)
	s_xor_b32 exec_lo, exec_lo, s6
	s_cbranch_execnz .LBB174_3084
.LBB174_2748:
	s_or_b32 exec_lo, exec_lo, s6
	v_mov_b32_e32 v10, s7
	s_and_saveexec_b32 s6, s3
.LBB174_2749:
	v_lshrrev_b32_e32 v7, 8, v7
	s_delay_alu instid0(VALU_DEP_1)
	v_and_or_b32 v10, 0x80, v7, v8
.LBB174_2750:
	s_or_b32 exec_lo, exec_lo, s6
.LBB174_2751:
	s_delay_alu instid0(SALU_CYCLE_1)
	s_or_b32 exec_lo, exec_lo, s2
	s_mov_b32 s2, 0
	global_store_b8 v[0:1], v10, off
.LBB174_2752:
	s_and_b32 vcc_lo, exec_lo, s2
	s_cbranch_vccz .LBB174_2762
; %bb.2753:
	v_lshlrev_b32_e32 v9, 16, v5
	v_and_b32_e32 v7, 0xffff, v5
	s_mov_b32 s2, exec_lo
                                        ; implicit-def: $vgpr8
	s_delay_alu instid0(VALU_DEP_2) | instskip(NEXT) | instid1(VALU_DEP_1)
	v_and_b32_e32 v10, 0x7fffffff, v9
	v_cmpx_gt_u32_e32 0x43f00000, v10
	s_xor_b32 s2, exec_lo, s2
	s_cbranch_execz .LBB174_2759
; %bb.2754:
	s_mov_b32 s3, exec_lo
                                        ; implicit-def: $vgpr8
	v_cmpx_lt_u32_e32 0x3c7fffff, v10
	s_xor_b32 s3, exec_lo, s3
; %bb.2755:
	v_bfe_u32 v8, v7, 4, 1
	s_delay_alu instid0(VALU_DEP_1) | instskip(NEXT) | instid1(VALU_DEP_1)
	v_add3_u32 v8, v9, v8, 0x407ffff
	v_and_b32_e32 v9, 0xff00000, v8
	v_lshrrev_b32_e32 v8, 20, v8
	s_delay_alu instid0(VALU_DEP_2) | instskip(NEXT) | instid1(VALU_DEP_2)
	v_cmp_ne_u32_e32 vcc_lo, 0x7f00000, v9
                                        ; implicit-def: $vgpr9
	v_cndmask_b32_e32 v8, 0x7e, v8, vcc_lo
; %bb.2756:
	s_and_not1_saveexec_b32 s3, s3
; %bb.2757:
	v_add_f32_e64 v8, 0x46800000, |v9|
; %bb.2758:
	s_or_b32 exec_lo, exec_lo, s3
                                        ; implicit-def: $vgpr10
.LBB174_2759:
	s_and_not1_saveexec_b32 s2, s2
; %bb.2760:
	v_mov_b32_e32 v8, 0x7f
	v_cmp_lt_u32_e32 vcc_lo, 0x7f800000, v10
	s_delay_alu instid0(VALU_DEP_2)
	v_cndmask_b32_e32 v8, 0x7e, v8, vcc_lo
; %bb.2761:
	s_or_b32 exec_lo, exec_lo, s2
	v_lshrrev_b32_e32 v7, 8, v7
	s_delay_alu instid0(VALU_DEP_1)
	v_and_or_b32 v7, 0x80, v7, v8
	global_store_b8 v[0:1], v7, off
.LBB174_2762:
	s_mov_b32 s2, 0
.LBB174_2763:
	s_delay_alu instid0(SALU_CYCLE_1)
	s_and_not1_b32 vcc_lo, exec_lo, s2
	s_cbranch_vccnz .LBB174_2773
; %bb.2764:
	v_lshlrev_b32_e32 v9, 16, v5
	v_and_b32_e32 v7, 0xffff, v5
	s_mov_b32 s2, exec_lo
                                        ; implicit-def: $vgpr8
	s_delay_alu instid0(VALU_DEP_2) | instskip(NEXT) | instid1(VALU_DEP_1)
	v_and_b32_e32 v10, 0x7fffffff, v9
	v_cmpx_gt_u32_e32 0x47800000, v10
	s_xor_b32 s2, exec_lo, s2
	s_cbranch_execz .LBB174_2770
; %bb.2765:
	s_mov_b32 s3, exec_lo
                                        ; implicit-def: $vgpr8
	v_cmpx_lt_u32_e32 0x387fffff, v10
	s_xor_b32 s3, exec_lo, s3
; %bb.2766:
	v_bfe_u32 v8, v7, 5, 1
	s_delay_alu instid0(VALU_DEP_1) | instskip(NEXT) | instid1(VALU_DEP_1)
	v_add3_u32 v8, v9, v8, 0x80fffff
                                        ; implicit-def: $vgpr9
	v_lshrrev_b32_e32 v8, 21, v8
; %bb.2767:
	s_and_not1_saveexec_b32 s3, s3
; %bb.2768:
	v_add_f32_e64 v8, 0x43000000, |v9|
; %bb.2769:
	s_or_b32 exec_lo, exec_lo, s3
                                        ; implicit-def: $vgpr10
.LBB174_2770:
	s_and_not1_saveexec_b32 s2, s2
; %bb.2771:
	v_mov_b32_e32 v8, 0x7f
	v_cmp_lt_u32_e32 vcc_lo, 0x7f800000, v10
	s_delay_alu instid0(VALU_DEP_2)
	v_cndmask_b32_e32 v8, 0x7c, v8, vcc_lo
; %bb.2772:
	s_or_b32 exec_lo, exec_lo, s2
	v_lshrrev_b32_e32 v7, 8, v7
	s_delay_alu instid0(VALU_DEP_1)
	v_and_or_b32 v7, 0x80, v7, v8
	global_store_b8 v[0:1], v7, off
.LBB174_2773:
	s_mov_b32 s2, 0
	s_mov_b32 s3, -1
.LBB174_2774:
	s_and_not1_b32 vcc_lo, exec_lo, s2
	s_mov_b32 s2, 0
	s_cbranch_vccnz .LBB174_2781
; %bb.2775:
	v_cmp_lt_i16_e32 vcc_lo, 14, v6
	s_mov_b32 s2, -1
	s_cbranch_vccz .LBB174_2779
; %bb.2776:
	v_cmp_eq_u16_e32 vcc_lo, 15, v6
	s_mov_b32 s0, -1
	s_cbranch_vccz .LBB174_2778
; %bb.2777:
	s_mov_b32 s0, 0
	s_mov_b32 s3, -1
	global_store_b16 v[0:1], v5, off
.LBB174_2778:
	s_mov_b32 s2, 0
.LBB174_2779:
	s_delay_alu instid0(SALU_CYCLE_1)
	s_and_b32 vcc_lo, exec_lo, s2
	s_mov_b32 s2, 0
	s_cbranch_vccz .LBB174_2781
; %bb.2780:
	v_cmp_ne_u16_e64 s0, 11, v6
	s_mov_b32 s2, -1
.LBB174_2781:
	s_delay_alu instid0(VALU_DEP_1)
	s_and_b32 vcc_lo, exec_lo, s0
	s_cbranch_vccnz .LBB174_3081
; %bb.2782:
	s_and_not1_b32 vcc_lo, exec_lo, s2
	s_cbranch_vccnz .LBB174_2784
.LBB174_2783:
	v_and_b32_e32 v7, 0x7fff, v5
	s_mov_b32 s3, -1
	s_delay_alu instid0(VALU_DEP_1)
	v_cmp_ne_u16_e32 vcc_lo, 0, v7
	v_cndmask_b32_e64 v7, 0, 1, vcc_lo
	global_store_b8 v[0:1], v7, off
.LBB174_2784:
	s_mov_b32 s0, 0
	s_branch .LBB174_2786
.LBB174_2785:
	s_mov_b32 s0, -1
	s_mov_b32 s3, 0
.LBB174_2786:
	s_and_b32 vcc_lo, exec_lo, s0
	s_cbranch_vccz .LBB174_2825
; %bb.2787:
	v_cmp_gt_i16_e32 vcc_lo, 5, v6
	s_mov_b32 s0, -1
	s_cbranch_vccnz .LBB174_2808
; %bb.2788:
	v_cmp_gt_i16_e32 vcc_lo, 8, v6
	s_cbranch_vccnz .LBB174_2798
; %bb.2789:
	v_cmp_gt_i16_e32 vcc_lo, 9, v6
	s_cbranch_vccnz .LBB174_2795
; %bb.2790:
	v_cmp_lt_i16_e32 vcc_lo, 9, v6
	s_cbranch_vccz .LBB174_2792
; %bb.2791:
	v_mov_b32_e32 v9, 0
	v_lshlrev_b32_e32 v7, 16, v5
	s_mov_b32 s0, 0
	s_delay_alu instid0(VALU_DEP_2) | instskip(NEXT) | instid1(VALU_DEP_2)
	v_mov_b32_e32 v10, v9
	v_cvt_f64_f32_e32 v[7:8], v7
	global_store_b128 v[0:1], v[7:10], off
.LBB174_2792:
	s_and_not1_b32 vcc_lo, exec_lo, s0
	s_cbranch_vccnz .LBB174_2794
; %bb.2793:
	v_dual_mov_b32 v8, 0 :: v_dual_lshlrev_b32 v7, 16, v5
	global_store_b64 v[0:1], v[7:8], off
.LBB174_2794:
	s_mov_b32 s0, 0
.LBB174_2795:
	s_delay_alu instid0(SALU_CYCLE_1)
	s_and_not1_b32 vcc_lo, exec_lo, s0
	s_cbranch_vccnz .LBB174_2797
; %bb.2796:
	v_lshlrev_b32_e32 v7, 16, v5
	s_delay_alu instid0(VALU_DEP_1) | instskip(NEXT) | instid1(VALU_DEP_1)
	v_cvt_f16_f32_e32 v7, v7
	v_and_b32_e32 v7, 0xffff, v7
	global_store_b32 v[0:1], v7, off
.LBB174_2797:
	s_mov_b32 s0, 0
.LBB174_2798:
	s_delay_alu instid0(SALU_CYCLE_1)
	s_and_not1_b32 vcc_lo, exec_lo, s0
	s_cbranch_vccnz .LBB174_2807
; %bb.2799:
	v_cmp_gt_i16_e32 vcc_lo, 6, v6
	s_mov_b32 s0, -1
	s_cbranch_vccnz .LBB174_2805
; %bb.2800:
	v_cmp_lt_i16_e32 vcc_lo, 6, v6
	s_cbranch_vccz .LBB174_2802
; %bb.2801:
	v_lshlrev_b32_e32 v7, 16, v5
	s_mov_b32 s0, 0
	s_delay_alu instid0(VALU_DEP_1)
	v_cvt_f64_f32_e32 v[7:8], v7
	global_store_b64 v[0:1], v[7:8], off
.LBB174_2802:
	s_and_not1_b32 vcc_lo, exec_lo, s0
	s_cbranch_vccnz .LBB174_2804
; %bb.2803:
	v_lshlrev_b32_e32 v7, 16, v5
	global_store_b32 v[0:1], v7, off
.LBB174_2804:
	s_mov_b32 s0, 0
.LBB174_2805:
	s_delay_alu instid0(SALU_CYCLE_1)
	s_and_not1_b32 vcc_lo, exec_lo, s0
	s_cbranch_vccnz .LBB174_2807
; %bb.2806:
	v_lshlrev_b32_e32 v7, 16, v5
	s_delay_alu instid0(VALU_DEP_1)
	v_cvt_f16_f32_e32 v7, v7
	global_store_b16 v[0:1], v7, off
.LBB174_2807:
	s_mov_b32 s0, 0
.LBB174_2808:
	s_delay_alu instid0(SALU_CYCLE_1)
	s_and_not1_b32 vcc_lo, exec_lo, s0
	s_cbranch_vccnz .LBB174_2824
; %bb.2809:
	v_cmp_gt_i16_e32 vcc_lo, 2, v6
	s_mov_b32 s0, -1
	s_cbranch_vccnz .LBB174_2819
; %bb.2810:
	v_cmp_gt_i16_e32 vcc_lo, 3, v6
	s_cbranch_vccnz .LBB174_2816
; %bb.2811:
	v_cmp_lt_i16_e32 vcc_lo, 3, v6
	s_cbranch_vccz .LBB174_2813
; %bb.2812:
	v_lshlrev_b32_e32 v7, 16, v5
	s_mov_b32 s0, 0
	s_delay_alu instid0(VALU_DEP_1) | instskip(NEXT) | instid1(VALU_DEP_1)
	v_trunc_f32_e32 v7, v7
	v_mul_f32_e64 v8, 0x2f800000, |v7|
	v_ashrrev_i32_e32 v10, 31, v7
	s_delay_alu instid0(VALU_DEP_2) | instskip(NEXT) | instid1(VALU_DEP_1)
	v_floor_f32_e32 v8, v8
	v_fma_f32 v9, 0xcf800000, v8, |v7|
	v_cvt_u32_f32_e32 v8, v8
	s_delay_alu instid0(VALU_DEP_2) | instskip(NEXT) | instid1(VALU_DEP_2)
	v_cvt_u32_f32_e32 v7, v9
	v_xor_b32_e32 v8, v8, v10
	s_delay_alu instid0(VALU_DEP_2) | instskip(NEXT) | instid1(VALU_DEP_1)
	v_xor_b32_e32 v7, v7, v10
	v_sub_co_u32 v7, vcc_lo, v7, v10
	s_delay_alu instid0(VALU_DEP_3)
	v_sub_co_ci_u32_e32 v8, vcc_lo, v8, v10, vcc_lo
	global_store_b64 v[0:1], v[7:8], off
.LBB174_2813:
	s_and_not1_b32 vcc_lo, exec_lo, s0
	s_cbranch_vccnz .LBB174_2815
; %bb.2814:
	v_lshlrev_b32_e32 v7, 16, v5
	s_delay_alu instid0(VALU_DEP_1)
	v_cvt_i32_f32_e32 v7, v7
	global_store_b32 v[0:1], v7, off
.LBB174_2815:
	s_mov_b32 s0, 0
.LBB174_2816:
	s_delay_alu instid0(SALU_CYCLE_1)
	s_and_not1_b32 vcc_lo, exec_lo, s0
	s_cbranch_vccnz .LBB174_2818
; %bb.2817:
	v_lshlrev_b32_e32 v7, 16, v5
	s_delay_alu instid0(VALU_DEP_1)
	v_cvt_i32_f32_e32 v7, v7
	global_store_b16 v[0:1], v7, off
.LBB174_2818:
	s_mov_b32 s0, 0
.LBB174_2819:
	s_delay_alu instid0(SALU_CYCLE_1)
	s_and_not1_b32 vcc_lo, exec_lo, s0
	s_cbranch_vccnz .LBB174_2824
; %bb.2820:
	v_cmp_lt_i16_e32 vcc_lo, 0, v6
	s_mov_b32 s0, -1
	s_cbranch_vccz .LBB174_2822
; %bb.2821:
	v_lshlrev_b32_e32 v7, 16, v5
	s_mov_b32 s0, 0
	s_delay_alu instid0(VALU_DEP_1)
	v_cvt_i32_f32_e32 v7, v7
	global_store_b8 v[0:1], v7, off
.LBB174_2822:
	s_and_not1_b32 vcc_lo, exec_lo, s0
	s_cbranch_vccnz .LBB174_2824
; %bb.2823:
	v_lshlrev_b32_e32 v5, 16, v5
	s_delay_alu instid0(VALU_DEP_1) | instskip(NEXT) | instid1(VALU_DEP_1)
	v_trunc_f32_e32 v5, v5
	v_mul_f32_e64 v7, 0x2f800000, |v5|
	s_delay_alu instid0(VALU_DEP_1) | instskip(NEXT) | instid1(VALU_DEP_1)
	v_floor_f32_e32 v7, v7
	v_fma_f32 v7, 0xcf800000, v7, |v5|
	v_ashrrev_i32_e32 v5, 31, v5
	s_delay_alu instid0(VALU_DEP_2) | instskip(NEXT) | instid1(VALU_DEP_1)
	v_cvt_u32_f32_e32 v7, v7
	v_xor_b32_e32 v7, v7, v5
	s_delay_alu instid0(VALU_DEP_1)
	v_sub_nc_u32_e32 v5, v7, v5
	global_store_b8 v[0:1], v5, off
.LBB174_2824:
	s_mov_b32 s3, -1
.LBB174_2825:
	s_delay_alu instid0(SALU_CYCLE_1)
	s_and_not1_b32 vcc_lo, exec_lo, s3
	s_cbranch_vccnz .LBB174_3021
; %bb.2826:
	v_cvt_f32_ubyte0_e32 v0, v2
	v_lshlrev_b32_e32 v1, 16, v11
	v_add_nc_u32_e32 v2, s1, v4
	v_cmp_gt_i16_e32 vcc_lo, 11, v6
	s_delay_alu instid0(VALU_DEP_3) | instskip(NEXT) | instid1(VALU_DEP_3)
	v_mul_f32_e32 v0, v1, v0
	v_ashrrev_i32_e32 v1, 31, v2
	s_and_b32 vcc_lo, exec_lo, vcc_lo
	s_delay_alu instid0(VALU_DEP_2) | instskip(NEXT) | instid1(VALU_DEP_1)
	v_mul_f32_e32 v5, s11, v0
	v_bfe_u32 v0, v5, 16, 1
	s_delay_alu instid0(VALU_DEP_1) | instskip(NEXT) | instid1(VALU_DEP_1)
	v_add3_u32 v0, v5, v0, 0x7fff
	v_lshrrev_b32_e32 v4, 16, v0
	v_add_co_u32 v0, s0, s4, v2
	s_delay_alu instid0(VALU_DEP_1) | instskip(SKIP_1) | instid1(VALU_DEP_1)
	v_add_co_ci_u32_e64 v1, s0, s5, v1, s0
	v_cmp_o_f32_e64 s0, v5, v5
	v_cndmask_b32_e64 v4, 0x7fc0, v4, s0
	s_cbranch_vccnz .LBB174_2904
; %bb.2827:
	v_cmp_lt_i16_e32 vcc_lo, 25, v6
	s_mov_b32 s6, -1
	s_mov_b32 s2, 0
	s_mov_b32 s3, 0
	;; [unrolled: 1-line block ×3, first 2 shown]
	s_cbranch_vccz .LBB174_2860
; %bb.2828:
	v_cmp_lt_i16_e32 vcc_lo, 28, v6
	s_cbranch_vccz .LBB174_2843
; %bb.2829:
	v_cmp_lt_i16_e32 vcc_lo, 43, v6
	;; [unrolled: 3-line block ×3, first 2 shown]
	s_cbranch_vccz .LBB174_2833
; %bb.2831:
	v_cmp_eq_u16_e32 vcc_lo, 46, v6
	s_mov_b32 s0, -1
	s_mov_b32 s6, 0
	s_cbranch_vccz .LBB174_2833
; %bb.2832:
	v_and_b32_e32 v5, 0xffff, v4
	s_mov_b32 s0, 0
	s_mov_b32 s3, -1
	global_store_b32 v[0:1], v5, off
.LBB174_2833:
	s_and_b32 vcc_lo, exec_lo, s6
	s_cbranch_vccz .LBB174_2838
; %bb.2834:
	v_cmp_eq_u16_e32 vcc_lo, 44, v6
	s_mov_b32 s0, -1
	s_cbranch_vccz .LBB174_2838
; %bb.2835:
	v_and_b32_e32 v5, 0xffff, v4
	v_mov_b32_e32 v7, 0xff
	s_mov_b32 s3, exec_lo
	s_delay_alu instid0(VALU_DEP_2) | instskip(NEXT) | instid1(VALU_DEP_1)
	v_bfe_u32 v8, v5, 7, 8
	v_cmpx_ne_u32_e32 0xff, v8
; %bb.2836:
	v_lshlrev_b32_e32 v7, 16, v5
	v_and_b32_e32 v9, 64, v5
	v_lshrrev_b32_e32 v5, 7, v5
	s_delay_alu instid0(VALU_DEP_3) | instskip(NEXT) | instid1(VALU_DEP_3)
	v_and_or_b32 v7, 0x3f0000, v7, v8
	v_cmp_ne_u32_e32 vcc_lo, 0, v9
	s_delay_alu instid0(VALU_DEP_2) | instskip(NEXT) | instid1(VALU_DEP_1)
	v_cmp_ne_u32_e64 s0, 0, v7
	s_and_b32 s0, vcc_lo, s0
	s_delay_alu instid0(SALU_CYCLE_1) | instskip(NEXT) | instid1(VALU_DEP_1)
	v_cndmask_b32_e64 v7, 0, 1, s0
	v_add_nc_u32_e32 v7, v5, v7
; %bb.2837:
	s_or_b32 exec_lo, exec_lo, s3
	s_mov_b32 s0, 0
	s_mov_b32 s3, -1
	global_store_b8 v[0:1], v7, off
.LBB174_2838:
	s_mov_b32 s6, 0
.LBB174_2839:
	s_delay_alu instid0(SALU_CYCLE_1)
	s_and_b32 vcc_lo, exec_lo, s6
	s_cbranch_vccz .LBB174_2842
; %bb.2840:
	v_cmp_eq_u16_e32 vcc_lo, 29, v6
	s_mov_b32 s0, -1
	s_cbranch_vccz .LBB174_2842
; %bb.2841:
	v_lshlrev_b32_e32 v5, 16, v4
	s_mov_b32 s0, 0
	s_mov_b32 s3, -1
	s_delay_alu instid0(VALU_DEP_1) | instskip(NEXT) | instid1(VALU_DEP_1)
	v_trunc_f32_e32 v5, v5
	v_mul_f32_e32 v7, 0x2f800000, v5
	s_delay_alu instid0(VALU_DEP_1) | instskip(NEXT) | instid1(VALU_DEP_1)
	v_floor_f32_e32 v7, v7
	v_fmamk_f32 v5, v7, 0xcf800000, v5
	v_cvt_u32_f32_e32 v8, v7
	s_delay_alu instid0(VALU_DEP_2)
	v_cvt_u32_f32_e32 v7, v5
	global_store_b64 v[0:1], v[7:8], off
.LBB174_2842:
	s_mov_b32 s6, 0
.LBB174_2843:
	s_delay_alu instid0(SALU_CYCLE_1)
	s_and_b32 vcc_lo, exec_lo, s6
	s_cbranch_vccz .LBB174_2859
; %bb.2844:
	v_cmp_gt_i16_e32 vcc_lo, 27, v6
	s_mov_b32 s3, -1
	s_cbranch_vccnz .LBB174_2850
; %bb.2845:
	v_cmp_lt_i16_e32 vcc_lo, 27, v6
	s_cbranch_vccz .LBB174_2847
; %bb.2846:
	v_lshlrev_b32_e32 v5, 16, v4
	s_mov_b32 s3, 0
	s_delay_alu instid0(VALU_DEP_1)
	v_cvt_u32_f32_e32 v5, v5
	global_store_b32 v[0:1], v5, off
.LBB174_2847:
	s_and_not1_b32 vcc_lo, exec_lo, s3
	s_cbranch_vccnz .LBB174_2849
; %bb.2848:
	v_lshlrev_b32_e32 v5, 16, v4
	s_delay_alu instid0(VALU_DEP_1)
	v_cvt_u32_f32_e32 v5, v5
	global_store_b16 v[0:1], v5, off
.LBB174_2849:
	s_mov_b32 s3, 0
.LBB174_2850:
	s_delay_alu instid0(SALU_CYCLE_1)
	s_and_not1_b32 vcc_lo, exec_lo, s3
	s_cbranch_vccnz .LBB174_2858
; %bb.2851:
	v_dual_mov_b32 v9, 0x80 :: v_dual_lshlrev_b32 v8, 16, v4
	s_mov_b32 s3, exec_lo
	s_delay_alu instid0(VALU_DEP_1) | instskip(NEXT) | instid1(VALU_DEP_1)
	v_and_b32_e32 v7, 0x7fffffff, v8
	v_cmpx_gt_u32_e32 0x43800000, v7
	s_cbranch_execz .LBB174_2857
; %bb.2852:
	v_and_b32_e32 v5, 0xffff, v4
	v_cmp_lt_u32_e32 vcc_lo, 0x3bffffff, v7
	s_mov_b32 s6, 0
                                        ; implicit-def: $vgpr7
	s_and_saveexec_b32 s7, vcc_lo
	s_delay_alu instid0(SALU_CYCLE_1)
	s_xor_b32 s7, exec_lo, s7
	s_cbranch_execz .LBB174_3085
; %bb.2853:
	v_bfe_u32 v7, v5, 4, 1
	s_mov_b32 s6, exec_lo
	s_delay_alu instid0(VALU_DEP_1) | instskip(NEXT) | instid1(VALU_DEP_1)
	v_add3_u32 v7, v8, v7, 0x487ffff
                                        ; implicit-def: $vgpr8
	v_lshrrev_b32_e32 v7, 20, v7
	s_or_saveexec_b32 s7, s7
                                        ; implicit-def: $sgpr8
	s_delay_alu instid0(SALU_CYCLE_1)
	s_xor_b32 exec_lo, exec_lo, s7
	s_cbranch_execnz .LBB174_3086
.LBB174_2854:
	s_or_b32 exec_lo, exec_lo, s7
	v_mov_b32_e32 v9, s8
	s_and_saveexec_b32 s7, s6
.LBB174_2855:
	v_lshrrev_b32_e32 v5, 8, v5
	s_delay_alu instid0(VALU_DEP_1)
	v_and_or_b32 v9, 0x80, v5, v7
.LBB174_2856:
	s_or_b32 exec_lo, exec_lo, s7
.LBB174_2857:
	s_delay_alu instid0(SALU_CYCLE_1)
	s_or_b32 exec_lo, exec_lo, s3
	global_store_b8 v[0:1], v9, off
.LBB174_2858:
	s_mov_b32 s3, -1
.LBB174_2859:
	s_mov_b32 s6, 0
.LBB174_2860:
	s_delay_alu instid0(SALU_CYCLE_1)
	s_and_b32 vcc_lo, exec_lo, s6
	s_cbranch_vccz .LBB174_2900
; %bb.2861:
	v_cmp_lt_i16_e32 vcc_lo, 22, v6
	s_mov_b32 s2, -1
	s_cbranch_vccz .LBB174_2893
; %bb.2862:
	v_cmp_gt_i16_e32 vcc_lo, 24, v6
	s_cbranch_vccnz .LBB174_2882
; %bb.2863:
	v_cmp_lt_i16_e32 vcc_lo, 24, v6
	s_cbranch_vccz .LBB174_2871
; %bb.2864:
	v_dual_mov_b32 v9, 0x80 :: v_dual_lshlrev_b32 v8, 16, v4
	s_mov_b32 s2, exec_lo
	s_delay_alu instid0(VALU_DEP_1) | instskip(NEXT) | instid1(VALU_DEP_1)
	v_and_b32_e32 v7, 0x7fffffff, v8
	v_cmpx_gt_u32_e32 0x47800000, v7
	s_cbranch_execz .LBB174_2870
; %bb.2865:
	v_and_b32_e32 v5, 0xffff, v4
	v_cmp_lt_u32_e32 vcc_lo, 0x37ffffff, v7
	s_mov_b32 s3, 0
                                        ; implicit-def: $vgpr7
	s_and_saveexec_b32 s6, vcc_lo
	s_delay_alu instid0(SALU_CYCLE_1)
	s_xor_b32 s6, exec_lo, s6
	s_cbranch_execz .LBB174_3091
; %bb.2866:
	v_bfe_u32 v7, v5, 5, 1
	s_mov_b32 s3, exec_lo
	s_delay_alu instid0(VALU_DEP_1) | instskip(NEXT) | instid1(VALU_DEP_1)
	v_add3_u32 v7, v8, v7, 0x88fffff
                                        ; implicit-def: $vgpr8
	v_lshrrev_b32_e32 v7, 21, v7
	s_or_saveexec_b32 s6, s6
                                        ; implicit-def: $sgpr7
	s_delay_alu instid0(SALU_CYCLE_1)
	s_xor_b32 exec_lo, exec_lo, s6
	s_cbranch_execnz .LBB174_3092
.LBB174_2867:
	s_or_b32 exec_lo, exec_lo, s6
	v_mov_b32_e32 v9, s7
	s_and_saveexec_b32 s6, s3
.LBB174_2868:
	v_lshrrev_b32_e32 v5, 8, v5
	s_delay_alu instid0(VALU_DEP_1)
	v_and_or_b32 v9, 0x80, v5, v7
.LBB174_2869:
	s_or_b32 exec_lo, exec_lo, s6
.LBB174_2870:
	s_delay_alu instid0(SALU_CYCLE_1)
	s_or_b32 exec_lo, exec_lo, s2
	s_mov_b32 s2, 0
	global_store_b8 v[0:1], v9, off
.LBB174_2871:
	s_and_b32 vcc_lo, exec_lo, s2
	s_cbranch_vccz .LBB174_2881
; %bb.2872:
	v_lshlrev_b32_e32 v8, 16, v4
	v_and_b32_e32 v5, 0xffff, v4
	s_mov_b32 s2, exec_lo
                                        ; implicit-def: $vgpr7
	s_delay_alu instid0(VALU_DEP_2) | instskip(NEXT) | instid1(VALU_DEP_1)
	v_and_b32_e32 v9, 0x7fffffff, v8
	v_cmpx_gt_u32_e32 0x43f00000, v9
	s_xor_b32 s2, exec_lo, s2
	s_cbranch_execz .LBB174_2878
; %bb.2873:
	s_mov_b32 s3, exec_lo
                                        ; implicit-def: $vgpr7
	v_cmpx_lt_u32_e32 0x3c7fffff, v9
	s_xor_b32 s3, exec_lo, s3
; %bb.2874:
	v_bfe_u32 v7, v5, 4, 1
	s_delay_alu instid0(VALU_DEP_1) | instskip(NEXT) | instid1(VALU_DEP_1)
	v_add3_u32 v7, v8, v7, 0x407ffff
	v_and_b32_e32 v8, 0xff00000, v7
	v_lshrrev_b32_e32 v7, 20, v7
	s_delay_alu instid0(VALU_DEP_2) | instskip(NEXT) | instid1(VALU_DEP_2)
	v_cmp_ne_u32_e32 vcc_lo, 0x7f00000, v8
                                        ; implicit-def: $vgpr8
	v_cndmask_b32_e32 v7, 0x7e, v7, vcc_lo
; %bb.2875:
	s_and_not1_saveexec_b32 s3, s3
; %bb.2876:
	v_add_f32_e64 v7, 0x46800000, |v8|
; %bb.2877:
	s_or_b32 exec_lo, exec_lo, s3
                                        ; implicit-def: $vgpr9
.LBB174_2878:
	s_and_not1_saveexec_b32 s2, s2
; %bb.2879:
	v_mov_b32_e32 v7, 0x7f
	v_cmp_lt_u32_e32 vcc_lo, 0x7f800000, v9
	s_delay_alu instid0(VALU_DEP_2)
	v_cndmask_b32_e32 v7, 0x7e, v7, vcc_lo
; %bb.2880:
	s_or_b32 exec_lo, exec_lo, s2
	v_lshrrev_b32_e32 v5, 8, v5
	s_delay_alu instid0(VALU_DEP_1)
	v_and_or_b32 v5, 0x80, v5, v7
	global_store_b8 v[0:1], v5, off
.LBB174_2881:
	s_mov_b32 s2, 0
.LBB174_2882:
	s_delay_alu instid0(SALU_CYCLE_1)
	s_and_not1_b32 vcc_lo, exec_lo, s2
	s_cbranch_vccnz .LBB174_2892
; %bb.2883:
	v_lshlrev_b32_e32 v8, 16, v4
	v_and_b32_e32 v5, 0xffff, v4
	s_mov_b32 s2, exec_lo
                                        ; implicit-def: $vgpr7
	s_delay_alu instid0(VALU_DEP_2) | instskip(NEXT) | instid1(VALU_DEP_1)
	v_and_b32_e32 v9, 0x7fffffff, v8
	v_cmpx_gt_u32_e32 0x47800000, v9
	s_xor_b32 s2, exec_lo, s2
	s_cbranch_execz .LBB174_2889
; %bb.2884:
	s_mov_b32 s3, exec_lo
                                        ; implicit-def: $vgpr7
	v_cmpx_lt_u32_e32 0x387fffff, v9
	s_xor_b32 s3, exec_lo, s3
; %bb.2885:
	v_bfe_u32 v7, v5, 5, 1
	s_delay_alu instid0(VALU_DEP_1) | instskip(NEXT) | instid1(VALU_DEP_1)
	v_add3_u32 v7, v8, v7, 0x80fffff
                                        ; implicit-def: $vgpr8
	v_lshrrev_b32_e32 v7, 21, v7
; %bb.2886:
	s_and_not1_saveexec_b32 s3, s3
; %bb.2887:
	v_add_f32_e64 v7, 0x43000000, |v8|
; %bb.2888:
	s_or_b32 exec_lo, exec_lo, s3
                                        ; implicit-def: $vgpr9
.LBB174_2889:
	s_and_not1_saveexec_b32 s2, s2
; %bb.2890:
	v_mov_b32_e32 v7, 0x7f
	v_cmp_lt_u32_e32 vcc_lo, 0x7f800000, v9
	s_delay_alu instid0(VALU_DEP_2)
	v_cndmask_b32_e32 v7, 0x7c, v7, vcc_lo
; %bb.2891:
	s_or_b32 exec_lo, exec_lo, s2
	v_lshrrev_b32_e32 v5, 8, v5
	s_delay_alu instid0(VALU_DEP_1)
	v_and_or_b32 v5, 0x80, v5, v7
	global_store_b8 v[0:1], v5, off
.LBB174_2892:
	s_mov_b32 s2, 0
	s_mov_b32 s3, -1
.LBB174_2893:
	s_and_not1_b32 vcc_lo, exec_lo, s2
	s_mov_b32 s2, 0
	s_cbranch_vccnz .LBB174_2900
; %bb.2894:
	v_cmp_lt_i16_e32 vcc_lo, 14, v6
	s_mov_b32 s2, -1
	s_cbranch_vccz .LBB174_2898
; %bb.2895:
	v_cmp_eq_u16_e32 vcc_lo, 15, v6
	s_mov_b32 s0, -1
	s_cbranch_vccz .LBB174_2897
; %bb.2896:
	s_mov_b32 s0, 0
	s_mov_b32 s3, -1
	global_store_b16 v[0:1], v4, off
.LBB174_2897:
	s_mov_b32 s2, 0
.LBB174_2898:
	s_delay_alu instid0(SALU_CYCLE_1)
	s_and_b32 vcc_lo, exec_lo, s2
	s_mov_b32 s2, 0
	s_cbranch_vccz .LBB174_2900
; %bb.2899:
	v_cmp_ne_u16_e64 s0, 11, v6
	s_mov_b32 s2, -1
.LBB174_2900:
	s_delay_alu instid0(VALU_DEP_1)
	s_and_b32 vcc_lo, exec_lo, s0
	s_cbranch_vccnz .LBB174_3089
; %bb.2901:
	s_and_not1_b32 vcc_lo, exec_lo, s2
	s_cbranch_vccnz .LBB174_2903
.LBB174_2902:
	v_and_b32_e32 v5, 0x7fff, v4
	s_mov_b32 s3, -1
	s_delay_alu instid0(VALU_DEP_1)
	v_cmp_ne_u16_e32 vcc_lo, 0, v5
	v_cndmask_b32_e64 v5, 0, 1, vcc_lo
	global_store_b8 v[0:1], v5, off
.LBB174_2903:
	s_mov_b32 s0, 0
	s_branch .LBB174_2905
.LBB174_2904:
	s_mov_b32 s0, -1
	s_mov_b32 s3, 0
.LBB174_2905:
	s_and_b32 vcc_lo, exec_lo, s0
	s_cbranch_vccz .LBB174_2944
; %bb.2906:
	v_cmp_gt_i16_e32 vcc_lo, 5, v6
	s_mov_b32 s0, -1
	s_cbranch_vccnz .LBB174_2927
; %bb.2907:
	v_cmp_gt_i16_e32 vcc_lo, 8, v6
	s_cbranch_vccnz .LBB174_2917
; %bb.2908:
	v_cmp_gt_i16_e32 vcc_lo, 9, v6
	s_cbranch_vccnz .LBB174_2914
; %bb.2909:
	v_cmp_lt_i16_e32 vcc_lo, 9, v6
	s_cbranch_vccz .LBB174_2911
; %bb.2910:
	v_mov_b32_e32 v9, 0
	v_lshlrev_b32_e32 v5, 16, v4
	s_mov_b32 s0, 0
	s_delay_alu instid0(VALU_DEP_2) | instskip(NEXT) | instid1(VALU_DEP_2)
	v_mov_b32_e32 v10, v9
	v_cvt_f64_f32_e32 v[7:8], v5
	global_store_b128 v[0:1], v[7:10], off
.LBB174_2911:
	s_and_not1_b32 vcc_lo, exec_lo, s0
	s_cbranch_vccnz .LBB174_2913
; %bb.2912:
	v_dual_mov_b32 v8, 0 :: v_dual_lshlrev_b32 v7, 16, v4
	global_store_b64 v[0:1], v[7:8], off
.LBB174_2913:
	s_mov_b32 s0, 0
.LBB174_2914:
	s_delay_alu instid0(SALU_CYCLE_1)
	s_and_not1_b32 vcc_lo, exec_lo, s0
	s_cbranch_vccnz .LBB174_2916
; %bb.2915:
	v_lshlrev_b32_e32 v5, 16, v4
	s_delay_alu instid0(VALU_DEP_1) | instskip(NEXT) | instid1(VALU_DEP_1)
	v_cvt_f16_f32_e32 v5, v5
	v_and_b32_e32 v5, 0xffff, v5
	global_store_b32 v[0:1], v5, off
.LBB174_2916:
	s_mov_b32 s0, 0
.LBB174_2917:
	s_delay_alu instid0(SALU_CYCLE_1)
	s_and_not1_b32 vcc_lo, exec_lo, s0
	s_cbranch_vccnz .LBB174_2926
; %bb.2918:
	v_cmp_gt_i16_e32 vcc_lo, 6, v6
	s_mov_b32 s0, -1
	s_cbranch_vccnz .LBB174_2924
; %bb.2919:
	v_cmp_lt_i16_e32 vcc_lo, 6, v6
	s_cbranch_vccz .LBB174_2921
; %bb.2920:
	v_lshlrev_b32_e32 v5, 16, v4
	s_mov_b32 s0, 0
	s_delay_alu instid0(VALU_DEP_1)
	v_cvt_f64_f32_e32 v[7:8], v5
	global_store_b64 v[0:1], v[7:8], off
.LBB174_2921:
	s_and_not1_b32 vcc_lo, exec_lo, s0
	s_cbranch_vccnz .LBB174_2923
; %bb.2922:
	v_lshlrev_b32_e32 v5, 16, v4
	global_store_b32 v[0:1], v5, off
.LBB174_2923:
	s_mov_b32 s0, 0
.LBB174_2924:
	s_delay_alu instid0(SALU_CYCLE_1)
	s_and_not1_b32 vcc_lo, exec_lo, s0
	s_cbranch_vccnz .LBB174_2926
; %bb.2925:
	v_lshlrev_b32_e32 v5, 16, v4
	s_delay_alu instid0(VALU_DEP_1)
	v_cvt_f16_f32_e32 v5, v5
	global_store_b16 v[0:1], v5, off
.LBB174_2926:
	s_mov_b32 s0, 0
.LBB174_2927:
	s_delay_alu instid0(SALU_CYCLE_1)
	s_and_not1_b32 vcc_lo, exec_lo, s0
	s_cbranch_vccnz .LBB174_2943
; %bb.2928:
	v_cmp_gt_i16_e32 vcc_lo, 2, v6
	s_mov_b32 s0, -1
	s_cbranch_vccnz .LBB174_2938
; %bb.2929:
	v_cmp_gt_i16_e32 vcc_lo, 3, v6
	s_cbranch_vccnz .LBB174_2935
; %bb.2930:
	v_cmp_lt_i16_e32 vcc_lo, 3, v6
	s_cbranch_vccz .LBB174_2932
; %bb.2931:
	v_lshlrev_b32_e32 v5, 16, v4
	s_mov_b32 s0, 0
	s_delay_alu instid0(VALU_DEP_1) | instskip(NEXT) | instid1(VALU_DEP_1)
	v_trunc_f32_e32 v5, v5
	v_mul_f32_e64 v7, 0x2f800000, |v5|
	s_delay_alu instid0(VALU_DEP_1) | instskip(NEXT) | instid1(VALU_DEP_1)
	v_floor_f32_e32 v7, v7
	v_fma_f32 v8, 0xcf800000, v7, |v5|
	v_ashrrev_i32_e32 v5, 31, v5
	v_cvt_u32_f32_e32 v7, v7
	s_delay_alu instid0(VALU_DEP_3) | instskip(NEXT) | instid1(VALU_DEP_2)
	v_cvt_u32_f32_e32 v8, v8
	v_xor_b32_e32 v9, v7, v5
	s_delay_alu instid0(VALU_DEP_2) | instskip(NEXT) | instid1(VALU_DEP_1)
	v_xor_b32_e32 v8, v8, v5
	v_sub_co_u32 v7, vcc_lo, v8, v5
	s_delay_alu instid0(VALU_DEP_3)
	v_sub_co_ci_u32_e32 v8, vcc_lo, v9, v5, vcc_lo
	global_store_b64 v[0:1], v[7:8], off
.LBB174_2932:
	s_and_not1_b32 vcc_lo, exec_lo, s0
	s_cbranch_vccnz .LBB174_2934
; %bb.2933:
	v_lshlrev_b32_e32 v5, 16, v4
	s_delay_alu instid0(VALU_DEP_1)
	v_cvt_i32_f32_e32 v5, v5
	global_store_b32 v[0:1], v5, off
.LBB174_2934:
	s_mov_b32 s0, 0
.LBB174_2935:
	s_delay_alu instid0(SALU_CYCLE_1)
	s_and_not1_b32 vcc_lo, exec_lo, s0
	s_cbranch_vccnz .LBB174_2937
; %bb.2936:
	v_lshlrev_b32_e32 v5, 16, v4
	s_delay_alu instid0(VALU_DEP_1)
	v_cvt_i32_f32_e32 v5, v5
	global_store_b16 v[0:1], v5, off
.LBB174_2937:
	s_mov_b32 s0, 0
.LBB174_2938:
	s_delay_alu instid0(SALU_CYCLE_1)
	s_and_not1_b32 vcc_lo, exec_lo, s0
	s_cbranch_vccnz .LBB174_2943
; %bb.2939:
	v_cmp_lt_i16_e32 vcc_lo, 0, v6
	s_mov_b32 s0, -1
	s_cbranch_vccz .LBB174_2941
; %bb.2940:
	v_lshlrev_b32_e32 v5, 16, v4
	s_mov_b32 s0, 0
	s_delay_alu instid0(VALU_DEP_1)
	v_cvt_i32_f32_e32 v5, v5
	global_store_b8 v[0:1], v5, off
.LBB174_2941:
	s_and_not1_b32 vcc_lo, exec_lo, s0
	s_cbranch_vccnz .LBB174_2943
; %bb.2942:
	v_lshlrev_b32_e32 v4, 16, v4
	s_delay_alu instid0(VALU_DEP_1) | instskip(NEXT) | instid1(VALU_DEP_1)
	v_trunc_f32_e32 v4, v4
	v_mul_f32_e64 v5, 0x2f800000, |v4|
	s_delay_alu instid0(VALU_DEP_1) | instskip(NEXT) | instid1(VALU_DEP_1)
	v_floor_f32_e32 v5, v5
	v_fma_f32 v5, 0xcf800000, v5, |v4|
	v_ashrrev_i32_e32 v4, 31, v4
	s_delay_alu instid0(VALU_DEP_2) | instskip(NEXT) | instid1(VALU_DEP_1)
	v_cvt_u32_f32_e32 v5, v5
	v_xor_b32_e32 v5, v5, v4
	s_delay_alu instid0(VALU_DEP_1)
	v_sub_nc_u32_e32 v4, v5, v4
	global_store_b8 v[0:1], v4, off
.LBB174_2943:
	s_mov_b32 s3, -1
.LBB174_2944:
	s_delay_alu instid0(SALU_CYCLE_1)
	s_and_not1_b32 vcc_lo, exec_lo, s3
	s_cbranch_vccnz .LBB174_3021
; %bb.2945:
	v_cvt_f32_ubyte0_e32 v0, v3
	v_lshlrev_b32_e32 v1, 16, v12
	v_cmp_gt_i16_e32 vcc_lo, 11, v6
	s_delay_alu instid0(VALU_DEP_2) | instskip(SKIP_1) | instid1(VALU_DEP_1)
	v_dual_mul_f32 v0, v1, v0 :: v_dual_add_nc_u32 v1, s1, v2
	s_and_b32 vcc_lo, exec_lo, vcc_lo
	v_mul_f32_e32 v3, s11, v0
	s_delay_alu instid0(VALU_DEP_2) | instskip(NEXT) | instid1(VALU_DEP_2)
	v_ashrrev_i32_e32 v2, 31, v1
	v_bfe_u32 v0, v3, 16, 1
	s_delay_alu instid0(VALU_DEP_1) | instskip(NEXT) | instid1(VALU_DEP_1)
	v_add3_u32 v0, v3, v0, 0x7fff
	v_lshrrev_b32_e32 v4, 16, v0
	v_add_co_u32 v0, s0, s4, v1
	s_delay_alu instid0(VALU_DEP_1) | instskip(SKIP_1) | instid1(VALU_DEP_1)
	v_add_co_ci_u32_e64 v1, s0, s5, v2, s0
	v_cmp_o_f32_e64 s0, v3, v3
	v_cndmask_b32_e64 v2, 0x7fc0, v4, s0
	s_cbranch_vccnz .LBB174_3066
; %bb.2946:
	v_cmp_lt_i16_e32 vcc_lo, 25, v6
	s_mov_b32 s2, -1
	s_mov_b32 s1, 0
	s_mov_b32 s0, 0
	s_cbranch_vccz .LBB174_2979
; %bb.2947:
	v_cmp_lt_i16_e32 vcc_lo, 28, v6
	s_cbranch_vccz .LBB174_2963
; %bb.2948:
	v_cmp_lt_i16_e32 vcc_lo, 43, v6
	;; [unrolled: 3-line block ×3, first 2 shown]
	s_cbranch_vccz .LBB174_2953
; %bb.2950:
	v_cmp_eq_u16_e32 vcc_lo, 46, v6
	s_mov_b32 s0, -1
	s_cbranch_vccz .LBB174_2952
; %bb.2951:
	v_and_b32_e32 v3, 0xffff, v2
	s_mov_b32 s0, 0
	global_store_b32 v[0:1], v3, off
.LBB174_2952:
	s_mov_b32 s2, 0
.LBB174_2953:
	s_delay_alu instid0(SALU_CYCLE_1)
	s_and_b32 vcc_lo, exec_lo, s2
	s_cbranch_vccz .LBB174_2958
; %bb.2954:
	v_cmp_eq_u16_e32 vcc_lo, 44, v6
	s_mov_b32 s0, -1
	s_cbranch_vccz .LBB174_2958
; %bb.2955:
	v_and_b32_e32 v3, 0xffff, v2
	v_mov_b32_e32 v4, 0xff
	s_mov_b32 s2, exec_lo
	s_delay_alu instid0(VALU_DEP_2) | instskip(NEXT) | instid1(VALU_DEP_1)
	v_bfe_u32 v5, v3, 7, 8
	v_cmpx_ne_u32_e32 0xff, v5
; %bb.2956:
	v_lshlrev_b32_e32 v4, 16, v3
	v_and_b32_e32 v7, 64, v3
	v_lshrrev_b32_e32 v3, 7, v3
	s_delay_alu instid0(VALU_DEP_3) | instskip(NEXT) | instid1(VALU_DEP_3)
	v_and_or_b32 v4, 0x3f0000, v4, v5
	v_cmp_ne_u32_e32 vcc_lo, 0, v7
	s_delay_alu instid0(VALU_DEP_2) | instskip(NEXT) | instid1(VALU_DEP_1)
	v_cmp_ne_u32_e64 s0, 0, v4
	s_and_b32 s0, vcc_lo, s0
	s_delay_alu instid0(SALU_CYCLE_1) | instskip(NEXT) | instid1(VALU_DEP_1)
	v_cndmask_b32_e64 v4, 0, 1, s0
	v_add_nc_u32_e32 v4, v3, v4
; %bb.2957:
	s_or_b32 exec_lo, exec_lo, s2
	s_mov_b32 s0, 0
	global_store_b8 v[0:1], v4, off
.LBB174_2958:
	s_mov_b32 s2, 0
.LBB174_2959:
	s_delay_alu instid0(SALU_CYCLE_1)
	s_and_b32 vcc_lo, exec_lo, s2
	s_cbranch_vccz .LBB174_2962
; %bb.2960:
	v_cmp_eq_u16_e32 vcc_lo, 29, v6
	s_mov_b32 s0, -1
	s_cbranch_vccz .LBB174_2962
; %bb.2961:
	v_lshlrev_b32_e32 v3, 16, v2
	s_mov_b32 s0, 0
	s_delay_alu instid0(VALU_DEP_1) | instskip(NEXT) | instid1(VALU_DEP_1)
	v_trunc_f32_e32 v3, v3
	v_mul_f32_e32 v4, 0x2f800000, v3
	s_delay_alu instid0(VALU_DEP_1) | instskip(NEXT) | instid1(VALU_DEP_1)
	v_floor_f32_e32 v4, v4
	v_fmamk_f32 v3, v4, 0xcf800000, v3
	v_cvt_u32_f32_e32 v4, v4
	s_delay_alu instid0(VALU_DEP_2)
	v_cvt_u32_f32_e32 v3, v3
	global_store_b64 v[0:1], v[3:4], off
.LBB174_2962:
	s_mov_b32 s2, 0
.LBB174_2963:
	s_delay_alu instid0(SALU_CYCLE_1)
	s_and_b32 vcc_lo, exec_lo, s2
	s_cbranch_vccz .LBB174_2978
; %bb.2964:
	v_cmp_gt_i16_e32 vcc_lo, 27, v6
	s_mov_b32 s2, -1
	s_cbranch_vccnz .LBB174_2970
; %bb.2965:
	v_cmp_lt_i16_e32 vcc_lo, 27, v6
	s_cbranch_vccz .LBB174_2967
; %bb.2966:
	v_lshlrev_b32_e32 v3, 16, v2
	s_mov_b32 s2, 0
	s_delay_alu instid0(VALU_DEP_1)
	v_cvt_u32_f32_e32 v3, v3
	global_store_b32 v[0:1], v3, off
.LBB174_2967:
	s_and_not1_b32 vcc_lo, exec_lo, s2
	s_cbranch_vccnz .LBB174_2969
; %bb.2968:
	v_lshlrev_b32_e32 v3, 16, v2
	s_delay_alu instid0(VALU_DEP_1)
	v_cvt_u32_f32_e32 v3, v3
	global_store_b16 v[0:1], v3, off
.LBB174_2969:
	s_mov_b32 s2, 0
.LBB174_2970:
	s_delay_alu instid0(SALU_CYCLE_1)
	s_and_not1_b32 vcc_lo, exec_lo, s2
	s_cbranch_vccnz .LBB174_2978
; %bb.2971:
	v_lshlrev_b32_e32 v5, 16, v2
	v_mov_b32_e32 v7, 0x80
	s_mov_b32 s2, exec_lo
	s_delay_alu instid0(VALU_DEP_2) | instskip(NEXT) | instid1(VALU_DEP_1)
	v_and_b32_e32 v4, 0x7fffffff, v5
	v_cmpx_gt_u32_e32 0x43800000, v4
	s_cbranch_execz .LBB174_2977
; %bb.2972:
	v_and_b32_e32 v3, 0xffff, v2
	v_cmp_lt_u32_e32 vcc_lo, 0x3bffffff, v4
	s_mov_b32 s3, 0
                                        ; implicit-def: $vgpr4
	s_and_saveexec_b32 s4, vcc_lo
	s_delay_alu instid0(SALU_CYCLE_1)
	s_xor_b32 s4, exec_lo, s4
	s_cbranch_execz .LBB174_3093
; %bb.2973:
	v_bfe_u32 v4, v3, 4, 1
	s_mov_b32 s3, exec_lo
	s_delay_alu instid0(VALU_DEP_1) | instskip(NEXT) | instid1(VALU_DEP_1)
	v_add3_u32 v4, v5, v4, 0x487ffff
                                        ; implicit-def: $vgpr5
	v_lshrrev_b32_e32 v4, 20, v4
	s_or_saveexec_b32 s4, s4
                                        ; implicit-def: $sgpr5
	s_delay_alu instid0(SALU_CYCLE_1)
	s_xor_b32 exec_lo, exec_lo, s4
	s_cbranch_execnz .LBB174_3094
.LBB174_2974:
	s_or_b32 exec_lo, exec_lo, s4
	v_mov_b32_e32 v7, s5
	s_and_saveexec_b32 s4, s3
.LBB174_2975:
	v_lshrrev_b32_e32 v3, 8, v3
	s_delay_alu instid0(VALU_DEP_1)
	v_and_or_b32 v7, 0x80, v3, v4
.LBB174_2976:
	s_or_b32 exec_lo, exec_lo, s4
.LBB174_2977:
	s_delay_alu instid0(SALU_CYCLE_1)
	s_or_b32 exec_lo, exec_lo, s2
	global_store_b8 v[0:1], v7, off
.LBB174_2978:
	s_mov_b32 s2, 0
.LBB174_2979:
	s_delay_alu instid0(SALU_CYCLE_1)
	s_and_b32 vcc_lo, exec_lo, s2
	s_cbranch_vccz .LBB174_3019
; %bb.2980:
	v_cmp_lt_i16_e32 vcc_lo, 22, v6
	s_mov_b32 s1, -1
	s_cbranch_vccz .LBB174_3012
; %bb.2981:
	v_cmp_gt_i16_e32 vcc_lo, 24, v6
	s_cbranch_vccnz .LBB174_3001
; %bb.2982:
	v_cmp_lt_i16_e32 vcc_lo, 24, v6
	s_cbranch_vccz .LBB174_2990
; %bb.2983:
	v_lshlrev_b32_e32 v5, 16, v2
	v_mov_b32_e32 v7, 0x80
	s_mov_b32 s1, exec_lo
	s_delay_alu instid0(VALU_DEP_2) | instskip(NEXT) | instid1(VALU_DEP_1)
	v_and_b32_e32 v4, 0x7fffffff, v5
	v_cmpx_gt_u32_e32 0x47800000, v4
	s_cbranch_execz .LBB174_2989
; %bb.2984:
	v_and_b32_e32 v3, 0xffff, v2
	v_cmp_lt_u32_e32 vcc_lo, 0x37ffffff, v4
	s_mov_b32 s2, 0
                                        ; implicit-def: $vgpr4
	s_and_saveexec_b32 s3, vcc_lo
	s_delay_alu instid0(SALU_CYCLE_1)
	s_xor_b32 s3, exec_lo, s3
	s_cbranch_execz .LBB174_3099
; %bb.2985:
	v_bfe_u32 v4, v3, 5, 1
	s_mov_b32 s2, exec_lo
	s_delay_alu instid0(VALU_DEP_1) | instskip(NEXT) | instid1(VALU_DEP_1)
	v_add3_u32 v4, v5, v4, 0x88fffff
                                        ; implicit-def: $vgpr5
	v_lshrrev_b32_e32 v4, 21, v4
	s_or_saveexec_b32 s3, s3
                                        ; implicit-def: $sgpr4
	s_delay_alu instid0(SALU_CYCLE_1)
	s_xor_b32 exec_lo, exec_lo, s3
	s_cbranch_execnz .LBB174_3100
.LBB174_2986:
	s_or_b32 exec_lo, exec_lo, s3
	v_mov_b32_e32 v7, s4
	s_and_saveexec_b32 s3, s2
.LBB174_2987:
	v_lshrrev_b32_e32 v3, 8, v3
	s_delay_alu instid0(VALU_DEP_1)
	v_and_or_b32 v7, 0x80, v3, v4
.LBB174_2988:
	s_or_b32 exec_lo, exec_lo, s3
.LBB174_2989:
	s_delay_alu instid0(SALU_CYCLE_1)
	s_or_b32 exec_lo, exec_lo, s1
	s_mov_b32 s1, 0
	global_store_b8 v[0:1], v7, off
.LBB174_2990:
	s_and_b32 vcc_lo, exec_lo, s1
	s_cbranch_vccz .LBB174_3000
; %bb.2991:
	v_lshlrev_b32_e32 v5, 16, v2
	v_and_b32_e32 v3, 0xffff, v2
	s_mov_b32 s1, exec_lo
                                        ; implicit-def: $vgpr4
	s_delay_alu instid0(VALU_DEP_2) | instskip(NEXT) | instid1(VALU_DEP_1)
	v_and_b32_e32 v7, 0x7fffffff, v5
	v_cmpx_gt_u32_e32 0x43f00000, v7
	s_xor_b32 s1, exec_lo, s1
	s_cbranch_execz .LBB174_2997
; %bb.2992:
	s_mov_b32 s2, exec_lo
                                        ; implicit-def: $vgpr4
	v_cmpx_lt_u32_e32 0x3c7fffff, v7
	s_xor_b32 s2, exec_lo, s2
; %bb.2993:
	v_bfe_u32 v4, v3, 4, 1
	s_delay_alu instid0(VALU_DEP_1) | instskip(NEXT) | instid1(VALU_DEP_1)
	v_add3_u32 v4, v5, v4, 0x407ffff
	v_and_b32_e32 v5, 0xff00000, v4
	v_lshrrev_b32_e32 v4, 20, v4
	s_delay_alu instid0(VALU_DEP_2) | instskip(NEXT) | instid1(VALU_DEP_2)
	v_cmp_ne_u32_e32 vcc_lo, 0x7f00000, v5
                                        ; implicit-def: $vgpr5
	v_cndmask_b32_e32 v4, 0x7e, v4, vcc_lo
; %bb.2994:
	s_and_not1_saveexec_b32 s2, s2
; %bb.2995:
	v_add_f32_e64 v4, 0x46800000, |v5|
; %bb.2996:
	s_or_b32 exec_lo, exec_lo, s2
                                        ; implicit-def: $vgpr7
.LBB174_2997:
	s_and_not1_saveexec_b32 s1, s1
; %bb.2998:
	v_mov_b32_e32 v4, 0x7f
	v_cmp_lt_u32_e32 vcc_lo, 0x7f800000, v7
	s_delay_alu instid0(VALU_DEP_2)
	v_cndmask_b32_e32 v4, 0x7e, v4, vcc_lo
; %bb.2999:
	s_or_b32 exec_lo, exec_lo, s1
	v_lshrrev_b32_e32 v3, 8, v3
	s_delay_alu instid0(VALU_DEP_1)
	v_and_or_b32 v3, 0x80, v3, v4
	global_store_b8 v[0:1], v3, off
.LBB174_3000:
	s_mov_b32 s1, 0
.LBB174_3001:
	s_delay_alu instid0(SALU_CYCLE_1)
	s_and_not1_b32 vcc_lo, exec_lo, s1
	s_cbranch_vccnz .LBB174_3011
; %bb.3002:
	v_lshlrev_b32_e32 v5, 16, v2
	v_and_b32_e32 v3, 0xffff, v2
	s_mov_b32 s1, exec_lo
                                        ; implicit-def: $vgpr4
	s_delay_alu instid0(VALU_DEP_2) | instskip(NEXT) | instid1(VALU_DEP_1)
	v_and_b32_e32 v7, 0x7fffffff, v5
	v_cmpx_gt_u32_e32 0x47800000, v7
	s_xor_b32 s1, exec_lo, s1
	s_cbranch_execz .LBB174_3008
; %bb.3003:
	s_mov_b32 s2, exec_lo
                                        ; implicit-def: $vgpr4
	v_cmpx_lt_u32_e32 0x387fffff, v7
	s_xor_b32 s2, exec_lo, s2
; %bb.3004:
	v_bfe_u32 v4, v3, 5, 1
	s_delay_alu instid0(VALU_DEP_1) | instskip(NEXT) | instid1(VALU_DEP_1)
	v_add3_u32 v4, v5, v4, 0x80fffff
                                        ; implicit-def: $vgpr5
	v_lshrrev_b32_e32 v4, 21, v4
; %bb.3005:
	s_and_not1_saveexec_b32 s2, s2
; %bb.3006:
	v_add_f32_e64 v4, 0x43000000, |v5|
; %bb.3007:
	s_or_b32 exec_lo, exec_lo, s2
                                        ; implicit-def: $vgpr7
.LBB174_3008:
	s_and_not1_saveexec_b32 s1, s1
; %bb.3009:
	v_mov_b32_e32 v4, 0x7f
	v_cmp_lt_u32_e32 vcc_lo, 0x7f800000, v7
	s_delay_alu instid0(VALU_DEP_2)
	v_cndmask_b32_e32 v4, 0x7c, v4, vcc_lo
; %bb.3010:
	s_or_b32 exec_lo, exec_lo, s1
	v_lshrrev_b32_e32 v3, 8, v3
	s_delay_alu instid0(VALU_DEP_1)
	v_and_or_b32 v3, 0x80, v3, v4
	global_store_b8 v[0:1], v3, off
.LBB174_3011:
	s_mov_b32 s1, 0
.LBB174_3012:
	s_delay_alu instid0(SALU_CYCLE_1)
	s_and_not1_b32 vcc_lo, exec_lo, s1
	s_mov_b32 s1, 0
	s_cbranch_vccnz .LBB174_3019
; %bb.3013:
	v_cmp_lt_i16_e32 vcc_lo, 14, v6
	s_mov_b32 s1, -1
	s_cbranch_vccz .LBB174_3017
; %bb.3014:
	v_cmp_eq_u16_e32 vcc_lo, 15, v6
	s_mov_b32 s0, -1
	s_cbranch_vccz .LBB174_3016
; %bb.3015:
	s_mov_b32 s0, 0
	global_store_b16 v[0:1], v2, off
.LBB174_3016:
	s_mov_b32 s1, 0
.LBB174_3017:
	s_delay_alu instid0(SALU_CYCLE_1)
	s_and_b32 vcc_lo, exec_lo, s1
	s_mov_b32 s1, 0
	s_cbranch_vccz .LBB174_3019
; %bb.3018:
	v_cmp_ne_u16_e64 s0, 11, v6
	s_mov_b32 s1, -1
.LBB174_3019:
	s_delay_alu instid0(VALU_DEP_1)
	s_and_b32 vcc_lo, exec_lo, s0
	s_cbranch_vccnz .LBB174_3097
.LBB174_3020:
	s_mov_b32 s0, 0
	s_branch .LBB174_3022
.LBB174_3021:
	s_mov_b32 s0, 0
	s_mov_b32 s1, 0
                                        ; implicit-def: $vgpr6
                                        ; implicit-def: $vgpr0_vgpr1
                                        ; implicit-def: $vgpr2
.LBB174_3022:
	s_and_not1_b32 s2, s16, exec_lo
	s_and_b32 s3, s13, exec_lo
	s_and_b32 s0, s0, exec_lo
	;; [unrolled: 1-line block ×3, first 2 shown]
	s_or_b32 s16, s2, s3
.LBB174_3023:
	s_or_b32 exec_lo, exec_lo, s15
	s_and_saveexec_b32 s1, s16
	s_cbranch_execz .LBB174_3026
; %bb.3024:
	; divergent unreachable
	s_or_b32 exec_lo, exec_lo, s1
	s_and_saveexec_b32 s1, s13
	s_delay_alu instid0(SALU_CYCLE_1)
	s_xor_b32 s1, exec_lo, s1
	s_cbranch_execnz .LBB174_3027
.LBB174_3025:
	s_or_b32 exec_lo, exec_lo, s1
	s_and_saveexec_b32 s1, s0
	s_cbranch_execnz .LBB174_3028
	s_branch .LBB174_3065
.LBB174_3026:
	s_or_b32 exec_lo, exec_lo, s1
	s_and_saveexec_b32 s1, s13
	s_delay_alu instid0(SALU_CYCLE_1)
	s_xor_b32 s1, exec_lo, s1
	s_cbranch_execz .LBB174_3025
.LBB174_3027:
	s_waitcnt vmcnt(0)
	s_delay_alu instid0(VALU_DEP_1) | instskip(NEXT) | instid1(VALU_DEP_1)
	v_and_b32_e32 v3, 0x7fff, v2
	v_cmp_ne_u16_e32 vcc_lo, 0, v3
	v_cndmask_b32_e64 v3, 0, 1, vcc_lo
	global_store_b8 v[0:1], v3, off
	s_or_b32 exec_lo, exec_lo, s1
	s_and_saveexec_b32 s1, s0
	s_cbranch_execz .LBB174_3065
.LBB174_3028:
	v_cmp_gt_i16_e32 vcc_lo, 5, v6
	s_mov_b32 s0, -1
	s_cbranch_vccnz .LBB174_3049
; %bb.3029:
	v_cmp_gt_i16_e32 vcc_lo, 8, v6
	s_cbranch_vccnz .LBB174_3039
; %bb.3030:
	v_cmp_gt_i16_e32 vcc_lo, 9, v6
	s_cbranch_vccnz .LBB174_3036
; %bb.3031:
	v_cmp_lt_i16_e32 vcc_lo, 9, v6
	s_cbranch_vccz .LBB174_3033
; %bb.3032:
	v_mov_b32_e32 v9, 0
	s_waitcnt vmcnt(0)
	v_lshlrev_b32_e32 v3, 16, v2
	s_mov_b32 s0, 0
	s_delay_alu instid0(VALU_DEP_2) | instskip(NEXT) | instid1(VALU_DEP_2)
	v_mov_b32_e32 v10, v9
	v_cvt_f64_f32_e32 v[7:8], v3
	global_store_b128 v[0:1], v[7:10], off
.LBB174_3033:
	s_and_not1_b32 vcc_lo, exec_lo, s0
	s_cbranch_vccnz .LBB174_3035
; %bb.3034:
	s_waitcnt vmcnt(0)
	v_dual_mov_b32 v4, 0 :: v_dual_lshlrev_b32 v3, 16, v2
	global_store_b64 v[0:1], v[3:4], off
.LBB174_3035:
	s_mov_b32 s0, 0
.LBB174_3036:
	s_delay_alu instid0(SALU_CYCLE_1)
	s_and_not1_b32 vcc_lo, exec_lo, s0
	s_cbranch_vccnz .LBB174_3038
; %bb.3037:
	s_waitcnt vmcnt(0)
	v_lshlrev_b32_e32 v3, 16, v2
	s_delay_alu instid0(VALU_DEP_1) | instskip(NEXT) | instid1(VALU_DEP_1)
	v_cvt_f16_f32_e32 v3, v3
	v_and_b32_e32 v3, 0xffff, v3
	global_store_b32 v[0:1], v3, off
.LBB174_3038:
	s_mov_b32 s0, 0
.LBB174_3039:
	s_delay_alu instid0(SALU_CYCLE_1)
	s_and_not1_b32 vcc_lo, exec_lo, s0
	s_cbranch_vccnz .LBB174_3048
; %bb.3040:
	v_cmp_gt_i16_e32 vcc_lo, 6, v6
	s_mov_b32 s0, -1
	s_cbranch_vccnz .LBB174_3046
; %bb.3041:
	v_cmp_lt_i16_e32 vcc_lo, 6, v6
	s_cbranch_vccz .LBB174_3043
; %bb.3042:
	s_waitcnt vmcnt(0)
	v_lshlrev_b32_e32 v3, 16, v2
	s_mov_b32 s0, 0
	s_delay_alu instid0(VALU_DEP_1)
	v_cvt_f64_f32_e32 v[3:4], v3
	global_store_b64 v[0:1], v[3:4], off
.LBB174_3043:
	s_and_not1_b32 vcc_lo, exec_lo, s0
	s_cbranch_vccnz .LBB174_3045
; %bb.3044:
	s_waitcnt vmcnt(0)
	v_lshlrev_b32_e32 v3, 16, v2
	global_store_b32 v[0:1], v3, off
.LBB174_3045:
	s_mov_b32 s0, 0
.LBB174_3046:
	s_delay_alu instid0(SALU_CYCLE_1)
	s_and_not1_b32 vcc_lo, exec_lo, s0
	s_cbranch_vccnz .LBB174_3048
; %bb.3047:
	s_waitcnt vmcnt(0)
	v_lshlrev_b32_e32 v3, 16, v2
	s_delay_alu instid0(VALU_DEP_1)
	v_cvt_f16_f32_e32 v3, v3
	global_store_b16 v[0:1], v3, off
.LBB174_3048:
	s_mov_b32 s0, 0
.LBB174_3049:
	s_delay_alu instid0(SALU_CYCLE_1)
	s_and_not1_b32 vcc_lo, exec_lo, s0
	s_cbranch_vccnz .LBB174_3065
; %bb.3050:
	v_cmp_gt_i16_e32 vcc_lo, 2, v6
	s_mov_b32 s0, -1
	s_cbranch_vccnz .LBB174_3060
; %bb.3051:
	v_cmp_gt_i16_e32 vcc_lo, 3, v6
	s_cbranch_vccnz .LBB174_3057
; %bb.3052:
	v_cmp_lt_i16_e32 vcc_lo, 3, v6
	s_cbranch_vccz .LBB174_3054
; %bb.3053:
	s_waitcnt vmcnt(0)
	v_lshlrev_b32_e32 v3, 16, v2
	s_mov_b32 s0, 0
	s_delay_alu instid0(VALU_DEP_1) | instskip(NEXT) | instid1(VALU_DEP_1)
	v_trunc_f32_e32 v3, v3
	v_mul_f32_e64 v4, 0x2f800000, |v3|
	v_ashrrev_i32_e32 v7, 31, v3
	s_delay_alu instid0(VALU_DEP_2) | instskip(NEXT) | instid1(VALU_DEP_1)
	v_floor_f32_e32 v4, v4
	v_fma_f32 v5, 0xcf800000, v4, |v3|
	v_cvt_u32_f32_e32 v4, v4
	s_delay_alu instid0(VALU_DEP_2) | instskip(NEXT) | instid1(VALU_DEP_2)
	v_cvt_u32_f32_e32 v3, v5
	v_xor_b32_e32 v4, v4, v7
	s_delay_alu instid0(VALU_DEP_2) | instskip(NEXT) | instid1(VALU_DEP_1)
	v_xor_b32_e32 v3, v3, v7
	v_sub_co_u32 v3, vcc_lo, v3, v7
	s_delay_alu instid0(VALU_DEP_3)
	v_sub_co_ci_u32_e32 v4, vcc_lo, v4, v7, vcc_lo
	global_store_b64 v[0:1], v[3:4], off
.LBB174_3054:
	s_and_not1_b32 vcc_lo, exec_lo, s0
	s_cbranch_vccnz .LBB174_3056
; %bb.3055:
	s_waitcnt vmcnt(0)
	v_lshlrev_b32_e32 v3, 16, v2
	s_delay_alu instid0(VALU_DEP_1)
	v_cvt_i32_f32_e32 v3, v3
	global_store_b32 v[0:1], v3, off
.LBB174_3056:
	s_mov_b32 s0, 0
.LBB174_3057:
	s_delay_alu instid0(SALU_CYCLE_1)
	s_and_not1_b32 vcc_lo, exec_lo, s0
	s_cbranch_vccnz .LBB174_3059
; %bb.3058:
	s_waitcnt vmcnt(0)
	v_lshlrev_b32_e32 v3, 16, v2
	s_delay_alu instid0(VALU_DEP_1)
	v_cvt_i32_f32_e32 v3, v3
	global_store_b16 v[0:1], v3, off
.LBB174_3059:
	s_mov_b32 s0, 0
.LBB174_3060:
	s_delay_alu instid0(SALU_CYCLE_1)
	s_and_not1_b32 vcc_lo, exec_lo, s0
	s_cbranch_vccnz .LBB174_3065
; %bb.3061:
	v_cmp_lt_i16_e32 vcc_lo, 0, v6
	s_waitcnt vmcnt(0)
	v_lshlrev_b32_e32 v2, 16, v2
	s_mov_b32 s0, -1
	s_cbranch_vccz .LBB174_3063
; %bb.3062:
	s_delay_alu instid0(VALU_DEP_1)
	v_cvt_i32_f32_e32 v3, v2
	s_mov_b32 s0, 0
	global_store_b8 v[0:1], v3, off
.LBB174_3063:
	s_and_not1_b32 vcc_lo, exec_lo, s0
	s_cbranch_vccnz .LBB174_3065
; %bb.3064:
	v_trunc_f32_e32 v2, v2
	s_delay_alu instid0(VALU_DEP_1) | instskip(NEXT) | instid1(VALU_DEP_1)
	v_mul_f32_e64 v3, 0x2f800000, |v2|
	v_floor_f32_e32 v3, v3
	s_delay_alu instid0(VALU_DEP_1) | instskip(SKIP_1) | instid1(VALU_DEP_2)
	v_fma_f32 v3, 0xcf800000, v3, |v2|
	v_ashrrev_i32_e32 v2, 31, v2
	v_cvt_u32_f32_e32 v3, v3
	s_delay_alu instid0(VALU_DEP_1) | instskip(NEXT) | instid1(VALU_DEP_1)
	v_xor_b32_e32 v3, v3, v2
	v_sub_nc_u32_e32 v2, v3, v2
	global_store_b8 v[0:1], v2, off
	s_nop 0
	s_sendmsg sendmsg(MSG_DEALLOC_VGPRS)
	s_endpgm
.LBB174_3065:
	s_nop 0
	s_sendmsg sendmsg(MSG_DEALLOC_VGPRS)
	s_endpgm
.LBB174_3066:
	s_mov_b32 s1, 0
	s_mov_b32 s0, -1
	s_branch .LBB174_3022
.LBB174_3067:
	s_cbranch_execnz .LBB174_3071
; %bb.3068:
	s_or_b32 s13, s13, exec_lo
                                        ; implicit-def: $vgpr3
	s_cbranch_execz .LBB174_2536
	s_branch .LBB174_2537
.LBB174_3069:
	s_or_saveexec_b32 s6, s6
                                        ; implicit-def: $sgpr7
	s_delay_alu instid0(SALU_CYCLE_1)
	s_xor_b32 exec_lo, exec_lo, s6
	s_cbranch_execz .LBB174_2616
.LBB174_3070:
	v_add_f32_e64 v9, 0x46000000, |v13|
	s_and_not1_b32 s3, s3, exec_lo
	s_mov_b32 s7, 0
	s_delay_alu instid0(VALU_DEP_1) | instskip(NEXT) | instid1(VALU_DEP_1)
	v_and_b32_e32 v9, 0xff, v9
	v_cmp_ne_u32_e32 vcc_lo, 0, v9
	s_and_b32 s9, vcc_lo, exec_lo
	s_delay_alu instid0(SALU_CYCLE_1)
	s_or_b32 s3, s3, s9
	s_or_b32 exec_lo, exec_lo, s6
	v_mov_b32_e32 v14, s7
	s_and_saveexec_b32 s6, s3
	s_cbranch_execnz .LBB174_2617
	s_branch .LBB174_2618
.LBB174_3071:
	s_trap 2
	s_sendmsg_rtn_b32 s0, sendmsg(MSG_RTN_GET_DOORBELL)
	s_mov_b32 ttmp2, m0
	s_waitcnt lgkmcnt(0)
	s_and_b32 s0, s0, 0x3ff
	s_delay_alu instid0(SALU_CYCLE_1) | instskip(NEXT) | instid1(SALU_CYCLE_1)
	s_bitset1_b32 s0, 10
	s_mov_b32 m0, s0
	s_sendmsg sendmsg(MSG_INTERRUPT)
	s_mov_b32 m0, ttmp2
.LBB174_3072:                           ; =>This Inner Loop Header: Depth=1
	s_sethalt 5
	s_branch .LBB174_3072
.LBB174_3073:
	s_cbranch_execnz .LBB174_3079
; %bb.3074:
	s_or_b32 s13, s13, exec_lo
	s_cbranch_execz .LBB174_2664
	s_branch .LBB174_2665
.LBB174_3075:
	s_or_saveexec_b32 s3, s3
                                        ; implicit-def: $sgpr6
	s_delay_alu instid0(SALU_CYCLE_1)
	s_xor_b32 exec_lo, exec_lo, s3
	s_cbranch_execz .LBB174_2629
.LBB174_3076:
	v_add_f32_e64 v9, 0x42800000, |v13|
	s_and_not1_b32 s2, s2, exec_lo
	s_mov_b32 s6, 0
	s_delay_alu instid0(VALU_DEP_1) | instskip(NEXT) | instid1(VALU_DEP_1)
	v_and_b32_e32 v9, 0xff, v9
	v_cmp_ne_u32_e32 vcc_lo, 0, v9
	s_and_b32 s7, vcc_lo, exec_lo
	s_delay_alu instid0(SALU_CYCLE_1)
	s_or_b32 s2, s2, s7
	s_or_b32 exec_lo, exec_lo, s3
	v_mov_b32_e32 v14, s6
	s_and_saveexec_b32 s3, s2
	s_cbranch_execnz .LBB174_2630
	s_branch .LBB174_2631
.LBB174_3077:
	s_or_saveexec_b32 s7, s7
                                        ; implicit-def: $sgpr8
	s_delay_alu instid0(SALU_CYCLE_1)
	s_xor_b32 exec_lo, exec_lo, s7
	s_cbranch_execz .LBB174_2735
.LBB174_3078:
	v_add_f32_e64 v8, 0x46000000, |v9|
	s_and_not1_b32 s6, s6, exec_lo
	s_mov_b32 s8, 0
	s_delay_alu instid0(VALU_DEP_1) | instskip(NEXT) | instid1(VALU_DEP_1)
	v_and_b32_e32 v8, 0xff, v8
	v_cmp_ne_u32_e32 vcc_lo, 0, v8
	s_and_b32 s9, vcc_lo, exec_lo
	s_delay_alu instid0(SALU_CYCLE_1)
	s_or_b32 s6, s6, s9
	s_or_b32 exec_lo, exec_lo, s7
	v_mov_b32_e32 v10, s8
	s_and_saveexec_b32 s7, s6
	s_cbranch_execnz .LBB174_2736
	s_branch .LBB174_2737
.LBB174_3079:
	s_trap 2
	s_sendmsg_rtn_b32 s0, sendmsg(MSG_RTN_GET_DOORBELL)
	s_mov_b32 ttmp2, m0
	s_waitcnt lgkmcnt(0)
	s_and_b32 s0, s0, 0x3ff
	s_delay_alu instid0(SALU_CYCLE_1) | instskip(NEXT) | instid1(SALU_CYCLE_1)
	s_bitset1_b32 s0, 10
	s_mov_b32 m0, s0
	s_sendmsg sendmsg(MSG_INTERRUPT)
	s_mov_b32 m0, ttmp2
.LBB174_3080:                           ; =>This Inner Loop Header: Depth=1
	s_sethalt 5
	s_branch .LBB174_3080
.LBB174_3081:
	s_cbranch_execnz .LBB174_3087
; %bb.3082:
	s_or_b32 s13, s13, exec_lo
	s_cbranch_execz .LBB174_2783
	s_branch .LBB174_2784
.LBB174_3083:
	s_or_saveexec_b32 s6, s6
                                        ; implicit-def: $sgpr7
	s_delay_alu instid0(SALU_CYCLE_1)
	s_xor_b32 exec_lo, exec_lo, s6
	s_cbranch_execz .LBB174_2748
.LBB174_3084:
	v_add_f32_e64 v8, 0x42800000, |v9|
	s_and_not1_b32 s3, s3, exec_lo
	s_mov_b32 s7, 0
	s_delay_alu instid0(VALU_DEP_1) | instskip(NEXT) | instid1(VALU_DEP_1)
	v_and_b32_e32 v8, 0xff, v8
	v_cmp_ne_u32_e32 vcc_lo, 0, v8
	s_and_b32 s8, vcc_lo, exec_lo
	s_delay_alu instid0(SALU_CYCLE_1)
	s_or_b32 s3, s3, s8
	s_or_b32 exec_lo, exec_lo, s6
	v_mov_b32_e32 v10, s7
	s_and_saveexec_b32 s6, s3
	s_cbranch_execnz .LBB174_2749
	s_branch .LBB174_2750
.LBB174_3085:
	s_or_saveexec_b32 s7, s7
                                        ; implicit-def: $sgpr8
	s_delay_alu instid0(SALU_CYCLE_1)
	s_xor_b32 exec_lo, exec_lo, s7
	s_cbranch_execz .LBB174_2854
.LBB174_3086:
	v_add_f32_e64 v7, 0x46000000, |v8|
	s_and_not1_b32 s6, s6, exec_lo
	s_mov_b32 s8, 0
	s_delay_alu instid0(VALU_DEP_1) | instskip(NEXT) | instid1(VALU_DEP_1)
	v_and_b32_e32 v7, 0xff, v7
	v_cmp_ne_u32_e32 vcc_lo, 0, v7
	s_and_b32 s9, vcc_lo, exec_lo
	s_delay_alu instid0(SALU_CYCLE_1)
	s_or_b32 s6, s6, s9
	s_or_b32 exec_lo, exec_lo, s7
	v_mov_b32_e32 v9, s8
	s_and_saveexec_b32 s7, s6
	s_cbranch_execnz .LBB174_2855
	s_branch .LBB174_2856
.LBB174_3087:
	s_trap 2
	s_sendmsg_rtn_b32 s0, sendmsg(MSG_RTN_GET_DOORBELL)
	s_mov_b32 ttmp2, m0
	s_waitcnt lgkmcnt(0)
	s_and_b32 s0, s0, 0x3ff
	s_delay_alu instid0(SALU_CYCLE_1) | instskip(NEXT) | instid1(SALU_CYCLE_1)
	s_bitset1_b32 s0, 10
	s_mov_b32 m0, s0
	s_sendmsg sendmsg(MSG_INTERRUPT)
	s_mov_b32 m0, ttmp2
.LBB174_3088:                           ; =>This Inner Loop Header: Depth=1
	s_sethalt 5
	s_branch .LBB174_3088
.LBB174_3089:
	s_cbranch_execnz .LBB174_3095
; %bb.3090:
	s_or_b32 s13, s13, exec_lo
	s_cbranch_execz .LBB174_2902
	s_branch .LBB174_2903
.LBB174_3091:
	s_or_saveexec_b32 s6, s6
                                        ; implicit-def: $sgpr7
	s_delay_alu instid0(SALU_CYCLE_1)
	s_xor_b32 exec_lo, exec_lo, s6
	s_cbranch_execz .LBB174_2867
.LBB174_3092:
	v_add_f32_e64 v7, 0x42800000, |v8|
	s_and_not1_b32 s3, s3, exec_lo
	s_mov_b32 s7, 0
	s_delay_alu instid0(VALU_DEP_1) | instskip(NEXT) | instid1(VALU_DEP_1)
	v_and_b32_e32 v7, 0xff, v7
	v_cmp_ne_u32_e32 vcc_lo, 0, v7
	s_and_b32 s8, vcc_lo, exec_lo
	s_delay_alu instid0(SALU_CYCLE_1)
	s_or_b32 s3, s3, s8
	s_or_b32 exec_lo, exec_lo, s6
	v_mov_b32_e32 v9, s7
	s_and_saveexec_b32 s6, s3
	s_cbranch_execnz .LBB174_2868
	s_branch .LBB174_2869
.LBB174_3093:
	s_or_saveexec_b32 s4, s4
                                        ; implicit-def: $sgpr5
	s_delay_alu instid0(SALU_CYCLE_1)
	s_xor_b32 exec_lo, exec_lo, s4
	s_cbranch_execz .LBB174_2974
.LBB174_3094:
	v_add_f32_e64 v4, 0x46000000, |v5|
	s_and_not1_b32 s3, s3, exec_lo
	s_mov_b32 s5, 0
	s_delay_alu instid0(VALU_DEP_1) | instskip(NEXT) | instid1(VALU_DEP_1)
	v_and_b32_e32 v4, 0xff, v4
	v_cmp_ne_u32_e32 vcc_lo, 0, v4
	s_and_b32 s6, vcc_lo, exec_lo
	s_delay_alu instid0(SALU_CYCLE_1)
	s_or_b32 s3, s3, s6
	s_or_b32 exec_lo, exec_lo, s4
	v_mov_b32_e32 v7, s5
	s_and_saveexec_b32 s4, s3
	s_cbranch_execnz .LBB174_2975
	s_branch .LBB174_2976
.LBB174_3095:
	s_trap 2
	s_sendmsg_rtn_b32 s0, sendmsg(MSG_RTN_GET_DOORBELL)
	s_mov_b32 ttmp2, m0
	s_waitcnt lgkmcnt(0)
	s_and_b32 s0, s0, 0x3ff
	s_delay_alu instid0(SALU_CYCLE_1) | instskip(NEXT) | instid1(SALU_CYCLE_1)
	s_bitset1_b32 s0, 10
	s_mov_b32 m0, s0
	s_sendmsg sendmsg(MSG_INTERRUPT)
	s_mov_b32 m0, ttmp2
.LBB174_3096:                           ; =>This Inner Loop Header: Depth=1
	s_sethalt 5
	s_branch .LBB174_3096
.LBB174_3097:
	s_cbranch_execnz .LBB174_3101
; %bb.3098:
	s_mov_b32 s1, 0
	s_or_b32 s13, s13, exec_lo
	s_branch .LBB174_3020
.LBB174_3099:
	s_or_saveexec_b32 s3, s3
                                        ; implicit-def: $sgpr4
	s_delay_alu instid0(SALU_CYCLE_1)
	s_xor_b32 exec_lo, exec_lo, s3
	s_cbranch_execz .LBB174_2986
.LBB174_3100:
	v_add_f32_e64 v4, 0x42800000, |v5|
	s_and_not1_b32 s2, s2, exec_lo
	s_mov_b32 s4, 0
	s_delay_alu instid0(VALU_DEP_1) | instskip(NEXT) | instid1(VALU_DEP_1)
	v_and_b32_e32 v4, 0xff, v4
	v_cmp_ne_u32_e32 vcc_lo, 0, v4
	s_and_b32 s5, vcc_lo, exec_lo
	s_delay_alu instid0(SALU_CYCLE_1)
	s_or_b32 s2, s2, s5
	s_or_b32 exec_lo, exec_lo, s3
	v_mov_b32_e32 v7, s4
	s_and_saveexec_b32 s3, s2
	s_cbranch_execnz .LBB174_2987
	s_branch .LBB174_2988
.LBB174_3101:
	s_trap 2
	s_sendmsg_rtn_b32 s0, sendmsg(MSG_RTN_GET_DOORBELL)
	s_mov_b32 ttmp2, m0
	s_waitcnt lgkmcnt(0)
	s_and_b32 s0, s0, 0x3ff
	s_delay_alu instid0(SALU_CYCLE_1) | instskip(NEXT) | instid1(SALU_CYCLE_1)
	s_bitset1_b32 s0, 10
	s_mov_b32 m0, s0
	s_sendmsg sendmsg(MSG_INTERRUPT)
	s_mov_b32 m0, ttmp2
.LBB174_3102:                           ; =>This Inner Loop Header: Depth=1
	s_sethalt 5
	s_branch .LBB174_3102
	.section	.rodata,"a",@progbits
	.p2align	6, 0x0
	.amdhsa_kernel _ZN2at6native32elementwise_kernel_manual_unrollILi128ELi4EZNS0_15gpu_kernel_implIZNS0_12_GLOBAL__N_119masked_scale_kernelIhN3c108BFloat16EfEEvRNS_6TensorERKS7_SA_T1_EUlS6_hE_EEvRNS_18TensorIteratorBaseERKT_EUlibE_EEviSB_
		.amdhsa_group_segment_fixed_size 0
		.amdhsa_private_segment_fixed_size 0
		.amdhsa_kernarg_size 56
		.amdhsa_user_sgpr_count 15
		.amdhsa_user_sgpr_dispatch_ptr 0
		.amdhsa_user_sgpr_queue_ptr 0
		.amdhsa_user_sgpr_kernarg_segment_ptr 1
		.amdhsa_user_sgpr_dispatch_id 0
		.amdhsa_user_sgpr_private_segment_size 0
		.amdhsa_wavefront_size32 1
		.amdhsa_uses_dynamic_stack 0
		.amdhsa_enable_private_segment 0
		.amdhsa_system_sgpr_workgroup_id_x 1
		.amdhsa_system_sgpr_workgroup_id_y 0
		.amdhsa_system_sgpr_workgroup_id_z 0
		.amdhsa_system_sgpr_workgroup_info 0
		.amdhsa_system_vgpr_workitem_id 0
		.amdhsa_next_free_vgpr 17
		.amdhsa_next_free_sgpr 35
		.amdhsa_reserve_vcc 1
		.amdhsa_float_round_mode_32 0
		.amdhsa_float_round_mode_16_64 0
		.amdhsa_float_denorm_mode_32 3
		.amdhsa_float_denorm_mode_16_64 3
		.amdhsa_dx10_clamp 1
		.amdhsa_ieee_mode 1
		.amdhsa_fp16_overflow 0
		.amdhsa_workgroup_processor_mode 1
		.amdhsa_memory_ordered 1
		.amdhsa_forward_progress 0
		.amdhsa_shared_vgpr_count 0
		.amdhsa_exception_fp_ieee_invalid_op 0
		.amdhsa_exception_fp_denorm_src 0
		.amdhsa_exception_fp_ieee_div_zero 0
		.amdhsa_exception_fp_ieee_overflow 0
		.amdhsa_exception_fp_ieee_underflow 0
		.amdhsa_exception_fp_ieee_inexact 0
		.amdhsa_exception_int_div_zero 0
	.end_amdhsa_kernel
	.section	.text._ZN2at6native32elementwise_kernel_manual_unrollILi128ELi4EZNS0_15gpu_kernel_implIZNS0_12_GLOBAL__N_119masked_scale_kernelIhN3c108BFloat16EfEEvRNS_6TensorERKS7_SA_T1_EUlS6_hE_EEvRNS_18TensorIteratorBaseERKT_EUlibE_EEviSB_,"axG",@progbits,_ZN2at6native32elementwise_kernel_manual_unrollILi128ELi4EZNS0_15gpu_kernel_implIZNS0_12_GLOBAL__N_119masked_scale_kernelIhN3c108BFloat16EfEEvRNS_6TensorERKS7_SA_T1_EUlS6_hE_EEvRNS_18TensorIteratorBaseERKT_EUlibE_EEviSB_,comdat
.Lfunc_end174:
	.size	_ZN2at6native32elementwise_kernel_manual_unrollILi128ELi4EZNS0_15gpu_kernel_implIZNS0_12_GLOBAL__N_119masked_scale_kernelIhN3c108BFloat16EfEEvRNS_6TensorERKS7_SA_T1_EUlS6_hE_EEvRNS_18TensorIteratorBaseERKT_EUlibE_EEviSB_, .Lfunc_end174-_ZN2at6native32elementwise_kernel_manual_unrollILi128ELi4EZNS0_15gpu_kernel_implIZNS0_12_GLOBAL__N_119masked_scale_kernelIhN3c108BFloat16EfEEvRNS_6TensorERKS7_SA_T1_EUlS6_hE_EEvRNS_18TensorIteratorBaseERKT_EUlibE_EEviSB_
                                        ; -- End function
	.section	.AMDGPU.csdata,"",@progbits
; Kernel info:
; codeLenInByte = 63352
; NumSgprs: 37
; NumVgprs: 17
; ScratchSize: 0
; MemoryBound: 1
; FloatMode: 240
; IeeeMode: 1
; LDSByteSize: 0 bytes/workgroup (compile time only)
; SGPRBlocks: 4
; VGPRBlocks: 2
; NumSGPRsForWavesPerEU: 37
; NumVGPRsForWavesPerEU: 17
; Occupancy: 16
; WaveLimiterHint : 0
; COMPUTE_PGM_RSRC2:SCRATCH_EN: 0
; COMPUTE_PGM_RSRC2:USER_SGPR: 15
; COMPUTE_PGM_RSRC2:TRAP_HANDLER: 0
; COMPUTE_PGM_RSRC2:TGID_X_EN: 1
; COMPUTE_PGM_RSRC2:TGID_Y_EN: 0
; COMPUTE_PGM_RSRC2:TGID_Z_EN: 0
; COMPUTE_PGM_RSRC2:TIDIG_COMP_CNT: 0
	.section	.text._ZN2at6native32elementwise_kernel_manual_unrollILi128ELi4EZNS0_15gpu_kernel_implIZNS0_12_GLOBAL__N_119masked_scale_kernelIhN3c108BFloat16EfEEvRNS_6TensorERKS7_SA_T1_EUlS6_hE_EEvRNS_18TensorIteratorBaseERKT_EUlibE0_EEviSB_,"axG",@progbits,_ZN2at6native32elementwise_kernel_manual_unrollILi128ELi4EZNS0_15gpu_kernel_implIZNS0_12_GLOBAL__N_119masked_scale_kernelIhN3c108BFloat16EfEEvRNS_6TensorERKS7_SA_T1_EUlS6_hE_EEvRNS_18TensorIteratorBaseERKT_EUlibE0_EEviSB_,comdat
	.globl	_ZN2at6native32elementwise_kernel_manual_unrollILi128ELi4EZNS0_15gpu_kernel_implIZNS0_12_GLOBAL__N_119masked_scale_kernelIhN3c108BFloat16EfEEvRNS_6TensorERKS7_SA_T1_EUlS6_hE_EEvRNS_18TensorIteratorBaseERKT_EUlibE0_EEviSB_ ; -- Begin function _ZN2at6native32elementwise_kernel_manual_unrollILi128ELi4EZNS0_15gpu_kernel_implIZNS0_12_GLOBAL__N_119masked_scale_kernelIhN3c108BFloat16EfEEvRNS_6TensorERKS7_SA_T1_EUlS6_hE_EEvRNS_18TensorIteratorBaseERKT_EUlibE0_EEviSB_
	.p2align	8
	.type	_ZN2at6native32elementwise_kernel_manual_unrollILi128ELi4EZNS0_15gpu_kernel_implIZNS0_12_GLOBAL__N_119masked_scale_kernelIhN3c108BFloat16EfEEvRNS_6TensorERKS7_SA_T1_EUlS6_hE_EEvRNS_18TensorIteratorBaseERKT_EUlibE0_EEviSB_,@function
_ZN2at6native32elementwise_kernel_manual_unrollILi128ELi4EZNS0_15gpu_kernel_implIZNS0_12_GLOBAL__N_119masked_scale_kernelIhN3c108BFloat16EfEEvRNS_6TensorERKS7_SA_T1_EUlS6_hE_EEvRNS_18TensorIteratorBaseERKT_EUlibE0_EEviSB_: ; @_ZN2at6native32elementwise_kernel_manual_unrollILi128ELi4EZNS0_15gpu_kernel_implIZNS0_12_GLOBAL__N_119masked_scale_kernelIhN3c108BFloat16EfEEvRNS_6TensorERKS7_SA_T1_EUlS6_hE_EEvRNS_18TensorIteratorBaseERKT_EUlibE0_EEviSB_
; %bb.0:
	s_clause 0x1
	s_load_b32 s26, s[0:1], 0x8
	s_load_b32 s36, s[0:1], 0x0
	v_lshl_or_b32 v7, s15, 9, v0
	s_or_b32 s20, s0, 8
	s_mov_b32 s2, -1
	s_mov_b32 s28, 0
	s_mov_b32 s21, s1
	v_or_b32_e32 v12, 0x180, v7
	s_mov_b32 s8, 0
	s_mov_b32 s3, exec_lo
	s_waitcnt lgkmcnt(0)
	s_add_i32 s27, s26, -1
	s_delay_alu instid0(SALU_CYCLE_1)
	s_cmp_gt_u32 s27, 1
	s_cselect_b32 s29, -1, 0
	v_cmpx_le_i32_e64 s36, v12
	s_xor_b32 s30, exec_lo, s3
	s_cbranch_execz .LBB175_1566
; %bb.1:
	s_clause 0x4
	s_load_b256 s[4:11], s[20:21], 0x188
	s_load_b128 s[16:19], s[20:21], 0x4
	s_load_b64 s[24:25], s[20:21], 0x14
	s_load_b128 s[12:15], s[20:21], 0xc4
	s_load_b64 s[22:23], s[20:21], 0xd4
	s_cmp_lg_u32 s26, 0
	s_mov_b32 s42, 0
	s_cselect_b32 s37, -1, 0
	s_min_u32 s35, s27, 15
	s_cmp_gt_u32 s26, 1
	s_mov_b32 s40, 0
	s_mov_b32 s39, 0
	s_cselect_b32 s34, -1, 0
	s_mov_b32 s38, 0
	s_mov_b32 s41, exec_lo
	s_waitcnt lgkmcnt(0)
	s_lshr_b32 s33, s11, 8
	s_lshr_b32 s31, s11, 16
	v_cmpx_gt_i32_e64 s36, v7
	s_cbranch_execz .LBB175_385
; %bb.2:
	s_and_not1_b32 vcc_lo, exec_lo, s29
	s_cbranch_vccnz .LBB175_8
; %bb.3:
	v_dual_mov_b32 v0, 0 :: v_dual_mov_b32 v1, 0
	v_mov_b32_e32 v2, 0
	s_and_not1_b32 vcc_lo, exec_lo, s37
	s_cbranch_vccnz .LBB175_9
; %bb.4:
	s_add_i32 s2, s35, 1
	v_dual_mov_b32 v1, 0 :: v_dual_mov_b32 v2, 0
	v_dual_mov_b32 v0, 0 :: v_dual_mov_b32 v3, v7
	s_and_b32 s39, s2, 30
	s_add_u32 s2, s20, 0xffffffec
	s_addc_u32 s3, s21, -1
	s_set_inst_prefetch_distance 0x1
	.p2align	6
.LBB175_5:                              ; =>This Inner Loop Header: Depth=1
	s_clause 0x2
	s_load_b128 s[44:47], s[2:3], 0x18
	s_load_b64 s[52:53], s[2:3], 0x28
	s_load_b128 s[48:51], s[2:3], 0xd8
	s_waitcnt lgkmcnt(0)
	v_mul_hi_u32 v4, s45, v3
	s_delay_alu instid0(VALU_DEP_1) | instskip(NEXT) | instid1(VALU_DEP_1)
	v_add_nc_u32_e32 v4, v3, v4
	v_lshrrev_b32_e32 v4, s46, v4
	s_delay_alu instid0(VALU_DEP_1)
	v_mul_hi_u32 v5, s52, v4
	v_mul_lo_u32 v6, v4, s44
	s_load_b64 s[44:45], s[2:3], 0xe8
	s_add_u32 s2, s2, 24
	s_addc_u32 s3, s3, 0
	s_add_i32 s39, s39, -2
	s_delay_alu instid0(SALU_CYCLE_1) | instskip(NEXT) | instid1(VALU_DEP_2)
	s_cmp_lg_u32 s39, 0
	v_add_nc_u32_e32 v5, v4, v5
	s_delay_alu instid0(VALU_DEP_2) | instskip(NEXT) | instid1(VALU_DEP_2)
	v_sub_nc_u32_e32 v6, v3, v6
	v_lshrrev_b32_e32 v3, s53, v5
	s_delay_alu instid0(VALU_DEP_2) | instskip(NEXT) | instid1(VALU_DEP_2)
	v_mul_lo_u32 v8, v6, s48
	v_mul_lo_u32 v5, v3, s47
	s_delay_alu instid0(VALU_DEP_1) | instskip(SKIP_2) | instid1(VALU_DEP_3)
	v_sub_nc_u32_e32 v4, v4, v5
	v_mul_lo_u32 v5, v6, s49
	v_mul_lo_u32 v6, v6, s50
	;; [unrolled: 1-line block ×3, first 2 shown]
	s_waitcnt lgkmcnt(0)
	v_mul_lo_u32 v10, v4, s44
	v_mul_lo_u32 v4, v4, s45
	s_delay_alu instid0(VALU_DEP_3) | instskip(NEXT) | instid1(VALU_DEP_3)
	v_add3_u32 v0, v8, v0, v9
	v_add3_u32 v2, v5, v2, v10
	s_delay_alu instid0(VALU_DEP_3)
	v_add3_u32 v1, v6, v1, v4
	s_cbranch_scc1 .LBB175_5
; %bb.6:
	s_set_inst_prefetch_distance 0x2
	s_bitcmp1_b32 s35, 0
	s_cselect_b32 s39, -1, 0
	s_delay_alu instid0(SALU_CYCLE_1)
	s_and_b32 vcc_lo, exec_lo, s39
	s_cbranch_vccnz .LBB175_9
; %bb.7:
	s_clause 0x3
	s_load_b64 s[44:45], s[2:3], 0x18
	s_load_b32 s39, s[2:3], 0x20
	s_load_b64 s[46:47], s[2:3], 0xd8
	s_load_b32 s2, s[2:3], 0xe0
	s_waitcnt lgkmcnt(0)
	v_mul_hi_u32 v4, s45, v3
	s_delay_alu instid0(VALU_DEP_1) | instskip(NEXT) | instid1(VALU_DEP_1)
	v_add_nc_u32_e32 v4, v3, v4
	v_lshrrev_b32_e32 v4, s39, v4
	s_delay_alu instid0(VALU_DEP_1) | instskip(NEXT) | instid1(VALU_DEP_1)
	v_mul_lo_u32 v4, v4, s44
	v_sub_nc_u32_e32 v8, v3, v4
	s_delay_alu instid0(VALU_DEP_1) | instskip(NEXT) | instid1(VALU_DEP_1)
	v_mad_u64_u32 v[3:4], null, v8, s46, v[0:1]
	v_mad_u64_u32 v[4:5], null, v8, s47, v[2:3]
	;; [unrolled: 1-line block ×3, first 2 shown]
	v_mov_b32_e32 v0, v3
	s_delay_alu instid0(VALU_DEP_2)
	v_dual_mov_b32 v2, v4 :: v_dual_mov_b32 v1, v5
	s_branch .LBB175_9
.LBB175_8:
	s_mov_b32 s38, -1
                                        ; implicit-def: $vgpr0
                                        ; implicit-def: $vgpr2
                                        ; implicit-def: $vgpr1
.LBB175_9:
	s_delay_alu instid0(SALU_CYCLE_1)
	s_and_not1_b32 vcc_lo, exec_lo, s38
	s_cbranch_vccnz .LBB175_12
; %bb.10:
	v_mul_hi_u32 v0, s17, v7
	s_and_not1_b32 vcc_lo, exec_lo, s34
	s_delay_alu instid0(VALU_DEP_1) | instskip(NEXT) | instid1(VALU_DEP_1)
	v_add_nc_u32_e32 v0, v7, v0
	v_lshrrev_b32_e32 v3, s18, v0
	s_delay_alu instid0(VALU_DEP_1) | instskip(NEXT) | instid1(VALU_DEP_1)
	v_mul_lo_u32 v0, v3, s16
	v_sub_nc_u32_e32 v1, v7, v0
	s_delay_alu instid0(VALU_DEP_1)
	v_mul_lo_u32 v0, v1, s12
	v_mul_lo_u32 v2, v1, s13
	;; [unrolled: 1-line block ×3, first 2 shown]
	s_cbranch_vccnz .LBB175_12
; %bb.11:
	v_mul_hi_u32 v4, s24, v3
	s_delay_alu instid0(VALU_DEP_1) | instskip(NEXT) | instid1(VALU_DEP_1)
	v_add_nc_u32_e32 v4, v3, v4
	v_lshrrev_b32_e32 v4, s25, v4
	s_delay_alu instid0(VALU_DEP_1) | instskip(NEXT) | instid1(VALU_DEP_1)
	v_mul_lo_u32 v4, v4, s19
	v_sub_nc_u32_e32 v8, v3, v4
	s_delay_alu instid0(VALU_DEP_1) | instskip(NEXT) | instid1(VALU_DEP_1)
	v_mad_u64_u32 v[3:4], null, v8, s15, v[0:1]
	v_mad_u64_u32 v[4:5], null, v8, s22, v[2:3]
	;; [unrolled: 1-line block ×3, first 2 shown]
	v_mov_b32_e32 v0, v3
	s_delay_alu instid0(VALU_DEP_2)
	v_dual_mov_b32 v2, v4 :: v_dual_mov_b32 v1, v5
.LBB175_12:
	v_and_b32_e64 v4, 0xff, s33
	s_delay_alu instid0(VALU_DEP_2) | instskip(NEXT) | instid1(VALU_DEP_1)
	v_add_co_u32 v2, s2, s6, v2
	v_add_co_ci_u32_e64 v3, null, s7, 0, s2
	s_delay_alu instid0(VALU_DEP_3)
	v_cmp_gt_i16_e32 vcc_lo, 11, v4
	s_mov_b32 s3, 0
	s_cbranch_vccnz .LBB175_19
; %bb.13:
	v_cmp_lt_i16_e32 vcc_lo, 25, v4
	s_cbranch_vccz .LBB175_28
; %bb.14:
	v_cmp_lt_i16_e32 vcc_lo, 28, v4
	s_cbranch_vccz .LBB175_148
	;; [unrolled: 3-line block ×4, first 2 shown]
; %bb.17:
	v_cmp_eq_u16_e32 vcc_lo, 46, v4
	s_mov_b32 s38, 0
	s_cbranch_vccz .LBB175_154
; %bb.18:
	global_load_b32 v5, v[2:3], off
	s_mov_b32 s2, -1
	s_branch .LBB175_156
.LBB175_19:
	s_mov_b32 s2, 0
                                        ; implicit-def: $vgpr5
	s_cbranch_execnz .LBB175_221
.LBB175_20:
	s_and_not1_b32 vcc_lo, exec_lo, s2
	s_cbranch_vccnz .LBB175_268
.LBB175_21:
	v_and_b32_e64 v6, 0xff, s31
	v_add_co_u32 v1, s2, s8, v1
	s_delay_alu instid0(VALU_DEP_1) | instskip(NEXT) | instid1(VALU_DEP_3)
	v_add_co_ci_u32_e64 v2, null, s9, 0, s2
	v_cmp_gt_i16_e32 vcc_lo, 11, v6
	s_mov_b32 s39, 0
	s_cbranch_vccnz .LBB175_29
; %bb.22:
	v_cmp_lt_i16_e32 vcc_lo, 25, v6
	s_cbranch_vccz .LBB175_149
; %bb.23:
	v_cmp_lt_i16_e32 vcc_lo, 28, v6
	s_cbranch_vccz .LBB175_151
	;; [unrolled: 3-line block ×4, first 2 shown]
; %bb.26:
	v_cmp_eq_u16_e32 vcc_lo, 46, v6
	s_mov_b32 s38, 0
	s_cbranch_vccz .LBB175_269
; %bb.27:
	global_load_b32 v3, v[1:2], off
	s_mov_b32 s2, -1
	s_waitcnt vmcnt(0)
	v_lshlrev_b32_e32 v3, 16, v3
	s_delay_alu instid0(VALU_DEP_1) | instskip(NEXT) | instid1(VALU_DEP_1)
	v_trunc_f32_e32 v3, v3
	v_mul_f32_e64 v4, 0x2f800000, |v3|
	s_delay_alu instid0(VALU_DEP_1) | instskip(NEXT) | instid1(VALU_DEP_1)
	v_floor_f32_e32 v4, v4
	v_fma_f32 v4, 0xcf800000, v4, |v3|
	v_ashrrev_i32_e32 v3, 31, v3
	s_delay_alu instid0(VALU_DEP_2) | instskip(NEXT) | instid1(VALU_DEP_1)
	v_cvt_u32_f32_e32 v4, v4
	v_xor_b32_e32 v4, v4, v3
	s_delay_alu instid0(VALU_DEP_1)
	v_sub_nc_u32_e32 v3, v4, v3
	s_branch .LBB175_271
.LBB175_28:
	s_mov_b32 s2, 0
                                        ; implicit-def: $vgpr5
	s_cbranch_execnz .LBB175_186
	s_branch .LBB175_220
.LBB175_29:
	s_mov_b32 s2, 0
                                        ; implicit-def: $vgpr3
	s_cbranch_execnz .LBB175_334
.LBB175_30:
	s_and_not1_b32 vcc_lo, exec_lo, s2
	s_cbranch_vccnz .LBB175_382
.LBB175_31:
	s_waitcnt vmcnt(0)
	s_delay_alu instid0(VALU_DEP_1) | instskip(SKIP_4) | instid1(VALU_DEP_3)
	v_cvt_f32_ubyte0_e32 v1, v3
	v_lshlrev_b32_e32 v2, 16, v5
	v_and_b32_e64 v3, 0xff, s11
	v_add_co_u32 v0, s2, s4, v0
	s_mov_b32 s38, 0
	v_mul_f32_e32 v1, v2, v1
	s_delay_alu instid0(VALU_DEP_3) | instskip(SKIP_1) | instid1(VALU_DEP_2)
	v_cmp_gt_i16_e32 vcc_lo, 11, v3
	s_mov_b32 s40, -1
	v_mul_f32_e32 v2, s10, v1
	s_and_b32 vcc_lo, exec_lo, vcc_lo
	s_delay_alu instid0(VALU_DEP_1) | instskip(NEXT) | instid1(VALU_DEP_1)
	v_bfe_u32 v1, v2, 16, 1
	v_add3_u32 v1, v2, v1, 0x7fff
	s_delay_alu instid0(VALU_DEP_1) | instskip(SKIP_2) | instid1(VALU_DEP_1)
	v_lshrrev_b32_e32 v4, 16, v1
	v_add_co_ci_u32_e64 v1, null, s5, 0, s2
	v_cmp_o_f32_e64 s2, v2, v2
	v_cndmask_b32_e64 v2, 0x7fc0, v4, s2
	s_mov_b32 s2, 0
	s_cbranch_vccnz .LBB175_108
; %bb.32:
	v_cmp_lt_i16_e32 vcc_lo, 25, v3
	s_cbranch_vccz .LBB175_65
; %bb.33:
	v_cmp_lt_i16_e32 vcc_lo, 28, v3
	s_cbranch_vccz .LBB175_48
	;; [unrolled: 3-line block ×4, first 2 shown]
; %bb.36:
	v_cmp_eq_u16_e32 vcc_lo, 46, v3
	s_mov_b32 s40, 0
	s_mov_b32 s38, -1
	s_cbranch_vccz .LBB175_38
; %bb.37:
	v_and_b32_e32 v4, 0xffff, v2
	s_mov_b32 s2, -1
	s_mov_b32 s38, 0
	global_store_b32 v[0:1], v4, off
.LBB175_38:
	s_and_b32 vcc_lo, exec_lo, s40
	s_cbranch_vccz .LBB175_43
; %bb.39:
	v_cmp_eq_u16_e32 vcc_lo, 44, v3
	s_mov_b32 s38, -1
	s_cbranch_vccz .LBB175_43
; %bb.40:
	v_and_b32_e32 v4, 0xffff, v2
	v_mov_b32_e32 v5, 0xff
	s_mov_b32 s38, exec_lo
	s_delay_alu instid0(VALU_DEP_2) | instskip(NEXT) | instid1(VALU_DEP_1)
	v_bfe_u32 v6, v4, 7, 8
	v_cmpx_ne_u32_e32 0xff, v6
; %bb.41:
	v_lshlrev_b32_e32 v5, 16, v4
	v_and_b32_e32 v8, 64, v4
	v_lshrrev_b32_e32 v4, 7, v4
	s_delay_alu instid0(VALU_DEP_3) | instskip(NEXT) | instid1(VALU_DEP_3)
	v_and_or_b32 v5, 0x3f0000, v5, v6
	v_cmp_ne_u32_e32 vcc_lo, 0, v8
	s_delay_alu instid0(VALU_DEP_2) | instskip(NEXT) | instid1(VALU_DEP_1)
	v_cmp_ne_u32_e64 s2, 0, v5
	s_and_b32 s2, vcc_lo, s2
	s_delay_alu instid0(SALU_CYCLE_1) | instskip(NEXT) | instid1(VALU_DEP_1)
	v_cndmask_b32_e64 v5, 0, 1, s2
	v_add_nc_u32_e32 v5, v4, v5
; %bb.42:
	s_or_b32 exec_lo, exec_lo, s38
	s_mov_b32 s2, -1
	s_mov_b32 s38, 0
	global_store_b8 v[0:1], v5, off
.LBB175_43:
	s_mov_b32 s40, 0
.LBB175_44:
	s_delay_alu instid0(SALU_CYCLE_1)
	s_and_b32 vcc_lo, exec_lo, s40
	s_cbranch_vccz .LBB175_47
; %bb.45:
	v_cmp_eq_u16_e32 vcc_lo, 29, v3
	s_mov_b32 s38, -1
	s_cbranch_vccz .LBB175_47
; %bb.46:
	v_lshlrev_b32_e32 v4, 16, v2
	s_mov_b32 s2, -1
	s_mov_b32 s38, 0
	s_delay_alu instid0(VALU_DEP_1) | instskip(NEXT) | instid1(VALU_DEP_1)
	v_trunc_f32_e32 v4, v4
	v_mul_f32_e32 v5, 0x2f800000, v4
	s_delay_alu instid0(VALU_DEP_1) | instskip(NEXT) | instid1(VALU_DEP_1)
	v_floor_f32_e32 v5, v5
	v_fmamk_f32 v4, v5, 0xcf800000, v4
	v_cvt_u32_f32_e32 v5, v5
	s_delay_alu instid0(VALU_DEP_2)
	v_cvt_u32_f32_e32 v4, v4
	global_store_b64 v[0:1], v[4:5], off
.LBB175_47:
	s_mov_b32 s40, 0
.LBB175_48:
	s_delay_alu instid0(SALU_CYCLE_1)
	s_and_b32 vcc_lo, exec_lo, s40
	s_cbranch_vccz .LBB175_64
; %bb.49:
	v_cmp_gt_i16_e32 vcc_lo, 27, v3
	s_mov_b32 s2, -1
	s_cbranch_vccnz .LBB175_55
; %bb.50:
	v_cmp_lt_i16_e32 vcc_lo, 27, v3
	s_cbranch_vccz .LBB175_52
; %bb.51:
	v_lshlrev_b32_e32 v4, 16, v2
	s_mov_b32 s2, 0
	s_delay_alu instid0(VALU_DEP_1)
	v_cvt_u32_f32_e32 v4, v4
	global_store_b32 v[0:1], v4, off
.LBB175_52:
	s_and_not1_b32 vcc_lo, exec_lo, s2
	s_cbranch_vccnz .LBB175_54
; %bb.53:
	v_lshlrev_b32_e32 v4, 16, v2
	s_delay_alu instid0(VALU_DEP_1)
	v_cvt_u32_f32_e32 v4, v4
	global_store_b16 v[0:1], v4, off
.LBB175_54:
	s_mov_b32 s2, 0
.LBB175_55:
	s_delay_alu instid0(SALU_CYCLE_1)
	s_and_not1_b32 vcc_lo, exec_lo, s2
	s_cbranch_vccnz .LBB175_63
; %bb.56:
	v_lshlrev_b32_e32 v6, 16, v2
	v_mov_b32_e32 v8, 0x80
	s_mov_b32 s2, exec_lo
	s_delay_alu instid0(VALU_DEP_2) | instskip(NEXT) | instid1(VALU_DEP_1)
	v_and_b32_e32 v5, 0x7fffffff, v6
	v_cmpx_gt_u32_e32 0x43800000, v5
	s_cbranch_execz .LBB175_62
; %bb.57:
	v_and_b32_e32 v4, 0xffff, v2
	v_cmp_lt_u32_e32 vcc_lo, 0x3bffffff, v5
	s_mov_b32 s40, 0
                                        ; implicit-def: $vgpr5
	s_and_saveexec_b32 s43, vcc_lo
	s_delay_alu instid0(SALU_CYCLE_1)
	s_xor_b32 s43, exec_lo, s43
	s_cbranch_execz .LBB175_274
; %bb.58:
	v_bfe_u32 v5, v4, 4, 1
	s_mov_b32 s40, exec_lo
	s_delay_alu instid0(VALU_DEP_1) | instskip(NEXT) | instid1(VALU_DEP_1)
	v_add3_u32 v5, v6, v5, 0x487ffff
                                        ; implicit-def: $vgpr6
	v_lshrrev_b32_e32 v5, 20, v5
	s_or_saveexec_b32 s43, s43
                                        ; implicit-def: $sgpr44
	s_delay_alu instid0(SALU_CYCLE_1)
	s_xor_b32 exec_lo, exec_lo, s43
	s_cbranch_execnz .LBB175_275
.LBB175_59:
	s_or_b32 exec_lo, exec_lo, s43
	v_mov_b32_e32 v8, s44
	s_and_saveexec_b32 s43, s40
.LBB175_60:
	v_lshrrev_b32_e32 v4, 8, v4
	s_delay_alu instid0(VALU_DEP_1)
	v_and_or_b32 v8, 0x80, v4, v5
.LBB175_61:
	s_or_b32 exec_lo, exec_lo, s43
.LBB175_62:
	s_delay_alu instid0(SALU_CYCLE_1)
	s_or_b32 exec_lo, exec_lo, s2
	global_store_b8 v[0:1], v8, off
.LBB175_63:
	s_mov_b32 s2, -1
.LBB175_64:
	s_mov_b32 s40, 0
.LBB175_65:
	s_delay_alu instid0(SALU_CYCLE_1)
	s_and_b32 vcc_lo, exec_lo, s40
	s_cbranch_vccz .LBB175_106
; %bb.66:
	v_cmp_lt_i16_e32 vcc_lo, 22, v3
	s_mov_b32 s40, -1
	s_cbranch_vccz .LBB175_98
; %bb.67:
	v_cmp_gt_i16_e32 vcc_lo, 24, v3
	s_mov_b32 s2, -1
	s_cbranch_vccnz .LBB175_87
; %bb.68:
	v_cmp_lt_i16_e32 vcc_lo, 24, v3
	s_cbranch_vccz .LBB175_76
; %bb.69:
	v_lshlrev_b32_e32 v6, 16, v2
	v_mov_b32_e32 v8, 0x80
	s_mov_b32 s2, exec_lo
	s_delay_alu instid0(VALU_DEP_2) | instskip(NEXT) | instid1(VALU_DEP_1)
	v_and_b32_e32 v5, 0x7fffffff, v6
	v_cmpx_gt_u32_e32 0x47800000, v5
	s_cbranch_execz .LBB175_75
; %bb.70:
	v_and_b32_e32 v4, 0xffff, v2
	v_cmp_lt_u32_e32 vcc_lo, 0x37ffffff, v5
	s_mov_b32 s40, 0
                                        ; implicit-def: $vgpr5
	s_and_saveexec_b32 s43, vcc_lo
	s_delay_alu instid0(SALU_CYCLE_1)
	s_xor_b32 s43, exec_lo, s43
	s_cbranch_execz .LBB175_538
; %bb.71:
	v_bfe_u32 v5, v4, 5, 1
	s_mov_b32 s40, exec_lo
	s_delay_alu instid0(VALU_DEP_1) | instskip(NEXT) | instid1(VALU_DEP_1)
	v_add3_u32 v5, v6, v5, 0x88fffff
                                        ; implicit-def: $vgpr6
	v_lshrrev_b32_e32 v5, 21, v5
	s_or_saveexec_b32 s43, s43
                                        ; implicit-def: $sgpr44
	s_delay_alu instid0(SALU_CYCLE_1)
	s_xor_b32 exec_lo, exec_lo, s43
	s_cbranch_execnz .LBB175_539
.LBB175_72:
	s_or_b32 exec_lo, exec_lo, s43
	v_mov_b32_e32 v8, s44
	s_and_saveexec_b32 s43, s40
.LBB175_73:
	v_lshrrev_b32_e32 v4, 8, v4
	s_delay_alu instid0(VALU_DEP_1)
	v_and_or_b32 v8, 0x80, v4, v5
.LBB175_74:
	s_or_b32 exec_lo, exec_lo, s43
.LBB175_75:
	s_delay_alu instid0(SALU_CYCLE_1)
	s_or_b32 exec_lo, exec_lo, s2
	s_mov_b32 s2, 0
	global_store_b8 v[0:1], v8, off
.LBB175_76:
	s_and_b32 vcc_lo, exec_lo, s2
	s_cbranch_vccz .LBB175_86
; %bb.77:
	v_lshlrev_b32_e32 v6, 16, v2
	v_and_b32_e32 v4, 0xffff, v2
	s_mov_b32 s2, exec_lo
                                        ; implicit-def: $vgpr5
	s_delay_alu instid0(VALU_DEP_2) | instskip(NEXT) | instid1(VALU_DEP_1)
	v_and_b32_e32 v8, 0x7fffffff, v6
	v_cmpx_gt_u32_e32 0x43f00000, v8
	s_xor_b32 s2, exec_lo, s2
	s_cbranch_execz .LBB175_83
; %bb.78:
	s_mov_b32 s40, exec_lo
                                        ; implicit-def: $vgpr5
	v_cmpx_lt_u32_e32 0x3c7fffff, v8
	s_xor_b32 s40, exec_lo, s40
; %bb.79:
	v_bfe_u32 v5, v4, 4, 1
	s_delay_alu instid0(VALU_DEP_1) | instskip(NEXT) | instid1(VALU_DEP_1)
	v_add3_u32 v5, v6, v5, 0x407ffff
	v_and_b32_e32 v6, 0xff00000, v5
	v_lshrrev_b32_e32 v5, 20, v5
	s_delay_alu instid0(VALU_DEP_2) | instskip(NEXT) | instid1(VALU_DEP_2)
	v_cmp_ne_u32_e32 vcc_lo, 0x7f00000, v6
                                        ; implicit-def: $vgpr6
	v_cndmask_b32_e32 v5, 0x7e, v5, vcc_lo
; %bb.80:
	s_and_not1_saveexec_b32 s40, s40
; %bb.81:
	v_add_f32_e64 v5, 0x46800000, |v6|
; %bb.82:
	s_or_b32 exec_lo, exec_lo, s40
                                        ; implicit-def: $vgpr8
.LBB175_83:
	s_and_not1_saveexec_b32 s2, s2
; %bb.84:
	v_mov_b32_e32 v5, 0x7f
	v_cmp_lt_u32_e32 vcc_lo, 0x7f800000, v8
	s_delay_alu instid0(VALU_DEP_2)
	v_cndmask_b32_e32 v5, 0x7e, v5, vcc_lo
; %bb.85:
	s_or_b32 exec_lo, exec_lo, s2
	v_lshrrev_b32_e32 v4, 8, v4
	s_delay_alu instid0(VALU_DEP_1)
	v_and_or_b32 v4, 0x80, v4, v5
	global_store_b8 v[0:1], v4, off
.LBB175_86:
	s_mov_b32 s2, 0
.LBB175_87:
	s_delay_alu instid0(SALU_CYCLE_1)
	s_and_not1_b32 vcc_lo, exec_lo, s2
	s_cbranch_vccnz .LBB175_97
; %bb.88:
	v_lshlrev_b32_e32 v6, 16, v2
	v_and_b32_e32 v4, 0xffff, v2
	s_mov_b32 s2, exec_lo
                                        ; implicit-def: $vgpr5
	s_delay_alu instid0(VALU_DEP_2) | instskip(NEXT) | instid1(VALU_DEP_1)
	v_and_b32_e32 v8, 0x7fffffff, v6
	v_cmpx_gt_u32_e32 0x47800000, v8
	s_xor_b32 s2, exec_lo, s2
	s_cbranch_execz .LBB175_94
; %bb.89:
	s_mov_b32 s40, exec_lo
                                        ; implicit-def: $vgpr5
	v_cmpx_lt_u32_e32 0x387fffff, v8
	s_xor_b32 s40, exec_lo, s40
; %bb.90:
	v_bfe_u32 v5, v4, 5, 1
	s_delay_alu instid0(VALU_DEP_1) | instskip(NEXT) | instid1(VALU_DEP_1)
	v_add3_u32 v5, v6, v5, 0x80fffff
                                        ; implicit-def: $vgpr6
	v_lshrrev_b32_e32 v5, 21, v5
; %bb.91:
	s_and_not1_saveexec_b32 s40, s40
; %bb.92:
	v_add_f32_e64 v5, 0x43000000, |v6|
; %bb.93:
	s_or_b32 exec_lo, exec_lo, s40
                                        ; implicit-def: $vgpr8
.LBB175_94:
	s_and_not1_saveexec_b32 s2, s2
; %bb.95:
	v_mov_b32_e32 v5, 0x7f
	v_cmp_lt_u32_e32 vcc_lo, 0x7f800000, v8
	s_delay_alu instid0(VALU_DEP_2)
	v_cndmask_b32_e32 v5, 0x7c, v5, vcc_lo
; %bb.96:
	s_or_b32 exec_lo, exec_lo, s2
	v_lshrrev_b32_e32 v4, 8, v4
	s_delay_alu instid0(VALU_DEP_1)
	v_and_or_b32 v4, 0x80, v4, v5
	global_store_b8 v[0:1], v4, off
.LBB175_97:
	s_mov_b32 s40, 0
	s_mov_b32 s2, -1
.LBB175_98:
	s_and_not1_b32 vcc_lo, exec_lo, s40
	s_cbranch_vccnz .LBB175_106
; %bb.99:
	v_cmp_lt_i16_e32 vcc_lo, 14, v3
	s_mov_b32 s40, -1
	s_cbranch_vccz .LBB175_103
; %bb.100:
	v_cmp_eq_u16_e32 vcc_lo, 15, v3
	s_mov_b32 s38, -1
	s_cbranch_vccz .LBB175_102
; %bb.101:
	s_mov_b32 s2, -1
	s_mov_b32 s38, 0
	global_store_b16 v[0:1], v2, off
.LBB175_102:
	s_mov_b32 s40, 0
.LBB175_103:
	s_delay_alu instid0(SALU_CYCLE_1)
	s_and_b32 vcc_lo, exec_lo, s40
	s_cbranch_vccz .LBB175_106
; %bb.104:
	v_cmp_eq_u16_e32 vcc_lo, 11, v3
	s_mov_b32 s38, -1
	s_cbranch_vccz .LBB175_106
; %bb.105:
	v_and_b32_e32 v4, 0x7fff, v2
	s_mov_b32 s38, 0
	s_mov_b32 s2, -1
	s_delay_alu instid0(VALU_DEP_1)
	v_cmp_ne_u16_e32 vcc_lo, 0, v4
	v_cndmask_b32_e64 v4, 0, 1, vcc_lo
	global_store_b8 v[0:1], v4, off
.LBB175_106:
.LBB175_107:
	s_and_not1_b32 vcc_lo, exec_lo, s2
	s_cbranch_vccz .LBB175_147
	s_branch .LBB175_383
.LBB175_108:
	s_and_b32 vcc_lo, exec_lo, s40
	s_cbranch_vccz .LBB175_107
; %bb.109:
	v_cmp_gt_i16_e32 vcc_lo, 5, v3
	s_mov_b32 s2, -1
	s_cbranch_vccnz .LBB175_130
; %bb.110:
	v_cmp_gt_i16_e32 vcc_lo, 8, v3
	s_cbranch_vccnz .LBB175_120
; %bb.111:
	v_cmp_gt_i16_e32 vcc_lo, 9, v3
	s_cbranch_vccnz .LBB175_117
; %bb.112:
	v_cmp_lt_i16_e32 vcc_lo, 9, v3
	s_cbranch_vccz .LBB175_114
; %bb.113:
	v_mov_b32_e32 v10, 0
	v_lshlrev_b32_e32 v4, 16, v2
	s_mov_b32 s2, 0
	s_delay_alu instid0(VALU_DEP_2) | instskip(NEXT) | instid1(VALU_DEP_2)
	v_mov_b32_e32 v11, v10
	v_cvt_f64_f32_e32 v[8:9], v4
	global_store_b128 v[0:1], v[8:11], off
.LBB175_114:
	s_and_not1_b32 vcc_lo, exec_lo, s2
	s_cbranch_vccnz .LBB175_116
; %bb.115:
	v_dual_mov_b32 v5, 0 :: v_dual_lshlrev_b32 v4, 16, v2
	global_store_b64 v[0:1], v[4:5], off
.LBB175_116:
	s_mov_b32 s2, 0
.LBB175_117:
	s_delay_alu instid0(SALU_CYCLE_1)
	s_and_not1_b32 vcc_lo, exec_lo, s2
	s_cbranch_vccnz .LBB175_119
; %bb.118:
	v_lshlrev_b32_e32 v4, 16, v2
	s_delay_alu instid0(VALU_DEP_1) | instskip(NEXT) | instid1(VALU_DEP_1)
	v_cvt_f16_f32_e32 v4, v4
	v_and_b32_e32 v4, 0xffff, v4
	global_store_b32 v[0:1], v4, off
.LBB175_119:
	s_mov_b32 s2, 0
.LBB175_120:
	s_delay_alu instid0(SALU_CYCLE_1)
	s_and_not1_b32 vcc_lo, exec_lo, s2
	s_cbranch_vccnz .LBB175_129
; %bb.121:
	v_cmp_gt_i16_e32 vcc_lo, 6, v3
	s_mov_b32 s2, -1
	s_cbranch_vccnz .LBB175_127
; %bb.122:
	v_cmp_lt_i16_e32 vcc_lo, 6, v3
	s_cbranch_vccz .LBB175_124
; %bb.123:
	v_lshlrev_b32_e32 v4, 16, v2
	s_mov_b32 s2, 0
	s_delay_alu instid0(VALU_DEP_1)
	v_cvt_f64_f32_e32 v[4:5], v4
	global_store_b64 v[0:1], v[4:5], off
.LBB175_124:
	s_and_not1_b32 vcc_lo, exec_lo, s2
	s_cbranch_vccnz .LBB175_126
; %bb.125:
	v_lshlrev_b32_e32 v4, 16, v2
	global_store_b32 v[0:1], v4, off
.LBB175_126:
	s_mov_b32 s2, 0
.LBB175_127:
	s_delay_alu instid0(SALU_CYCLE_1)
	s_and_not1_b32 vcc_lo, exec_lo, s2
	s_cbranch_vccnz .LBB175_129
; %bb.128:
	v_lshlrev_b32_e32 v4, 16, v2
	s_delay_alu instid0(VALU_DEP_1)
	v_cvt_f16_f32_e32 v4, v4
	global_store_b16 v[0:1], v4, off
.LBB175_129:
	s_mov_b32 s2, 0
.LBB175_130:
	s_delay_alu instid0(SALU_CYCLE_1)
	s_and_not1_b32 vcc_lo, exec_lo, s2
	s_cbranch_vccnz .LBB175_146
; %bb.131:
	v_cmp_gt_i16_e32 vcc_lo, 2, v3
	s_mov_b32 s2, -1
	s_cbranch_vccnz .LBB175_141
; %bb.132:
	v_cmp_gt_i16_e32 vcc_lo, 3, v3
	s_cbranch_vccnz .LBB175_138
; %bb.133:
	v_cmp_lt_i16_e32 vcc_lo, 3, v3
	s_cbranch_vccz .LBB175_135
; %bb.134:
	v_lshlrev_b32_e32 v4, 16, v2
	s_mov_b32 s2, 0
	s_delay_alu instid0(VALU_DEP_1) | instskip(NEXT) | instid1(VALU_DEP_1)
	v_trunc_f32_e32 v4, v4
	v_mul_f32_e64 v5, 0x2f800000, |v4|
	v_ashrrev_i32_e32 v8, 31, v4
	s_delay_alu instid0(VALU_DEP_2) | instskip(NEXT) | instid1(VALU_DEP_1)
	v_floor_f32_e32 v5, v5
	v_fma_f32 v6, 0xcf800000, v5, |v4|
	v_cvt_u32_f32_e32 v5, v5
	s_delay_alu instid0(VALU_DEP_2) | instskip(NEXT) | instid1(VALU_DEP_2)
	v_cvt_u32_f32_e32 v4, v6
	v_xor_b32_e32 v5, v5, v8
	s_delay_alu instid0(VALU_DEP_2) | instskip(NEXT) | instid1(VALU_DEP_1)
	v_xor_b32_e32 v4, v4, v8
	v_sub_co_u32 v4, vcc_lo, v4, v8
	s_delay_alu instid0(VALU_DEP_3)
	v_sub_co_ci_u32_e32 v5, vcc_lo, v5, v8, vcc_lo
	global_store_b64 v[0:1], v[4:5], off
.LBB175_135:
	s_and_not1_b32 vcc_lo, exec_lo, s2
	s_cbranch_vccnz .LBB175_137
; %bb.136:
	v_lshlrev_b32_e32 v4, 16, v2
	s_delay_alu instid0(VALU_DEP_1)
	v_cvt_i32_f32_e32 v4, v4
	global_store_b32 v[0:1], v4, off
.LBB175_137:
	s_mov_b32 s2, 0
.LBB175_138:
	s_delay_alu instid0(SALU_CYCLE_1)
	s_and_not1_b32 vcc_lo, exec_lo, s2
	s_cbranch_vccnz .LBB175_140
; %bb.139:
	v_lshlrev_b32_e32 v4, 16, v2
	s_delay_alu instid0(VALU_DEP_1)
	v_cvt_i32_f32_e32 v4, v4
	global_store_b16 v[0:1], v4, off
.LBB175_140:
	s_mov_b32 s2, 0
.LBB175_141:
	s_delay_alu instid0(SALU_CYCLE_1)
	s_and_not1_b32 vcc_lo, exec_lo, s2
	s_cbranch_vccnz .LBB175_146
; %bb.142:
	v_cmp_lt_i16_e32 vcc_lo, 0, v3
	s_mov_b32 s2, -1
	s_cbranch_vccz .LBB175_144
; %bb.143:
	v_lshlrev_b32_e32 v3, 16, v2
	s_mov_b32 s2, 0
	s_delay_alu instid0(VALU_DEP_1)
	v_cvt_i32_f32_e32 v3, v3
	global_store_b8 v[0:1], v3, off
.LBB175_144:
	s_and_not1_b32 vcc_lo, exec_lo, s2
	s_cbranch_vccnz .LBB175_146
; %bb.145:
	v_lshlrev_b32_e32 v2, 16, v2
	s_delay_alu instid0(VALU_DEP_1) | instskip(NEXT) | instid1(VALU_DEP_1)
	v_trunc_f32_e32 v2, v2
	v_mul_f32_e64 v3, 0x2f800000, |v2|
	s_delay_alu instid0(VALU_DEP_1) | instskip(NEXT) | instid1(VALU_DEP_1)
	v_floor_f32_e32 v3, v3
	v_fma_f32 v3, 0xcf800000, v3, |v2|
	v_ashrrev_i32_e32 v2, 31, v2
	s_delay_alu instid0(VALU_DEP_2) | instskip(NEXT) | instid1(VALU_DEP_1)
	v_cvt_u32_f32_e32 v3, v3
	v_xor_b32_e32 v3, v3, v2
	s_delay_alu instid0(VALU_DEP_1)
	v_sub_nc_u32_e32 v2, v3, v2
	global_store_b8 v[0:1], v2, off
.LBB175_146:
.LBB175_147:
	v_add_nc_u32_e32 v7, 0x80, v7
	s_mov_b32 s2, -1
	s_branch .LBB175_384
.LBB175_148:
	s_mov_b32 s38, -1
	s_mov_b32 s2, 0
                                        ; implicit-def: $vgpr5
	s_branch .LBB175_167
.LBB175_149:
	s_mov_b32 s38, -1
	s_mov_b32 s2, 0
                                        ; implicit-def: $vgpr3
	s_branch .LBB175_300
.LBB175_150:
	s_mov_b32 s38, -1
	s_mov_b32 s2, 0
                                        ; implicit-def: $vgpr5
	s_branch .LBB175_162
.LBB175_151:
	s_mov_b32 s38, -1
	s_mov_b32 s2, 0
                                        ; implicit-def: $vgpr3
	s_branch .LBB175_283
.LBB175_152:
	s_mov_b32 s38, -1
	s_branch .LBB175_155
.LBB175_153:
	s_mov_b32 s38, -1
	s_mov_b32 s2, 0
                                        ; implicit-def: $vgpr3
	s_branch .LBB175_278
.LBB175_154:
	s_mov_b32 s3, -1
.LBB175_155:
	s_mov_b32 s2, 0
                                        ; implicit-def: $vgpr5
.LBB175_156:
	s_and_b32 vcc_lo, exec_lo, s38
	s_cbranch_vccz .LBB175_161
; %bb.157:
	v_cmp_eq_u16_e32 vcc_lo, 44, v4
	s_cbranch_vccz .LBB175_160
; %bb.158:
	global_load_u8 v5, v[2:3], off
	s_mov_b32 s3, 0
	s_mov_b32 s2, -1
	s_waitcnt vmcnt(0)
	v_lshlrev_b32_e32 v6, 23, v5
	v_cmp_ne_u32_e32 vcc_lo, 0xff, v5
	s_delay_alu instid0(VALU_DEP_2) | instskip(SKIP_1) | instid1(VALU_DEP_2)
	v_cndmask_b32_e32 v6, 0x7f800001, v6, vcc_lo
	v_cmp_ne_u32_e32 vcc_lo, 0, v5
	v_cndmask_b32_e32 v5, 0x400000, v6, vcc_lo
	s_delay_alu instid0(VALU_DEP_1) | instskip(SKIP_1) | instid1(VALU_DEP_2)
	v_add_nc_u32_e32 v6, 0x7fff, v5
	v_cmp_o_f32_e32 vcc_lo, v5, v5
	v_lshrrev_b32_e32 v6, 16, v6
	s_delay_alu instid0(VALU_DEP_1)
	v_cndmask_b32_e32 v5, 0x7fc0, v6, vcc_lo
	s_branch .LBB175_161
.LBB175_159:
	s_mov_b32 s38, -1
	s_branch .LBB175_270
.LBB175_160:
	s_mov_b32 s3, -1
                                        ; implicit-def: $vgpr5
.LBB175_161:
	s_mov_b32 s38, 0
.LBB175_162:
	s_delay_alu instid0(SALU_CYCLE_1)
	s_and_b32 vcc_lo, exec_lo, s38
	s_cbranch_vccz .LBB175_166
; %bb.163:
	v_cmp_eq_u16_e32 vcc_lo, 29, v4
	s_cbranch_vccz .LBB175_165
; %bb.164:
	global_load_b64 v[5:6], v[2:3], off
	s_mov_b32 s2, -1
	s_mov_b32 s3, 0
	s_mov_b32 s38, 0
	s_waitcnt vmcnt(0)
	v_clz_i32_u32_e32 v8, v6
	s_delay_alu instid0(VALU_DEP_1) | instskip(NEXT) | instid1(VALU_DEP_1)
	v_min_u32_e32 v8, 32, v8
	v_lshlrev_b64 v[5:6], v8, v[5:6]
	s_delay_alu instid0(VALU_DEP_1) | instskip(NEXT) | instid1(VALU_DEP_1)
	v_min_u32_e32 v5, 1, v5
	v_or_b32_e32 v5, v6, v5
	v_sub_nc_u32_e32 v6, 32, v8
	s_delay_alu instid0(VALU_DEP_2) | instskip(NEXT) | instid1(VALU_DEP_1)
	v_cvt_f32_u32_e32 v5, v5
	v_ldexp_f32 v5, v5, v6
	s_delay_alu instid0(VALU_DEP_1) | instskip(NEXT) | instid1(VALU_DEP_1)
	v_bfe_u32 v6, v5, 16, 1
	v_add3_u32 v5, v5, v6, 0x7fff
	s_delay_alu instid0(VALU_DEP_1)
	v_lshrrev_b32_e32 v5, 16, v5
	s_branch .LBB175_167
.LBB175_165:
	s_mov_b32 s3, -1
                                        ; implicit-def: $vgpr5
.LBB175_166:
	s_mov_b32 s38, 0
.LBB175_167:
	s_delay_alu instid0(SALU_CYCLE_1)
	s_and_b32 vcc_lo, exec_lo, s38
	s_cbranch_vccz .LBB175_185
; %bb.168:
	v_cmp_gt_i16_e32 vcc_lo, 27, v4
	s_cbranch_vccnz .LBB175_171
; %bb.169:
	v_cmp_lt_i16_e32 vcc_lo, 27, v4
	s_cbranch_vccz .LBB175_172
; %bb.170:
	global_load_b32 v5, v[2:3], off
	s_mov_b32 s2, 0
	s_waitcnt vmcnt(0)
	v_cvt_f32_u32_e32 v5, v5
	s_delay_alu instid0(VALU_DEP_1) | instskip(NEXT) | instid1(VALU_DEP_1)
	v_bfe_u32 v6, v5, 16, 1
	v_add3_u32 v5, v5, v6, 0x7fff
	s_delay_alu instid0(VALU_DEP_1)
	v_lshrrev_b32_e32 v5, 16, v5
	s_branch .LBB175_173
.LBB175_171:
	s_mov_b32 s2, -1
                                        ; implicit-def: $vgpr5
	s_branch .LBB175_176
.LBB175_172:
	s_mov_b32 s2, -1
                                        ; implicit-def: $vgpr5
.LBB175_173:
	s_delay_alu instid0(SALU_CYCLE_1)
	s_and_not1_b32 vcc_lo, exec_lo, s2
	s_cbranch_vccnz .LBB175_175
; %bb.174:
	global_load_u16 v5, v[2:3], off
	s_waitcnt vmcnt(0)
	v_cvt_f32_u32_e32 v5, v5
	s_delay_alu instid0(VALU_DEP_1) | instskip(NEXT) | instid1(VALU_DEP_1)
	v_bfe_u32 v6, v5, 16, 1
	v_add3_u32 v5, v5, v6, 0x7fff
	s_delay_alu instid0(VALU_DEP_1)
	v_lshrrev_b32_e32 v5, 16, v5
.LBB175_175:
	s_mov_b32 s2, 0
.LBB175_176:
	s_delay_alu instid0(SALU_CYCLE_1)
	s_and_not1_b32 vcc_lo, exec_lo, s2
	s_cbranch_vccnz .LBB175_184
; %bb.177:
	global_load_u8 v5, v[2:3], off
	s_mov_b32 s2, 0
	s_mov_b32 s39, exec_lo
                                        ; implicit-def: $sgpr38
	s_waitcnt vmcnt(0)
	v_cmpx_lt_i16_e32 0x7f, v5
	s_xor_b32 s39, exec_lo, s39
	s_cbranch_execz .LBB175_197
; %bb.178:
	s_mov_b32 s2, -1
	s_mov_b32 s40, exec_lo
                                        ; implicit-def: $sgpr38
	v_cmpx_eq_u16_e32 0x80, v5
; %bb.179:
	s_mov_b32 s38, 0x7f800001
	s_xor_b32 s2, exec_lo, -1
; %bb.180:
	s_or_b32 exec_lo, exec_lo, s40
	s_delay_alu instid0(SALU_CYCLE_1)
	s_and_b32 s2, s2, exec_lo
	s_or_saveexec_b32 s39, s39
	v_mov_b32_e32 v6, s38
	s_xor_b32 exec_lo, exec_lo, s39
	s_cbranch_execnz .LBB175_198
.LBB175_181:
	s_or_b32 exec_lo, exec_lo, s39
	s_and_saveexec_b32 s38, s2
	s_cbranch_execz .LBB175_183
.LBB175_182:
	v_and_b32_e32 v6, 0xffff, v5
	s_delay_alu instid0(VALU_DEP_1) | instskip(NEXT) | instid1(VALU_DEP_1)
	v_and_b32_e32 v8, 7, v6
	v_clz_i32_u32_e32 v9, v8
	s_delay_alu instid0(VALU_DEP_1) | instskip(NEXT) | instid1(VALU_DEP_1)
	v_min_u32_e32 v9, 32, v9
	v_subrev_nc_u32_e32 v10, 28, v9
	v_sub_nc_u32_e32 v9, 29, v9
	s_delay_alu instid0(VALU_DEP_2) | instskip(SKIP_1) | instid1(VALU_DEP_2)
	v_lshlrev_b32_e32 v10, v10, v6
	v_bfe_u32 v6, v6, 3, 4
	v_and_b32_e32 v10, 7, v10
	s_delay_alu instid0(VALU_DEP_2) | instskip(NEXT) | instid1(VALU_DEP_2)
	v_cmp_eq_u32_e32 vcc_lo, 0, v6
	v_dual_cndmask_b32 v8, v8, v10 :: v_dual_lshlrev_b32 v5, 24, v5
	v_cndmask_b32_e32 v6, v6, v9, vcc_lo
	s_delay_alu instid0(VALU_DEP_2) | instskip(NEXT) | instid1(VALU_DEP_3)
	v_and_b32_e32 v5, 0x80000000, v5
	v_lshlrev_b32_e32 v8, 20, v8
	s_delay_alu instid0(VALU_DEP_3) | instskip(NEXT) | instid1(VALU_DEP_1)
	v_lshl_add_u32 v6, v6, 23, 0x3b800000
	v_or3_b32 v6, v5, v6, v8
.LBB175_183:
	s_or_b32 exec_lo, exec_lo, s38
	s_delay_alu instid0(VALU_DEP_1) | instskip(SKIP_1) | instid1(VALU_DEP_2)
	v_bfe_u32 v5, v6, 16, 1
	v_cmp_o_f32_e32 vcc_lo, v6, v6
	v_add3_u32 v5, v6, v5, 0x7fff
	s_delay_alu instid0(VALU_DEP_1) | instskip(NEXT) | instid1(VALU_DEP_1)
	v_lshrrev_b32_e32 v5, 16, v5
	v_cndmask_b32_e32 v5, 0x7fc0, v5, vcc_lo
.LBB175_184:
	s_mov_b32 s2, -1
.LBB175_185:
	s_branch .LBB175_220
.LBB175_186:
	v_cmp_lt_i16_e32 vcc_lo, 22, v4
	s_cbranch_vccz .LBB175_196
; %bb.187:
	v_cmp_gt_i16_e32 vcc_lo, 24, v4
	s_cbranch_vccnz .LBB175_199
; %bb.188:
	v_cmp_lt_i16_e32 vcc_lo, 24, v4
	s_cbranch_vccz .LBB175_200
; %bb.189:
	global_load_u8 v5, v[2:3], off
	s_mov_b32 s2, 0
	s_mov_b32 s39, exec_lo
                                        ; implicit-def: $sgpr38
	s_waitcnt vmcnt(0)
	v_cmpx_lt_i16_e32 0x7f, v5
	s_xor_b32 s39, exec_lo, s39
	s_cbranch_execz .LBB175_212
; %bb.190:
	s_mov_b32 s2, -1
	s_mov_b32 s40, exec_lo
                                        ; implicit-def: $sgpr38
	v_cmpx_eq_u16_e32 0x80, v5
; %bb.191:
	s_mov_b32 s38, 0x7f800001
	s_xor_b32 s2, exec_lo, -1
; %bb.192:
	s_or_b32 exec_lo, exec_lo, s40
	s_delay_alu instid0(SALU_CYCLE_1)
	s_and_b32 s2, s2, exec_lo
	s_or_saveexec_b32 s39, s39
	v_mov_b32_e32 v6, s38
	s_xor_b32 exec_lo, exec_lo, s39
	s_cbranch_execnz .LBB175_213
.LBB175_193:
	s_or_b32 exec_lo, exec_lo, s39
	s_and_saveexec_b32 s38, s2
	s_cbranch_execz .LBB175_195
.LBB175_194:
	v_and_b32_e32 v6, 0xffff, v5
	s_delay_alu instid0(VALU_DEP_1) | instskip(NEXT) | instid1(VALU_DEP_1)
	v_and_b32_e32 v8, 3, v6
	v_clz_i32_u32_e32 v9, v8
	s_delay_alu instid0(VALU_DEP_1) | instskip(NEXT) | instid1(VALU_DEP_1)
	v_min_u32_e32 v9, 32, v9
	v_subrev_nc_u32_e32 v10, 29, v9
	v_sub_nc_u32_e32 v9, 30, v9
	s_delay_alu instid0(VALU_DEP_2) | instskip(SKIP_1) | instid1(VALU_DEP_2)
	v_lshlrev_b32_e32 v10, v10, v6
	v_bfe_u32 v6, v6, 2, 5
	v_and_b32_e32 v10, 3, v10
	s_delay_alu instid0(VALU_DEP_2) | instskip(NEXT) | instid1(VALU_DEP_2)
	v_cmp_eq_u32_e32 vcc_lo, 0, v6
	v_dual_cndmask_b32 v8, v8, v10 :: v_dual_lshlrev_b32 v5, 24, v5
	v_cndmask_b32_e32 v6, v6, v9, vcc_lo
	s_delay_alu instid0(VALU_DEP_2) | instskip(NEXT) | instid1(VALU_DEP_3)
	v_and_b32_e32 v5, 0x80000000, v5
	v_lshlrev_b32_e32 v8, 21, v8
	s_delay_alu instid0(VALU_DEP_3) | instskip(NEXT) | instid1(VALU_DEP_1)
	v_lshl_add_u32 v6, v6, 23, 0x37800000
	v_or3_b32 v6, v5, v6, v8
.LBB175_195:
	s_or_b32 exec_lo, exec_lo, s38
	s_delay_alu instid0(VALU_DEP_1) | instskip(SKIP_2) | instid1(VALU_DEP_2)
	v_bfe_u32 v5, v6, 16, 1
	v_cmp_o_f32_e32 vcc_lo, v6, v6
	s_mov_b32 s2, 0
	v_add3_u32 v5, v6, v5, 0x7fff
	s_delay_alu instid0(VALU_DEP_1) | instskip(NEXT) | instid1(VALU_DEP_1)
	v_lshrrev_b32_e32 v5, 16, v5
	v_cndmask_b32_e32 v5, 0x7fc0, v5, vcc_lo
	s_branch .LBB175_201
.LBB175_196:
	s_mov_b32 s38, -1
                                        ; implicit-def: $vgpr5
	s_branch .LBB175_207
.LBB175_197:
	s_or_saveexec_b32 s39, s39
	v_mov_b32_e32 v6, s38
	s_xor_b32 exec_lo, exec_lo, s39
	s_cbranch_execz .LBB175_181
.LBB175_198:
	v_cmp_ne_u16_e32 vcc_lo, 0, v5
	v_mov_b32_e32 v6, 0
	s_and_not1_b32 s2, s2, exec_lo
	s_and_b32 s38, vcc_lo, exec_lo
	s_delay_alu instid0(SALU_CYCLE_1)
	s_or_b32 s2, s2, s38
	s_or_b32 exec_lo, exec_lo, s39
	s_and_saveexec_b32 s38, s2
	s_cbranch_execnz .LBB175_182
	s_branch .LBB175_183
.LBB175_199:
	s_mov_b32 s2, -1
                                        ; implicit-def: $vgpr5
	s_branch .LBB175_204
.LBB175_200:
	s_mov_b32 s2, -1
                                        ; implicit-def: $vgpr5
.LBB175_201:
	s_delay_alu instid0(SALU_CYCLE_1)
	s_and_b32 vcc_lo, exec_lo, s2
	s_cbranch_vccz .LBB175_203
; %bb.202:
	global_load_u8 v5, v[2:3], off
	s_waitcnt vmcnt(0)
	v_lshlrev_b32_e32 v5, 24, v5
	s_delay_alu instid0(VALU_DEP_1) | instskip(NEXT) | instid1(VALU_DEP_1)
	v_and_b32_e32 v6, 0x7f000000, v5
	v_clz_i32_u32_e32 v8, v6
	v_add_nc_u32_e32 v10, 0x1000000, v6
	v_cmp_ne_u32_e32 vcc_lo, 0, v6
	s_delay_alu instid0(VALU_DEP_3) | instskip(NEXT) | instid1(VALU_DEP_1)
	v_min_u32_e32 v8, 32, v8
	v_sub_nc_u32_e64 v8, v8, 4 clamp
	s_delay_alu instid0(VALU_DEP_1) | instskip(SKIP_1) | instid1(VALU_DEP_2)
	v_lshlrev_b32_e32 v9, v8, v6
	v_lshlrev_b32_e32 v8, 23, v8
	v_lshrrev_b32_e32 v9, 4, v9
	s_delay_alu instid0(VALU_DEP_1) | instskip(SKIP_1) | instid1(VALU_DEP_2)
	v_sub_nc_u32_e32 v8, v9, v8
	v_ashrrev_i32_e32 v9, 8, v10
	v_add_nc_u32_e32 v8, 0x3c000000, v8
	s_delay_alu instid0(VALU_DEP_1) | instskip(NEXT) | instid1(VALU_DEP_1)
	v_and_or_b32 v8, 0x7f800000, v9, v8
	v_cndmask_b32_e32 v6, 0, v8, vcc_lo
	s_delay_alu instid0(VALU_DEP_1) | instskip(SKIP_1) | instid1(VALU_DEP_2)
	v_and_or_b32 v5, 0x80000000, v5, v6
	v_bfe_u32 v6, v6, 16, 1
	v_cmp_o_f32_e32 vcc_lo, v5, v5
	s_delay_alu instid0(VALU_DEP_2) | instskip(NEXT) | instid1(VALU_DEP_1)
	v_add3_u32 v6, v5, v6, 0x7fff
	v_lshrrev_b32_e32 v6, 16, v6
	s_delay_alu instid0(VALU_DEP_1)
	v_cndmask_b32_e32 v5, 0x7fc0, v6, vcc_lo
.LBB175_203:
	s_mov_b32 s2, 0
.LBB175_204:
	s_delay_alu instid0(SALU_CYCLE_1)
	s_and_not1_b32 vcc_lo, exec_lo, s2
	s_cbranch_vccnz .LBB175_206
; %bb.205:
	global_load_u8 v5, v[2:3], off
	s_waitcnt vmcnt(0)
	v_lshlrev_b32_e32 v6, 25, v5
	v_lshlrev_b16 v5, 8, v5
	s_delay_alu instid0(VALU_DEP_2) | instskip(NEXT) | instid1(VALU_DEP_2)
	v_lshrrev_b32_e32 v8, 4, v6
	v_and_or_b32 v9, 0x7f00, v5, 0.5
	v_cmp_gt_u32_e32 vcc_lo, 0x8000000, v6
	v_bfe_i32 v5, v5, 0, 16
	s_delay_alu instid0(VALU_DEP_4) | instskip(NEXT) | instid1(VALU_DEP_1)
	v_or_b32_e32 v8, 0x70000000, v8
	v_dual_add_f32 v9, -0.5, v9 :: v_dual_mul_f32 v8, 0x7800000, v8
	s_delay_alu instid0(VALU_DEP_1) | instskip(NEXT) | instid1(VALU_DEP_1)
	v_cndmask_b32_e32 v6, v8, v9, vcc_lo
	v_and_or_b32 v5, 0x80000000, v5, v6
	v_bfe_u32 v6, v6, 16, 1
	s_delay_alu instid0(VALU_DEP_2) | instskip(NEXT) | instid1(VALU_DEP_2)
	v_cmp_o_f32_e32 vcc_lo, v5, v5
	v_add3_u32 v6, v5, v6, 0x7fff
	s_delay_alu instid0(VALU_DEP_1) | instskip(NEXT) | instid1(VALU_DEP_1)
	v_lshrrev_b32_e32 v6, 16, v6
	v_cndmask_b32_e32 v5, 0x7fc0, v6, vcc_lo
.LBB175_206:
	s_mov_b32 s38, 0
	s_mov_b32 s2, -1
.LBB175_207:
	s_and_not1_b32 vcc_lo, exec_lo, s38
	s_cbranch_vccnz .LBB175_220
; %bb.208:
	v_cmp_lt_i16_e32 vcc_lo, 14, v4
	s_cbranch_vccz .LBB175_211
; %bb.209:
	v_cmp_eq_u16_e32 vcc_lo, 15, v4
	s_cbranch_vccz .LBB175_214
; %bb.210:
	global_load_u16 v5, v[2:3], off
	s_mov_b32 s2, -1
	s_mov_b32 s3, 0
	s_branch .LBB175_215
.LBB175_211:
	s_mov_b32 s38, -1
                                        ; implicit-def: $vgpr5
	s_branch .LBB175_216
.LBB175_212:
	s_or_saveexec_b32 s39, s39
	v_mov_b32_e32 v6, s38
	s_xor_b32 exec_lo, exec_lo, s39
	s_cbranch_execz .LBB175_193
.LBB175_213:
	v_cmp_ne_u16_e32 vcc_lo, 0, v5
	v_mov_b32_e32 v6, 0
	s_and_not1_b32 s2, s2, exec_lo
	s_and_b32 s38, vcc_lo, exec_lo
	s_delay_alu instid0(SALU_CYCLE_1)
	s_or_b32 s2, s2, s38
	s_or_b32 exec_lo, exec_lo, s39
	s_and_saveexec_b32 s38, s2
	s_cbranch_execnz .LBB175_194
	s_branch .LBB175_195
.LBB175_214:
	s_mov_b32 s3, -1
                                        ; implicit-def: $vgpr5
.LBB175_215:
	s_mov_b32 s38, 0
.LBB175_216:
	s_delay_alu instid0(SALU_CYCLE_1)
	s_and_b32 vcc_lo, exec_lo, s38
	s_cbranch_vccz .LBB175_220
; %bb.217:
	v_cmp_eq_u16_e32 vcc_lo, 11, v4
	s_cbranch_vccz .LBB175_219
; %bb.218:
	global_load_u8 v5, v[2:3], off
	s_mov_b32 s3, 0
	s_mov_b32 s2, -1
	s_waitcnt vmcnt(0)
	v_cmp_ne_u16_e32 vcc_lo, 0, v5
	v_cndmask_b32_e64 v5, 0, 1.0, vcc_lo
	s_delay_alu instid0(VALU_DEP_1)
	v_lshrrev_b32_e32 v5, 16, v5
	s_branch .LBB175_220
.LBB175_219:
	s_mov_b32 s3, -1
                                        ; implicit-def: $vgpr5
.LBB175_220:
	s_branch .LBB175_20
.LBB175_221:
	v_cmp_gt_i16_e32 vcc_lo, 5, v4
	s_cbranch_vccnz .LBB175_226
; %bb.222:
	v_cmp_gt_i16_e32 vcc_lo, 8, v4
	s_cbranch_vccnz .LBB175_227
; %bb.223:
	;; [unrolled: 3-line block ×3, first 2 shown]
	v_cmp_lt_i16_e32 vcc_lo, 9, v4
	s_cbranch_vccz .LBB175_229
; %bb.225:
	global_load_b64 v[5:6], v[2:3], off
	s_mov_b32 s2, 0
	s_waitcnt vmcnt(0)
	v_cvt_f32_f64_e32 v5, v[5:6]
	s_delay_alu instid0(VALU_DEP_1) | instskip(SKIP_1) | instid1(VALU_DEP_2)
	v_bfe_u32 v6, v5, 16, 1
	v_cmp_o_f32_e32 vcc_lo, v5, v5
	v_add3_u32 v6, v5, v6, 0x7fff
	s_delay_alu instid0(VALU_DEP_1) | instskip(NEXT) | instid1(VALU_DEP_1)
	v_lshrrev_b32_e32 v6, 16, v6
	v_cndmask_b32_e32 v5, 0x7fc0, v6, vcc_lo
	s_branch .LBB175_230
.LBB175_226:
                                        ; implicit-def: $vgpr5
	s_branch .LBB175_248
.LBB175_227:
	s_mov_b32 s2, -1
                                        ; implicit-def: $vgpr5
	s_branch .LBB175_236
.LBB175_228:
	s_mov_b32 s2, -1
                                        ; implicit-def: $vgpr5
	s_branch .LBB175_233
.LBB175_229:
	s_mov_b32 s2, -1
                                        ; implicit-def: $vgpr5
.LBB175_230:
	s_delay_alu instid0(SALU_CYCLE_1)
	s_and_not1_b32 vcc_lo, exec_lo, s2
	s_cbranch_vccnz .LBB175_232
; %bb.231:
	global_load_b32 v5, v[2:3], off
	s_waitcnt vmcnt(0)
	v_bfe_u32 v6, v5, 16, 1
	v_cmp_o_f32_e32 vcc_lo, v5, v5
	s_delay_alu instid0(VALU_DEP_2) | instskip(NEXT) | instid1(VALU_DEP_1)
	v_add3_u32 v6, v5, v6, 0x7fff
	v_lshrrev_b32_e32 v6, 16, v6
	s_delay_alu instid0(VALU_DEP_1)
	v_cndmask_b32_e32 v5, 0x7fc0, v6, vcc_lo
.LBB175_232:
	s_mov_b32 s2, 0
.LBB175_233:
	s_delay_alu instid0(SALU_CYCLE_1)
	s_and_not1_b32 vcc_lo, exec_lo, s2
	s_cbranch_vccnz .LBB175_235
; %bb.234:
	global_load_b32 v5, v[2:3], off
	s_waitcnt vmcnt(0)
	v_cvt_f32_f16_e32 v6, v5
	v_cmp_o_f16_e32 vcc_lo, v5, v5
	s_delay_alu instid0(VALU_DEP_2) | instskip(NEXT) | instid1(VALU_DEP_1)
	v_bfe_u32 v8, v6, 16, 1
	v_add3_u32 v6, v6, v8, 0x7fff
	s_delay_alu instid0(VALU_DEP_1) | instskip(NEXT) | instid1(VALU_DEP_1)
	v_lshrrev_b32_e32 v6, 16, v6
	v_cndmask_b32_e32 v5, 0x7fc0, v6, vcc_lo
.LBB175_235:
	s_mov_b32 s2, 0
.LBB175_236:
	s_delay_alu instid0(SALU_CYCLE_1)
	s_and_not1_b32 vcc_lo, exec_lo, s2
	s_cbranch_vccnz .LBB175_247
; %bb.237:
	v_cmp_gt_i16_e32 vcc_lo, 6, v4
	s_cbranch_vccnz .LBB175_240
; %bb.238:
	v_cmp_lt_i16_e32 vcc_lo, 6, v4
	s_cbranch_vccz .LBB175_241
; %bb.239:
	global_load_b64 v[5:6], v[2:3], off
	s_mov_b32 s2, 0
	s_waitcnt vmcnt(0)
	v_cvt_f32_f64_e32 v5, v[5:6]
	s_delay_alu instid0(VALU_DEP_1) | instskip(SKIP_1) | instid1(VALU_DEP_2)
	v_bfe_u32 v6, v5, 16, 1
	v_cmp_o_f32_e32 vcc_lo, v5, v5
	v_add3_u32 v6, v5, v6, 0x7fff
	s_delay_alu instid0(VALU_DEP_1) | instskip(NEXT) | instid1(VALU_DEP_1)
	v_lshrrev_b32_e32 v6, 16, v6
	v_cndmask_b32_e32 v5, 0x7fc0, v6, vcc_lo
	s_branch .LBB175_242
.LBB175_240:
	s_mov_b32 s2, -1
                                        ; implicit-def: $vgpr5
	s_branch .LBB175_245
.LBB175_241:
	s_mov_b32 s2, -1
                                        ; implicit-def: $vgpr5
.LBB175_242:
	s_delay_alu instid0(SALU_CYCLE_1)
	s_and_not1_b32 vcc_lo, exec_lo, s2
	s_cbranch_vccnz .LBB175_244
; %bb.243:
	global_load_b32 v5, v[2:3], off
	s_waitcnt vmcnt(0)
	v_bfe_u32 v6, v5, 16, 1
	v_cmp_o_f32_e32 vcc_lo, v5, v5
	s_delay_alu instid0(VALU_DEP_2) | instskip(NEXT) | instid1(VALU_DEP_1)
	v_add3_u32 v6, v5, v6, 0x7fff
	v_lshrrev_b32_e32 v6, 16, v6
	s_delay_alu instid0(VALU_DEP_1)
	v_cndmask_b32_e32 v5, 0x7fc0, v6, vcc_lo
.LBB175_244:
	s_mov_b32 s2, 0
.LBB175_245:
	s_delay_alu instid0(SALU_CYCLE_1)
	s_and_not1_b32 vcc_lo, exec_lo, s2
	s_cbranch_vccnz .LBB175_247
; %bb.246:
	global_load_u16 v5, v[2:3], off
	s_waitcnt vmcnt(0)
	v_cvt_f32_f16_e32 v6, v5
	v_cmp_o_f16_e32 vcc_lo, v5, v5
	s_delay_alu instid0(VALU_DEP_2) | instskip(NEXT) | instid1(VALU_DEP_1)
	v_bfe_u32 v8, v6, 16, 1
	v_add3_u32 v6, v6, v8, 0x7fff
	s_delay_alu instid0(VALU_DEP_1) | instskip(NEXT) | instid1(VALU_DEP_1)
	v_lshrrev_b32_e32 v6, 16, v6
	v_cndmask_b32_e32 v5, 0x7fc0, v6, vcc_lo
.LBB175_247:
	s_cbranch_execnz .LBB175_267
.LBB175_248:
	v_cmp_gt_i16_e32 vcc_lo, 2, v4
	s_cbranch_vccnz .LBB175_252
; %bb.249:
	v_cmp_gt_i16_e32 vcc_lo, 3, v4
	s_cbranch_vccnz .LBB175_253
; %bb.250:
	v_cmp_lt_i16_e32 vcc_lo, 3, v4
	s_cbranch_vccz .LBB175_254
; %bb.251:
	global_load_b64 v[5:6], v[2:3], off
	s_mov_b32 s2, 0
	s_waitcnt vmcnt(0)
	v_xor_b32_e32 v8, v5, v6
	v_cls_i32_e32 v9, v6
	s_delay_alu instid0(VALU_DEP_2) | instskip(NEXT) | instid1(VALU_DEP_2)
	v_ashrrev_i32_e32 v8, 31, v8
	v_add_nc_u32_e32 v9, -1, v9
	s_delay_alu instid0(VALU_DEP_2) | instskip(NEXT) | instid1(VALU_DEP_1)
	v_add_nc_u32_e32 v8, 32, v8
	v_min_u32_e32 v8, v9, v8
	s_delay_alu instid0(VALU_DEP_1) | instskip(NEXT) | instid1(VALU_DEP_1)
	v_lshlrev_b64 v[5:6], v8, v[5:6]
	v_min_u32_e32 v5, 1, v5
	s_delay_alu instid0(VALU_DEP_1) | instskip(SKIP_1) | instid1(VALU_DEP_2)
	v_or_b32_e32 v5, v6, v5
	v_sub_nc_u32_e32 v6, 32, v8
	v_cvt_f32_i32_e32 v5, v5
	s_delay_alu instid0(VALU_DEP_1) | instskip(NEXT) | instid1(VALU_DEP_1)
	v_ldexp_f32 v5, v5, v6
	v_bfe_u32 v6, v5, 16, 1
	s_delay_alu instid0(VALU_DEP_1) | instskip(NEXT) | instid1(VALU_DEP_1)
	v_add3_u32 v5, v5, v6, 0x7fff
	v_lshrrev_b32_e32 v5, 16, v5
	s_branch .LBB175_255
.LBB175_252:
	s_mov_b32 s2, -1
                                        ; implicit-def: $vgpr5
	s_branch .LBB175_261
.LBB175_253:
	s_mov_b32 s2, -1
                                        ; implicit-def: $vgpr5
	s_branch .LBB175_258
.LBB175_254:
	s_mov_b32 s2, -1
                                        ; implicit-def: $vgpr5
.LBB175_255:
	s_delay_alu instid0(SALU_CYCLE_1)
	s_and_not1_b32 vcc_lo, exec_lo, s2
	s_cbranch_vccnz .LBB175_257
; %bb.256:
	global_load_b32 v5, v[2:3], off
	s_waitcnt vmcnt(0)
	v_cvt_f32_i32_e32 v5, v5
	s_delay_alu instid0(VALU_DEP_1) | instskip(NEXT) | instid1(VALU_DEP_1)
	v_bfe_u32 v6, v5, 16, 1
	v_add3_u32 v5, v5, v6, 0x7fff
	s_delay_alu instid0(VALU_DEP_1)
	v_lshrrev_b32_e32 v5, 16, v5
.LBB175_257:
	s_mov_b32 s2, 0
.LBB175_258:
	s_delay_alu instid0(SALU_CYCLE_1)
	s_and_not1_b32 vcc_lo, exec_lo, s2
	s_cbranch_vccnz .LBB175_260
; %bb.259:
	global_load_i16 v5, v[2:3], off
	s_waitcnt vmcnt(0)
	v_cvt_f32_i32_e32 v5, v5
	s_delay_alu instid0(VALU_DEP_1) | instskip(NEXT) | instid1(VALU_DEP_1)
	v_bfe_u32 v6, v5, 16, 1
	v_add3_u32 v5, v5, v6, 0x7fff
	s_delay_alu instid0(VALU_DEP_1)
	v_lshrrev_b32_e32 v5, 16, v5
.LBB175_260:
	s_mov_b32 s2, 0
.LBB175_261:
	s_delay_alu instid0(SALU_CYCLE_1)
	s_and_not1_b32 vcc_lo, exec_lo, s2
	s_cbranch_vccnz .LBB175_267
; %bb.262:
	v_cmp_lt_i16_e32 vcc_lo, 0, v4
	s_mov_b32 s2, 0
	s_cbranch_vccz .LBB175_264
; %bb.263:
	global_load_i8 v4, v[2:3], off
	s_waitcnt vmcnt(0)
	v_cvt_f32_i32_e32 v4, v4
	s_delay_alu instid0(VALU_DEP_1) | instskip(NEXT) | instid1(VALU_DEP_1)
	v_bfe_u32 v5, v4, 16, 1
	v_add3_u32 v4, v4, v5, 0x7fff
	s_delay_alu instid0(VALU_DEP_1)
	v_lshrrev_b32_e32 v5, 16, v4
	s_branch .LBB175_265
.LBB175_264:
	s_mov_b32 s2, -1
                                        ; implicit-def: $vgpr5
.LBB175_265:
	s_delay_alu instid0(SALU_CYCLE_1)
	s_and_not1_b32 vcc_lo, exec_lo, s2
	s_cbranch_vccnz .LBB175_267
; %bb.266:
	global_load_u8 v2, v[2:3], off
	s_waitcnt vmcnt(0)
	v_cvt_f32_ubyte0_e32 v2, v2
	s_delay_alu instid0(VALU_DEP_1) | instskip(NEXT) | instid1(VALU_DEP_1)
	v_bfe_u32 v3, v2, 16, 1
	v_add3_u32 v2, v2, v3, 0x7fff
	s_delay_alu instid0(VALU_DEP_1)
	v_lshrrev_b32_e32 v5, 16, v2
.LBB175_267:
	s_branch .LBB175_21
.LBB175_268:
	s_mov_b32 s38, 0
	s_mov_b32 s39, 0
	s_branch .LBB175_383
.LBB175_269:
	s_mov_b32 s39, -1
.LBB175_270:
	s_mov_b32 s2, 0
                                        ; implicit-def: $vgpr3
.LBB175_271:
	s_and_b32 vcc_lo, exec_lo, s38
	s_cbranch_vccz .LBB175_277
; %bb.272:
	v_cmp_eq_u16_e32 vcc_lo, 44, v6
	s_cbranch_vccz .LBB175_276
; %bb.273:
	global_load_u8 v3, v[1:2], off
	s_mov_b32 s39, 0
	s_mov_b32 s2, -1
	s_waitcnt vmcnt(0)
	v_lshlrev_b32_e32 v4, 23, v3
	v_cmp_ne_u32_e32 vcc_lo, 0, v3
	s_delay_alu instid0(VALU_DEP_2) | instskip(NEXT) | instid1(VALU_DEP_1)
	v_trunc_f32_e32 v4, v4
	v_mul_f32_e64 v8, 0x2f800000, |v4|
	s_delay_alu instid0(VALU_DEP_1) | instskip(NEXT) | instid1(VALU_DEP_1)
	v_floor_f32_e32 v8, v8
	v_fma_f32 v8, 0xcf800000, v8, |v4|
	v_ashrrev_i32_e32 v4, 31, v4
	s_delay_alu instid0(VALU_DEP_2) | instskip(NEXT) | instid1(VALU_DEP_1)
	v_cvt_u32_f32_e32 v8, v8
	v_xor_b32_e32 v8, v8, v4
	s_delay_alu instid0(VALU_DEP_1) | instskip(NEXT) | instid1(VALU_DEP_1)
	v_sub_nc_u32_e32 v4, v8, v4
	v_cndmask_b32_e32 v3, 0, v4, vcc_lo
	s_branch .LBB175_277
.LBB175_274:
	s_or_saveexec_b32 s43, s43
                                        ; implicit-def: $sgpr44
	s_delay_alu instid0(SALU_CYCLE_1)
	s_xor_b32 exec_lo, exec_lo, s43
	s_cbranch_execz .LBB175_59
.LBB175_275:
	v_add_f32_e64 v5, 0x46000000, |v6|
	s_and_not1_b32 s40, s40, exec_lo
	s_mov_b32 s44, 0
	s_delay_alu instid0(VALU_DEP_1) | instskip(NEXT) | instid1(VALU_DEP_1)
	v_and_b32_e32 v5, 0xff, v5
	v_cmp_ne_u32_e32 vcc_lo, 0, v5
	s_and_b32 s45, vcc_lo, exec_lo
	s_delay_alu instid0(SALU_CYCLE_1)
	s_or_b32 s40, s40, s45
	s_or_b32 exec_lo, exec_lo, s43
	v_mov_b32_e32 v8, s44
	s_and_saveexec_b32 s43, s40
	s_cbranch_execnz .LBB175_60
	s_branch .LBB175_61
.LBB175_276:
	s_mov_b32 s39, -1
                                        ; implicit-def: $vgpr3
.LBB175_277:
	s_mov_b32 s38, 0
.LBB175_278:
	s_delay_alu instid0(SALU_CYCLE_1)
	s_and_b32 vcc_lo, exec_lo, s38
	s_cbranch_vccz .LBB175_282
; %bb.279:
	v_cmp_eq_u16_e32 vcc_lo, 29, v6
	s_cbranch_vccz .LBB175_281
; %bb.280:
	global_load_b64 v[3:4], v[1:2], off
	s_mov_b32 s2, -1
	s_mov_b32 s39, 0
	s_branch .LBB175_282
.LBB175_281:
	s_mov_b32 s39, -1
                                        ; implicit-def: $vgpr3
.LBB175_282:
	s_mov_b32 s38, 0
.LBB175_283:
	s_delay_alu instid0(SALU_CYCLE_1)
	s_and_b32 vcc_lo, exec_lo, s38
	s_cbranch_vccz .LBB175_299
; %bb.284:
	v_cmp_gt_i16_e32 vcc_lo, 27, v6
	s_cbranch_vccnz .LBB175_287
; %bb.285:
	v_cmp_lt_i16_e32 vcc_lo, 27, v6
	s_cbranch_vccz .LBB175_288
; %bb.286:
	global_load_b32 v3, v[1:2], off
	s_mov_b32 s2, 0
	s_branch .LBB175_289
.LBB175_287:
	s_mov_b32 s2, -1
                                        ; implicit-def: $vgpr3
	s_branch .LBB175_292
.LBB175_288:
	s_mov_b32 s2, -1
                                        ; implicit-def: $vgpr3
.LBB175_289:
	s_delay_alu instid0(SALU_CYCLE_1)
	s_and_not1_b32 vcc_lo, exec_lo, s2
	s_cbranch_vccnz .LBB175_291
; %bb.290:
	global_load_u16 v3, v[1:2], off
.LBB175_291:
	s_mov_b32 s2, 0
.LBB175_292:
	s_delay_alu instid0(SALU_CYCLE_1)
	s_and_not1_b32 vcc_lo, exec_lo, s2
	s_cbranch_vccnz .LBB175_298
; %bb.293:
	global_load_u8 v4, v[1:2], off
	s_mov_b32 s38, 0
	s_mov_b32 s2, exec_lo
                                        ; implicit-def: $sgpr40
	s_waitcnt vmcnt(0)
	v_cmpx_lt_i16_e32 0x7f, v4
	s_xor_b32 s2, exec_lo, s2
	s_cbranch_execz .LBB175_310
; %bb.294:
	v_cmp_ne_u16_e32 vcc_lo, 0x80, v4
	s_mov_b32 s40, 0
	s_and_b32 s38, vcc_lo, exec_lo
	s_or_saveexec_b32 s2, s2
	v_mov_b32_e32 v3, s40
	s_xor_b32 exec_lo, exec_lo, s2
	s_cbranch_execnz .LBB175_311
.LBB175_295:
	s_or_b32 exec_lo, exec_lo, s2
	s_and_saveexec_b32 s2, s38
	s_cbranch_execz .LBB175_297
.LBB175_296:
	v_and_b32_e32 v3, 0xffff, v4
	v_lshlrev_b32_e32 v4, 24, v4
	s_delay_alu instid0(VALU_DEP_2) | instskip(NEXT) | instid1(VALU_DEP_2)
	v_and_b32_e32 v8, 7, v3
	v_and_b32_e32 v4, 0x80000000, v4
	s_delay_alu instid0(VALU_DEP_2) | instskip(NEXT) | instid1(VALU_DEP_1)
	v_clz_i32_u32_e32 v9, v8
	v_min_u32_e32 v9, 32, v9
	s_delay_alu instid0(VALU_DEP_1) | instskip(SKIP_1) | instid1(VALU_DEP_2)
	v_subrev_nc_u32_e32 v10, 28, v9
	v_sub_nc_u32_e32 v9, 29, v9
	v_lshlrev_b32_e32 v10, v10, v3
	v_bfe_u32 v3, v3, 3, 4
	s_delay_alu instid0(VALU_DEP_2) | instskip(NEXT) | instid1(VALU_DEP_2)
	v_and_b32_e32 v10, 7, v10
	v_cmp_eq_u32_e32 vcc_lo, 0, v3
	s_delay_alu instid0(VALU_DEP_2) | instskip(NEXT) | instid1(VALU_DEP_1)
	v_dual_cndmask_b32 v3, v3, v9 :: v_dual_cndmask_b32 v8, v8, v10
	v_lshl_add_u32 v3, v3, 23, 0x3b800000
	s_delay_alu instid0(VALU_DEP_2) | instskip(NEXT) | instid1(VALU_DEP_1)
	v_lshlrev_b32_e32 v8, 20, v8
	v_or3_b32 v3, v4, v3, v8
	s_delay_alu instid0(VALU_DEP_1) | instskip(NEXT) | instid1(VALU_DEP_1)
	v_trunc_f32_e32 v3, v3
	v_mul_f32_e64 v4, 0x2f800000, |v3|
	s_delay_alu instid0(VALU_DEP_1) | instskip(NEXT) | instid1(VALU_DEP_1)
	v_floor_f32_e32 v4, v4
	v_fma_f32 v4, 0xcf800000, v4, |v3|
	v_ashrrev_i32_e32 v3, 31, v3
	s_delay_alu instid0(VALU_DEP_2) | instskip(NEXT) | instid1(VALU_DEP_1)
	v_cvt_u32_f32_e32 v4, v4
	v_xor_b32_e32 v4, v4, v3
	s_delay_alu instid0(VALU_DEP_1)
	v_sub_nc_u32_e32 v3, v4, v3
.LBB175_297:
	s_or_b32 exec_lo, exec_lo, s2
.LBB175_298:
	s_mov_b32 s2, -1
.LBB175_299:
	s_mov_b32 s38, 0
.LBB175_300:
	s_delay_alu instid0(SALU_CYCLE_1)
	s_and_b32 vcc_lo, exec_lo, s38
	s_cbranch_vccz .LBB175_333
; %bb.301:
	v_cmp_lt_i16_e32 vcc_lo, 22, v6
	s_cbranch_vccz .LBB175_309
; %bb.302:
	v_cmp_gt_i16_e32 vcc_lo, 24, v6
	s_cbranch_vccnz .LBB175_312
; %bb.303:
	v_cmp_lt_i16_e32 vcc_lo, 24, v6
	s_cbranch_vccz .LBB175_313
; %bb.304:
	global_load_u8 v4, v[1:2], off
	s_mov_b32 s38, 0
	s_mov_b32 s2, exec_lo
                                        ; implicit-def: $sgpr40
	s_waitcnt vmcnt(0)
	v_cmpx_lt_i16_e32 0x7f, v4
	s_xor_b32 s2, exec_lo, s2
	s_cbranch_execz .LBB175_325
; %bb.305:
	v_cmp_ne_u16_e32 vcc_lo, 0x80, v4
	s_mov_b32 s40, 0
	s_and_b32 s38, vcc_lo, exec_lo
	s_or_saveexec_b32 s2, s2
	v_mov_b32_e32 v3, s40
	s_xor_b32 exec_lo, exec_lo, s2
	s_cbranch_execnz .LBB175_326
.LBB175_306:
	s_or_b32 exec_lo, exec_lo, s2
	s_and_saveexec_b32 s2, s38
	s_cbranch_execz .LBB175_308
.LBB175_307:
	v_and_b32_e32 v3, 0xffff, v4
	v_lshlrev_b32_e32 v4, 24, v4
	s_delay_alu instid0(VALU_DEP_2) | instskip(NEXT) | instid1(VALU_DEP_2)
	v_and_b32_e32 v8, 3, v3
	v_and_b32_e32 v4, 0x80000000, v4
	s_delay_alu instid0(VALU_DEP_2) | instskip(NEXT) | instid1(VALU_DEP_1)
	v_clz_i32_u32_e32 v9, v8
	v_min_u32_e32 v9, 32, v9
	s_delay_alu instid0(VALU_DEP_1) | instskip(SKIP_1) | instid1(VALU_DEP_2)
	v_subrev_nc_u32_e32 v10, 29, v9
	v_sub_nc_u32_e32 v9, 30, v9
	v_lshlrev_b32_e32 v10, v10, v3
	v_bfe_u32 v3, v3, 2, 5
	s_delay_alu instid0(VALU_DEP_2) | instskip(NEXT) | instid1(VALU_DEP_2)
	v_and_b32_e32 v10, 3, v10
	v_cmp_eq_u32_e32 vcc_lo, 0, v3
	s_delay_alu instid0(VALU_DEP_2) | instskip(NEXT) | instid1(VALU_DEP_1)
	v_dual_cndmask_b32 v3, v3, v9 :: v_dual_cndmask_b32 v8, v8, v10
	v_lshl_add_u32 v3, v3, 23, 0x37800000
	s_delay_alu instid0(VALU_DEP_2) | instskip(NEXT) | instid1(VALU_DEP_1)
	v_lshlrev_b32_e32 v8, 21, v8
	v_or3_b32 v3, v4, v3, v8
	s_delay_alu instid0(VALU_DEP_1) | instskip(NEXT) | instid1(VALU_DEP_1)
	v_trunc_f32_e32 v3, v3
	v_mul_f32_e64 v4, 0x2f800000, |v3|
	s_delay_alu instid0(VALU_DEP_1) | instskip(NEXT) | instid1(VALU_DEP_1)
	v_floor_f32_e32 v4, v4
	v_fma_f32 v4, 0xcf800000, v4, |v3|
	v_ashrrev_i32_e32 v3, 31, v3
	s_delay_alu instid0(VALU_DEP_2) | instskip(NEXT) | instid1(VALU_DEP_1)
	v_cvt_u32_f32_e32 v4, v4
	v_xor_b32_e32 v4, v4, v3
	s_delay_alu instid0(VALU_DEP_1)
	v_sub_nc_u32_e32 v3, v4, v3
.LBB175_308:
	s_or_b32 exec_lo, exec_lo, s2
	s_mov_b32 s2, 0
	s_branch .LBB175_314
.LBB175_309:
	s_mov_b32 s38, -1
                                        ; implicit-def: $vgpr3
	s_branch .LBB175_320
.LBB175_310:
	s_or_saveexec_b32 s2, s2
	v_mov_b32_e32 v3, s40
	s_xor_b32 exec_lo, exec_lo, s2
	s_cbranch_execz .LBB175_295
.LBB175_311:
	v_cmp_ne_u16_e32 vcc_lo, 0, v4
	v_mov_b32_e32 v3, 0
	s_and_not1_b32 s38, s38, exec_lo
	s_and_b32 s40, vcc_lo, exec_lo
	s_delay_alu instid0(SALU_CYCLE_1)
	s_or_b32 s38, s38, s40
	s_or_b32 exec_lo, exec_lo, s2
	s_and_saveexec_b32 s2, s38
	s_cbranch_execnz .LBB175_296
	s_branch .LBB175_297
.LBB175_312:
	s_mov_b32 s2, -1
                                        ; implicit-def: $vgpr3
	s_branch .LBB175_317
.LBB175_313:
	s_mov_b32 s2, -1
                                        ; implicit-def: $vgpr3
.LBB175_314:
	s_delay_alu instid0(SALU_CYCLE_1)
	s_and_b32 vcc_lo, exec_lo, s2
	s_cbranch_vccz .LBB175_316
; %bb.315:
	global_load_u8 v3, v[1:2], off
	s_waitcnt vmcnt(0)
	v_lshlrev_b32_e32 v3, 24, v3
	s_delay_alu instid0(VALU_DEP_1) | instskip(NEXT) | instid1(VALU_DEP_1)
	v_and_b32_e32 v4, 0x7f000000, v3
	v_clz_i32_u32_e32 v8, v4
	v_add_nc_u32_e32 v10, 0x1000000, v4
	v_cmp_ne_u32_e32 vcc_lo, 0, v4
	s_delay_alu instid0(VALU_DEP_3) | instskip(NEXT) | instid1(VALU_DEP_1)
	v_min_u32_e32 v8, 32, v8
	v_sub_nc_u32_e64 v8, v8, 4 clamp
	s_delay_alu instid0(VALU_DEP_1) | instskip(SKIP_1) | instid1(VALU_DEP_2)
	v_lshlrev_b32_e32 v9, v8, v4
	v_lshlrev_b32_e32 v8, 23, v8
	v_lshrrev_b32_e32 v9, 4, v9
	s_delay_alu instid0(VALU_DEP_1) | instskip(SKIP_1) | instid1(VALU_DEP_2)
	v_sub_nc_u32_e32 v8, v9, v8
	v_ashrrev_i32_e32 v9, 8, v10
	v_add_nc_u32_e32 v8, 0x3c000000, v8
	s_delay_alu instid0(VALU_DEP_1) | instskip(NEXT) | instid1(VALU_DEP_1)
	v_and_or_b32 v8, 0x7f800000, v9, v8
	v_cndmask_b32_e32 v4, 0, v8, vcc_lo
	s_delay_alu instid0(VALU_DEP_1) | instskip(NEXT) | instid1(VALU_DEP_1)
	v_and_or_b32 v3, 0x80000000, v3, v4
	v_trunc_f32_e32 v3, v3
	s_delay_alu instid0(VALU_DEP_1) | instskip(NEXT) | instid1(VALU_DEP_1)
	v_mul_f32_e64 v4, 0x2f800000, |v3|
	v_floor_f32_e32 v4, v4
	s_delay_alu instid0(VALU_DEP_1) | instskip(SKIP_1) | instid1(VALU_DEP_2)
	v_fma_f32 v4, 0xcf800000, v4, |v3|
	v_ashrrev_i32_e32 v3, 31, v3
	v_cvt_u32_f32_e32 v4, v4
	s_delay_alu instid0(VALU_DEP_1) | instskip(NEXT) | instid1(VALU_DEP_1)
	v_xor_b32_e32 v4, v4, v3
	v_sub_nc_u32_e32 v3, v4, v3
.LBB175_316:
	s_mov_b32 s2, 0
.LBB175_317:
	s_delay_alu instid0(SALU_CYCLE_1)
	s_and_not1_b32 vcc_lo, exec_lo, s2
	s_cbranch_vccnz .LBB175_319
; %bb.318:
	global_load_u8 v3, v[1:2], off
	s_waitcnt vmcnt(0)
	v_lshlrev_b32_e32 v4, 25, v3
	v_lshlrev_b16 v3, 8, v3
	s_delay_alu instid0(VALU_DEP_1) | instskip(SKIP_1) | instid1(VALU_DEP_2)
	v_and_or_b32 v9, 0x7f00, v3, 0.5
	v_bfe_i32 v3, v3, 0, 16
	v_add_f32_e32 v9, -0.5, v9
	v_lshrrev_b32_e32 v8, 4, v4
	v_cmp_gt_u32_e32 vcc_lo, 0x8000000, v4
	s_delay_alu instid0(VALU_DEP_2) | instskip(NEXT) | instid1(VALU_DEP_1)
	v_or_b32_e32 v8, 0x70000000, v8
	v_mul_f32_e32 v8, 0x7800000, v8
	s_delay_alu instid0(VALU_DEP_1) | instskip(NEXT) | instid1(VALU_DEP_1)
	v_cndmask_b32_e32 v4, v8, v9, vcc_lo
	v_and_or_b32 v3, 0x80000000, v3, v4
	s_delay_alu instid0(VALU_DEP_1) | instskip(NEXT) | instid1(VALU_DEP_1)
	v_trunc_f32_e32 v3, v3
	v_mul_f32_e64 v4, 0x2f800000, |v3|
	s_delay_alu instid0(VALU_DEP_1) | instskip(NEXT) | instid1(VALU_DEP_1)
	v_floor_f32_e32 v4, v4
	v_fma_f32 v4, 0xcf800000, v4, |v3|
	v_ashrrev_i32_e32 v3, 31, v3
	s_delay_alu instid0(VALU_DEP_2) | instskip(NEXT) | instid1(VALU_DEP_1)
	v_cvt_u32_f32_e32 v4, v4
	v_xor_b32_e32 v4, v4, v3
	s_delay_alu instid0(VALU_DEP_1)
	v_sub_nc_u32_e32 v3, v4, v3
.LBB175_319:
	s_mov_b32 s38, 0
	s_mov_b32 s2, -1
.LBB175_320:
	s_and_not1_b32 vcc_lo, exec_lo, s38
	s_cbranch_vccnz .LBB175_333
; %bb.321:
	v_cmp_lt_i16_e32 vcc_lo, 14, v6
	s_cbranch_vccz .LBB175_324
; %bb.322:
	v_cmp_eq_u16_e32 vcc_lo, 15, v6
	s_cbranch_vccz .LBB175_327
; %bb.323:
	global_load_u16 v3, v[1:2], off
	s_mov_b32 s2, -1
	s_mov_b32 s39, 0
	s_waitcnt vmcnt(0)
	v_lshlrev_b32_e32 v3, 16, v3
	s_delay_alu instid0(VALU_DEP_1) | instskip(NEXT) | instid1(VALU_DEP_1)
	v_trunc_f32_e32 v3, v3
	v_mul_f32_e64 v4, 0x2f800000, |v3|
	s_delay_alu instid0(VALU_DEP_1) | instskip(NEXT) | instid1(VALU_DEP_1)
	v_floor_f32_e32 v4, v4
	v_fma_f32 v4, 0xcf800000, v4, |v3|
	v_ashrrev_i32_e32 v3, 31, v3
	s_delay_alu instid0(VALU_DEP_2) | instskip(NEXT) | instid1(VALU_DEP_1)
	v_cvt_u32_f32_e32 v4, v4
	v_xor_b32_e32 v4, v4, v3
	s_delay_alu instid0(VALU_DEP_1)
	v_sub_nc_u32_e32 v3, v4, v3
	s_branch .LBB175_328
.LBB175_324:
	s_mov_b32 s38, -1
                                        ; implicit-def: $vgpr3
	s_branch .LBB175_329
.LBB175_325:
	s_or_saveexec_b32 s2, s2
	v_mov_b32_e32 v3, s40
	s_xor_b32 exec_lo, exec_lo, s2
	s_cbranch_execz .LBB175_306
.LBB175_326:
	v_cmp_ne_u16_e32 vcc_lo, 0, v4
	v_mov_b32_e32 v3, 0
	s_and_not1_b32 s38, s38, exec_lo
	s_and_b32 s40, vcc_lo, exec_lo
	s_delay_alu instid0(SALU_CYCLE_1)
	s_or_b32 s38, s38, s40
	s_or_b32 exec_lo, exec_lo, s2
	s_and_saveexec_b32 s2, s38
	s_cbranch_execnz .LBB175_307
	s_branch .LBB175_308
.LBB175_327:
	s_mov_b32 s39, -1
                                        ; implicit-def: $vgpr3
.LBB175_328:
	s_mov_b32 s38, 0
.LBB175_329:
	s_delay_alu instid0(SALU_CYCLE_1)
	s_and_b32 vcc_lo, exec_lo, s38
	s_cbranch_vccz .LBB175_333
; %bb.330:
	v_cmp_eq_u16_e32 vcc_lo, 11, v6
	s_cbranch_vccz .LBB175_332
; %bb.331:
	global_load_u8 v3, v[1:2], off
	s_mov_b32 s39, 0
	s_mov_b32 s2, -1
	s_waitcnt vmcnt(0)
	v_cmp_ne_u16_e32 vcc_lo, 0, v3
	v_cndmask_b32_e64 v3, 0, 1, vcc_lo
	s_branch .LBB175_333
.LBB175_332:
	s_mov_b32 s39, -1
                                        ; implicit-def: $vgpr3
.LBB175_333:
	s_branch .LBB175_30
.LBB175_334:
	v_cmp_gt_i16_e32 vcc_lo, 5, v6
	s_cbranch_vccnz .LBB175_339
; %bb.335:
	v_cmp_gt_i16_e32 vcc_lo, 8, v6
	s_cbranch_vccnz .LBB175_340
; %bb.336:
	;; [unrolled: 3-line block ×3, first 2 shown]
	v_cmp_lt_i16_e32 vcc_lo, 9, v6
	s_cbranch_vccz .LBB175_342
; %bb.338:
	global_load_b64 v[3:4], v[1:2], off
	s_mov_b32 s2, 0
	s_waitcnt vmcnt(0)
	v_trunc_f64_e32 v[3:4], v[3:4]
	s_delay_alu instid0(VALU_DEP_1) | instskip(NEXT) | instid1(VALU_DEP_1)
	v_ldexp_f64 v[8:9], v[3:4], 0xffffffe0
	v_floor_f64_e32 v[8:9], v[8:9]
	s_delay_alu instid0(VALU_DEP_1) | instskip(NEXT) | instid1(VALU_DEP_1)
	v_fma_f64 v[3:4], 0xc1f00000, v[8:9], v[3:4]
	v_cvt_u32_f64_e32 v3, v[3:4]
	s_branch .LBB175_343
.LBB175_339:
	s_mov_b32 s2, -1
                                        ; implicit-def: $vgpr3
	s_branch .LBB175_361
.LBB175_340:
	s_mov_b32 s2, -1
                                        ; implicit-def: $vgpr3
	s_branch .LBB175_349
.LBB175_341:
	s_mov_b32 s2, -1
                                        ; implicit-def: $vgpr3
	s_branch .LBB175_346
.LBB175_342:
	s_mov_b32 s2, -1
                                        ; implicit-def: $vgpr3
.LBB175_343:
	s_delay_alu instid0(SALU_CYCLE_1)
	s_and_not1_b32 vcc_lo, exec_lo, s2
	s_cbranch_vccnz .LBB175_345
; %bb.344:
	global_load_b32 v3, v[1:2], off
	s_waitcnt vmcnt(0)
	v_trunc_f32_e32 v3, v3
	s_delay_alu instid0(VALU_DEP_1) | instskip(NEXT) | instid1(VALU_DEP_1)
	v_mul_f32_e64 v4, 0x2f800000, |v3|
	v_floor_f32_e32 v4, v4
	s_delay_alu instid0(VALU_DEP_1) | instskip(SKIP_1) | instid1(VALU_DEP_2)
	v_fma_f32 v4, 0xcf800000, v4, |v3|
	v_ashrrev_i32_e32 v3, 31, v3
	v_cvt_u32_f32_e32 v4, v4
	s_delay_alu instid0(VALU_DEP_1) | instskip(NEXT) | instid1(VALU_DEP_1)
	v_xor_b32_e32 v4, v4, v3
	v_sub_nc_u32_e32 v3, v4, v3
.LBB175_345:
	s_mov_b32 s2, 0
.LBB175_346:
	s_delay_alu instid0(SALU_CYCLE_1)
	s_and_not1_b32 vcc_lo, exec_lo, s2
	s_cbranch_vccnz .LBB175_348
; %bb.347:
	global_load_b32 v3, v[1:2], off
	s_waitcnt vmcnt(0)
	v_cvt_f32_f16_e32 v3, v3
	s_delay_alu instid0(VALU_DEP_1)
	v_cvt_i32_f32_e32 v3, v3
.LBB175_348:
	s_mov_b32 s2, 0
.LBB175_349:
	s_delay_alu instid0(SALU_CYCLE_1)
	s_and_not1_b32 vcc_lo, exec_lo, s2
	s_cbranch_vccnz .LBB175_360
; %bb.350:
	v_cmp_gt_i16_e32 vcc_lo, 6, v6
	s_cbranch_vccnz .LBB175_353
; %bb.351:
	v_cmp_lt_i16_e32 vcc_lo, 6, v6
	s_cbranch_vccz .LBB175_354
; %bb.352:
	global_load_b64 v[3:4], v[1:2], off
	s_mov_b32 s2, 0
	s_waitcnt vmcnt(0)
	v_trunc_f64_e32 v[3:4], v[3:4]
	s_delay_alu instid0(VALU_DEP_1) | instskip(NEXT) | instid1(VALU_DEP_1)
	v_ldexp_f64 v[8:9], v[3:4], 0xffffffe0
	v_floor_f64_e32 v[8:9], v[8:9]
	s_delay_alu instid0(VALU_DEP_1) | instskip(NEXT) | instid1(VALU_DEP_1)
	v_fma_f64 v[3:4], 0xc1f00000, v[8:9], v[3:4]
	v_cvt_u32_f64_e32 v3, v[3:4]
	s_branch .LBB175_355
.LBB175_353:
	s_mov_b32 s2, -1
                                        ; implicit-def: $vgpr3
	s_branch .LBB175_358
.LBB175_354:
	s_mov_b32 s2, -1
                                        ; implicit-def: $vgpr3
.LBB175_355:
	s_delay_alu instid0(SALU_CYCLE_1)
	s_and_not1_b32 vcc_lo, exec_lo, s2
	s_cbranch_vccnz .LBB175_357
; %bb.356:
	global_load_b32 v3, v[1:2], off
	s_waitcnt vmcnt(0)
	v_trunc_f32_e32 v3, v3
	s_delay_alu instid0(VALU_DEP_1) | instskip(NEXT) | instid1(VALU_DEP_1)
	v_mul_f32_e64 v4, 0x2f800000, |v3|
	v_floor_f32_e32 v4, v4
	s_delay_alu instid0(VALU_DEP_1) | instskip(SKIP_1) | instid1(VALU_DEP_2)
	v_fma_f32 v4, 0xcf800000, v4, |v3|
	v_ashrrev_i32_e32 v3, 31, v3
	v_cvt_u32_f32_e32 v4, v4
	s_delay_alu instid0(VALU_DEP_1) | instskip(NEXT) | instid1(VALU_DEP_1)
	v_xor_b32_e32 v4, v4, v3
	v_sub_nc_u32_e32 v3, v4, v3
.LBB175_357:
	s_mov_b32 s2, 0
.LBB175_358:
	s_delay_alu instid0(SALU_CYCLE_1)
	s_and_not1_b32 vcc_lo, exec_lo, s2
	s_cbranch_vccnz .LBB175_360
; %bb.359:
	global_load_u16 v3, v[1:2], off
	s_waitcnt vmcnt(0)
	v_cvt_f32_f16_e32 v3, v3
	s_delay_alu instid0(VALU_DEP_1)
	v_cvt_i32_f32_e32 v3, v3
.LBB175_360:
	s_mov_b32 s2, 0
.LBB175_361:
	s_delay_alu instid0(SALU_CYCLE_1)
	s_and_not1_b32 vcc_lo, exec_lo, s2
	s_cbranch_vccnz .LBB175_381
; %bb.362:
	v_cmp_gt_i16_e32 vcc_lo, 2, v6
	s_cbranch_vccnz .LBB175_366
; %bb.363:
	v_cmp_gt_i16_e32 vcc_lo, 3, v6
	s_cbranch_vccnz .LBB175_367
; %bb.364:
	v_cmp_lt_i16_e32 vcc_lo, 3, v6
	s_cbranch_vccz .LBB175_368
; %bb.365:
	global_load_b64 v[3:4], v[1:2], off
	s_mov_b32 s2, 0
	s_branch .LBB175_369
.LBB175_366:
	s_mov_b32 s2, -1
                                        ; implicit-def: $vgpr3
	s_branch .LBB175_375
.LBB175_367:
	s_mov_b32 s2, -1
                                        ; implicit-def: $vgpr3
	s_branch .LBB175_372
.LBB175_368:
	s_mov_b32 s2, -1
                                        ; implicit-def: $vgpr3
.LBB175_369:
	s_delay_alu instid0(SALU_CYCLE_1)
	s_and_not1_b32 vcc_lo, exec_lo, s2
	s_cbranch_vccnz .LBB175_371
; %bb.370:
	global_load_b32 v3, v[1:2], off
.LBB175_371:
	s_mov_b32 s2, 0
.LBB175_372:
	s_delay_alu instid0(SALU_CYCLE_1)
	s_and_not1_b32 vcc_lo, exec_lo, s2
	s_cbranch_vccnz .LBB175_374
; %bb.373:
	global_load_u16 v3, v[1:2], off
.LBB175_374:
	s_mov_b32 s2, 0
.LBB175_375:
	s_delay_alu instid0(SALU_CYCLE_1)
	s_and_not1_b32 vcc_lo, exec_lo, s2
	s_cbranch_vccnz .LBB175_381
; %bb.376:
	v_cmp_lt_i16_e32 vcc_lo, 0, v6
	s_mov_b32 s2, 0
	s_cbranch_vccz .LBB175_378
; %bb.377:
	global_load_u8 v3, v[1:2], off
	s_branch .LBB175_379
.LBB175_378:
	s_mov_b32 s2, -1
                                        ; implicit-def: $vgpr3
.LBB175_379:
	s_delay_alu instid0(SALU_CYCLE_1)
	s_and_not1_b32 vcc_lo, exec_lo, s2
	s_cbranch_vccnz .LBB175_381
; %bb.380:
	global_load_u8 v3, v[1:2], off
.LBB175_381:
	s_branch .LBB175_31
.LBB175_382:
	s_mov_b32 s38, 0
.LBB175_383:
	s_mov_b32 s2, 0
                                        ; implicit-def: $vgpr7
.LBB175_384:
	s_and_b32 s38, s38, exec_lo
	s_and_b32 s39, s39, exec_lo
	;; [unrolled: 1-line block ×3, first 2 shown]
	s_or_not1_b32 s2, s2, exec_lo
.LBB175_385:
	s_or_b32 exec_lo, exec_lo, s41
	s_mov_b32 s44, 0
	s_mov_b32 s43, 0
                                        ; implicit-def: $vgpr4
                                        ; implicit-def: $vgpr2_vgpr3
                                        ; implicit-def: $vgpr0
                                        ; implicit-def: $vgpr1
                                        ; implicit-def: $vgpr6
	s_and_saveexec_b32 s41, s2
	s_cbranch_execz .LBB175_1269
; %bb.386:
	s_mov_b32 s47, -1
	s_mov_b32 s42, s40
	s_mov_b32 s44, s39
	;; [unrolled: 1-line block ×3, first 2 shown]
	s_mov_b32 s45, exec_lo
	v_cmpx_gt_i32_e64 s36, v7
	s_cbranch_execz .LBB175_703
; %bb.387:
	s_and_not1_b32 vcc_lo, exec_lo, s29
	s_cbranch_vccnz .LBB175_393
; %bb.388:
	v_dual_mov_b32 v0, 0 :: v_dual_mov_b32 v1, 0
	v_mov_b32_e32 v2, 0
	s_and_not1_b32 vcc_lo, exec_lo, s37
	s_mov_b32 s42, 0
	s_cbranch_vccnz .LBB175_394
; %bb.389:
	s_add_i32 s2, s35, 1
	v_dual_mov_b32 v1, 0 :: v_dual_mov_b32 v2, 0
	s_waitcnt vmcnt(0)
	v_dual_mov_b32 v0, 0 :: v_dual_mov_b32 v3, v7
	s_and_b32 s43, s2, 30
	s_add_u32 s2, s20, 0xffffffec
	s_addc_u32 s3, s21, -1
	s_set_inst_prefetch_distance 0x1
	.p2align	6
.LBB175_390:                            ; =>This Inner Loop Header: Depth=1
	s_clause 0x2
	s_load_b128 s[48:51], s[2:3], 0x18
	s_load_b64 s[46:47], s[2:3], 0x28
	s_load_b128 s[52:55], s[2:3], 0xd8
	s_waitcnt lgkmcnt(0)
	v_mul_hi_u32 v4, s49, v3
	s_delay_alu instid0(VALU_DEP_1) | instskip(NEXT) | instid1(VALU_DEP_1)
	v_add_nc_u32_e32 v4, v3, v4
	v_lshrrev_b32_e32 v4, s50, v4
	s_delay_alu instid0(VALU_DEP_1)
	v_mul_hi_u32 v5, s46, v4
	v_mul_lo_u32 v6, v4, s48
	s_load_b64 s[48:49], s[2:3], 0xe8
	s_add_u32 s2, s2, 24
	s_addc_u32 s3, s3, 0
	s_add_i32 s43, s43, -2
	s_delay_alu instid0(SALU_CYCLE_1) | instskip(NEXT) | instid1(VALU_DEP_2)
	s_cmp_eq_u32 s43, 0
	v_add_nc_u32_e32 v5, v4, v5
	s_delay_alu instid0(VALU_DEP_2) | instskip(NEXT) | instid1(VALU_DEP_2)
	v_sub_nc_u32_e32 v6, v3, v6
	v_lshrrev_b32_e32 v3, s47, v5
	s_delay_alu instid0(VALU_DEP_2) | instskip(NEXT) | instid1(VALU_DEP_2)
	v_mul_lo_u32 v8, v6, s52
	v_mul_lo_u32 v5, v3, s51
	s_delay_alu instid0(VALU_DEP_1) | instskip(SKIP_2) | instid1(VALU_DEP_3)
	v_sub_nc_u32_e32 v4, v4, v5
	v_mul_lo_u32 v5, v6, s53
	v_mul_lo_u32 v6, v6, s54
	;; [unrolled: 1-line block ×3, first 2 shown]
	s_waitcnt lgkmcnt(0)
	v_mul_lo_u32 v10, v4, s48
	v_mul_lo_u32 v4, v4, s49
	s_delay_alu instid0(VALU_DEP_3) | instskip(NEXT) | instid1(VALU_DEP_3)
	v_add3_u32 v0, v8, v0, v9
	v_add3_u32 v2, v5, v2, v10
	s_delay_alu instid0(VALU_DEP_3)
	v_add3_u32 v1, v6, v1, v4
	s_cbranch_scc0 .LBB175_390
; %bb.391:
	s_set_inst_prefetch_distance 0x2
	s_bitcmp1_b32 s35, 0
	s_cselect_b32 s43, -1, 0
	s_delay_alu instid0(SALU_CYCLE_1)
	s_and_b32 vcc_lo, exec_lo, s43
	s_cbranch_vccnz .LBB175_394
; %bb.392:
	s_clause 0x3
	s_load_b64 s[46:47], s[2:3], 0x18
	s_load_b32 s43, s[2:3], 0x20
	s_load_b64 s[48:49], s[2:3], 0xd8
	s_load_b32 s2, s[2:3], 0xe0
	s_waitcnt lgkmcnt(0)
	v_mul_hi_u32 v4, s47, v3
	s_delay_alu instid0(VALU_DEP_1) | instskip(NEXT) | instid1(VALU_DEP_1)
	v_add_nc_u32_e32 v4, v3, v4
	v_lshrrev_b32_e32 v4, s43, v4
	s_delay_alu instid0(VALU_DEP_1) | instskip(NEXT) | instid1(VALU_DEP_1)
	v_mul_lo_u32 v4, v4, s46
	v_sub_nc_u32_e32 v8, v3, v4
	s_delay_alu instid0(VALU_DEP_1) | instskip(NEXT) | instid1(VALU_DEP_1)
	v_mad_u64_u32 v[3:4], null, v8, s48, v[0:1]
	v_mad_u64_u32 v[4:5], null, v8, s49, v[2:3]
	;; [unrolled: 1-line block ×3, first 2 shown]
	v_mov_b32_e32 v0, v3
	s_delay_alu instid0(VALU_DEP_2)
	v_dual_mov_b32 v2, v4 :: v_dual_mov_b32 v1, v5
	s_branch .LBB175_394
.LBB175_393:
	s_mov_b32 s42, -1
                                        ; implicit-def: $vgpr0
                                        ; implicit-def: $vgpr2
                                        ; implicit-def: $vgpr1
.LBB175_394:
	s_delay_alu instid0(SALU_CYCLE_1)
	s_and_not1_b32 vcc_lo, exec_lo, s42
	s_cbranch_vccnz .LBB175_397
; %bb.395:
	v_mul_hi_u32 v0, s17, v7
	s_and_not1_b32 vcc_lo, exec_lo, s34
	s_delay_alu instid0(VALU_DEP_1) | instskip(SKIP_1) | instid1(VALU_DEP_1)
	v_add_nc_u32_e32 v0, v7, v0
	s_waitcnt vmcnt(0)
	v_lshrrev_b32_e32 v3, s18, v0
	s_delay_alu instid0(VALU_DEP_1) | instskip(NEXT) | instid1(VALU_DEP_1)
	v_mul_lo_u32 v0, v3, s16
	v_sub_nc_u32_e32 v1, v7, v0
	s_delay_alu instid0(VALU_DEP_1)
	v_mul_lo_u32 v0, v1, s12
	v_mul_lo_u32 v2, v1, s13
	;; [unrolled: 1-line block ×3, first 2 shown]
	s_cbranch_vccnz .LBB175_397
; %bb.396:
	v_mul_hi_u32 v4, s24, v3
	s_delay_alu instid0(VALU_DEP_1) | instskip(NEXT) | instid1(VALU_DEP_1)
	v_add_nc_u32_e32 v4, v3, v4
	v_lshrrev_b32_e32 v4, s25, v4
	s_delay_alu instid0(VALU_DEP_1) | instskip(NEXT) | instid1(VALU_DEP_1)
	v_mul_lo_u32 v4, v4, s19
	v_sub_nc_u32_e32 v8, v3, v4
	s_delay_alu instid0(VALU_DEP_1) | instskip(NEXT) | instid1(VALU_DEP_1)
	v_mad_u64_u32 v[3:4], null, v8, s15, v[0:1]
	v_mad_u64_u32 v[4:5], null, v8, s22, v[2:3]
	;; [unrolled: 1-line block ×3, first 2 shown]
	v_mov_b32_e32 v0, v3
	s_delay_alu instid0(VALU_DEP_2)
	v_dual_mov_b32 v2, v4 :: v_dual_mov_b32 v1, v5
.LBB175_397:
	s_waitcnt vmcnt(0)
	v_and_b32_e64 v4, 0xff, s33
	s_delay_alu instid0(VALU_DEP_2) | instskip(NEXT) | instid1(VALU_DEP_1)
	v_add_co_u32 v2, s2, s6, v2
	v_add_co_ci_u32_e64 v3, null, s7, 0, s2
	s_delay_alu instid0(VALU_DEP_3)
	v_cmp_gt_i16_e32 vcc_lo, 11, v4
	s_mov_b32 s2, 0
	s_cbranch_vccnz .LBB175_404
; %bb.398:
	v_cmp_lt_i16_e32 vcc_lo, 25, v4
	s_cbranch_vccz .LBB175_413
; %bb.399:
	v_cmp_lt_i16_e32 vcc_lo, 28, v4
	s_cbranch_vccz .LBB175_415
	;; [unrolled: 3-line block ×4, first 2 shown]
; %bb.402:
	v_cmp_eq_u16_e32 vcc_lo, 46, v4
	s_mov_b32 s42, 0
	s_cbranch_vccz .LBB175_421
; %bb.403:
	global_load_b32 v5, v[2:3], off
	s_mov_b32 s2, -1
	s_mov_b32 s3, 0
	s_branch .LBB175_423
.LBB175_404:
	s_mov_b32 s3, s40
                                        ; implicit-def: $vgpr5
	s_cbranch_execnz .LBB175_489
.LBB175_405:
	s_and_not1_b32 vcc_lo, exec_lo, s2
	s_cbranch_vccnz .LBB175_537
.LBB175_406:
	v_and_b32_e64 v6, 0xff, s31
	v_add_co_u32 v1, s2, s8, v1
	s_delay_alu instid0(VALU_DEP_1) | instskip(NEXT) | instid1(VALU_DEP_3)
	v_add_co_ci_u32_e64 v2, null, s9, 0, s2
	v_cmp_gt_i16_e32 vcc_lo, 11, v6
	s_mov_b32 s2, 0
	s_cbranch_vccnz .LBB175_414
; %bb.407:
	v_cmp_lt_i16_e32 vcc_lo, 25, v6
	s_cbranch_vccz .LBB175_416
; %bb.408:
	v_cmp_lt_i16_e32 vcc_lo, 28, v6
	s_cbranch_vccz .LBB175_418
	;; [unrolled: 3-line block ×4, first 2 shown]
; %bb.411:
	v_cmp_eq_u16_e32 vcc_lo, 46, v6
	s_mov_b32 s43, 0
	s_cbranch_vccz .LBB175_540
; %bb.412:
	global_load_b32 v3, v[1:2], off
	s_mov_b32 s2, -1
	s_mov_b32 s42, 0
	s_waitcnt vmcnt(0)
	v_lshlrev_b32_e32 v3, 16, v3
	s_delay_alu instid0(VALU_DEP_1) | instskip(NEXT) | instid1(VALU_DEP_1)
	v_trunc_f32_e32 v3, v3
	v_mul_f32_e64 v4, 0x2f800000, |v3|
	s_delay_alu instid0(VALU_DEP_1) | instskip(NEXT) | instid1(VALU_DEP_1)
	v_floor_f32_e32 v4, v4
	v_fma_f32 v4, 0xcf800000, v4, |v3|
	v_ashrrev_i32_e32 v3, 31, v3
	s_delay_alu instid0(VALU_DEP_2) | instskip(NEXT) | instid1(VALU_DEP_1)
	v_cvt_u32_f32_e32 v4, v4
	v_xor_b32_e32 v4, v4, v3
	s_delay_alu instid0(VALU_DEP_1)
	v_sub_nc_u32_e32 v3, v4, v3
	s_branch .LBB175_542
.LBB175_413:
	s_mov_b32 s42, -1
	s_mov_b32 s3, s40
                                        ; implicit-def: $vgpr5
	s_branch .LBB175_453
.LBB175_414:
	s_mov_b32 s43, -1
	s_mov_b32 s42, s39
                                        ; implicit-def: $vgpr3
	s_branch .LBB175_603
.LBB175_415:
	s_mov_b32 s42, -1
	s_mov_b32 s3, s40
                                        ; implicit-def: $vgpr5
	s_branch .LBB175_434
.LBB175_416:
	s_mov_b32 s43, -1
	s_mov_b32 s42, s39
                                        ; implicit-def: $vgpr3
	s_branch .LBB175_569
.LBB175_417:
	s_mov_b32 s42, -1
	s_mov_b32 s3, s40
                                        ; implicit-def: $vgpr5
	s_branch .LBB175_429
.LBB175_418:
	s_mov_b32 s43, -1
	s_mov_b32 s42, s39
                                        ; implicit-def: $vgpr3
	s_branch .LBB175_552
.LBB175_419:
	s_mov_b32 s42, -1
	s_mov_b32 s3, s40
	s_branch .LBB175_422
.LBB175_420:
	s_mov_b32 s43, -1
	s_mov_b32 s42, s39
                                        ; implicit-def: $vgpr3
	s_branch .LBB175_547
.LBB175_421:
	s_mov_b32 s3, -1
.LBB175_422:
                                        ; implicit-def: $vgpr5
.LBB175_423:
	s_and_b32 vcc_lo, exec_lo, s42
	s_cbranch_vccz .LBB175_428
; %bb.424:
	v_cmp_eq_u16_e32 vcc_lo, 44, v4
	s_cbranch_vccz .LBB175_427
; %bb.425:
	global_load_u8 v5, v[2:3], off
	s_mov_b32 s3, 0
	s_mov_b32 s2, -1
	s_waitcnt vmcnt(0)
	v_lshlrev_b32_e32 v6, 23, v5
	v_cmp_ne_u32_e32 vcc_lo, 0xff, v5
	s_delay_alu instid0(VALU_DEP_2) | instskip(SKIP_1) | instid1(VALU_DEP_2)
	v_cndmask_b32_e32 v6, 0x7f800001, v6, vcc_lo
	v_cmp_ne_u32_e32 vcc_lo, 0, v5
	v_cndmask_b32_e32 v5, 0x400000, v6, vcc_lo
	s_delay_alu instid0(VALU_DEP_1) | instskip(SKIP_1) | instid1(VALU_DEP_2)
	v_add_nc_u32_e32 v6, 0x7fff, v5
	v_cmp_o_f32_e32 vcc_lo, v5, v5
	v_lshrrev_b32_e32 v6, 16, v6
	s_delay_alu instid0(VALU_DEP_1)
	v_cndmask_b32_e32 v5, 0x7fc0, v6, vcc_lo
	s_branch .LBB175_428
.LBB175_426:
	s_mov_b32 s43, -1
	s_mov_b32 s42, s39
	s_branch .LBB175_541
.LBB175_427:
	s_mov_b32 s3, -1
                                        ; implicit-def: $vgpr5
.LBB175_428:
	s_mov_b32 s42, 0
.LBB175_429:
	s_delay_alu instid0(SALU_CYCLE_1)
	s_and_b32 vcc_lo, exec_lo, s42
	s_cbranch_vccz .LBB175_433
; %bb.430:
	v_cmp_eq_u16_e32 vcc_lo, 29, v4
	s_cbranch_vccz .LBB175_432
; %bb.431:
	global_load_b64 v[5:6], v[2:3], off
	s_mov_b32 s2, -1
	s_mov_b32 s3, 0
	s_mov_b32 s42, 0
	s_waitcnt vmcnt(0)
	v_clz_i32_u32_e32 v8, v6
	s_delay_alu instid0(VALU_DEP_1) | instskip(NEXT) | instid1(VALU_DEP_1)
	v_min_u32_e32 v8, 32, v8
	v_lshlrev_b64 v[5:6], v8, v[5:6]
	s_delay_alu instid0(VALU_DEP_1) | instskip(NEXT) | instid1(VALU_DEP_1)
	v_min_u32_e32 v5, 1, v5
	v_or_b32_e32 v5, v6, v5
	v_sub_nc_u32_e32 v6, 32, v8
	s_delay_alu instid0(VALU_DEP_2) | instskip(NEXT) | instid1(VALU_DEP_1)
	v_cvt_f32_u32_e32 v5, v5
	v_ldexp_f32 v5, v5, v6
	s_delay_alu instid0(VALU_DEP_1) | instskip(NEXT) | instid1(VALU_DEP_1)
	v_bfe_u32 v6, v5, 16, 1
	v_add3_u32 v5, v5, v6, 0x7fff
	s_delay_alu instid0(VALU_DEP_1)
	v_lshrrev_b32_e32 v5, 16, v5
	s_branch .LBB175_434
.LBB175_432:
	s_mov_b32 s3, -1
                                        ; implicit-def: $vgpr5
.LBB175_433:
	s_mov_b32 s42, 0
.LBB175_434:
	s_delay_alu instid0(SALU_CYCLE_1)
	s_and_b32 vcc_lo, exec_lo, s42
	s_cbranch_vccz .LBB175_452
; %bb.435:
	v_cmp_gt_i16_e32 vcc_lo, 27, v4
	s_cbranch_vccnz .LBB175_438
; %bb.436:
	v_cmp_lt_i16_e32 vcc_lo, 27, v4
	s_cbranch_vccz .LBB175_439
; %bb.437:
	global_load_b32 v5, v[2:3], off
	s_mov_b32 s2, 0
	s_waitcnt vmcnt(0)
	v_cvt_f32_u32_e32 v5, v5
	s_delay_alu instid0(VALU_DEP_1) | instskip(NEXT) | instid1(VALU_DEP_1)
	v_bfe_u32 v6, v5, 16, 1
	v_add3_u32 v5, v5, v6, 0x7fff
	s_delay_alu instid0(VALU_DEP_1)
	v_lshrrev_b32_e32 v5, 16, v5
	s_branch .LBB175_440
.LBB175_438:
	s_mov_b32 s2, -1
                                        ; implicit-def: $vgpr5
	s_branch .LBB175_443
.LBB175_439:
	s_mov_b32 s2, -1
                                        ; implicit-def: $vgpr5
.LBB175_440:
	s_delay_alu instid0(SALU_CYCLE_1)
	s_and_not1_b32 vcc_lo, exec_lo, s2
	s_cbranch_vccnz .LBB175_442
; %bb.441:
	global_load_u16 v5, v[2:3], off
	s_waitcnt vmcnt(0)
	v_cvt_f32_u32_e32 v5, v5
	s_delay_alu instid0(VALU_DEP_1) | instskip(NEXT) | instid1(VALU_DEP_1)
	v_bfe_u32 v6, v5, 16, 1
	v_add3_u32 v5, v5, v6, 0x7fff
	s_delay_alu instid0(VALU_DEP_1)
	v_lshrrev_b32_e32 v5, 16, v5
.LBB175_442:
	s_mov_b32 s2, 0
.LBB175_443:
	s_delay_alu instid0(SALU_CYCLE_1)
	s_and_not1_b32 vcc_lo, exec_lo, s2
	s_cbranch_vccnz .LBB175_451
; %bb.444:
	global_load_u8 v5, v[2:3], off
	s_mov_b32 s2, 0
	s_mov_b32 s43, exec_lo
                                        ; implicit-def: $sgpr42
	s_waitcnt vmcnt(0)
	v_cmpx_lt_i16_e32 0x7f, v5
	s_xor_b32 s43, exec_lo, s43
	s_cbranch_execz .LBB175_465
; %bb.445:
	s_mov_b32 s2, -1
	s_mov_b32 s44, exec_lo
                                        ; implicit-def: $sgpr42
	v_cmpx_eq_u16_e32 0x80, v5
; %bb.446:
	s_mov_b32 s42, 0x7f800001
	s_xor_b32 s2, exec_lo, -1
; %bb.447:
	s_or_b32 exec_lo, exec_lo, s44
	s_delay_alu instid0(SALU_CYCLE_1)
	s_and_b32 s2, s2, exec_lo
	s_or_saveexec_b32 s43, s43
	v_mov_b32_e32 v6, s42
	s_xor_b32 exec_lo, exec_lo, s43
	s_cbranch_execnz .LBB175_466
.LBB175_448:
	s_or_b32 exec_lo, exec_lo, s43
	s_and_saveexec_b32 s42, s2
	s_cbranch_execz .LBB175_450
.LBB175_449:
	v_and_b32_e32 v6, 0xffff, v5
	s_delay_alu instid0(VALU_DEP_1) | instskip(NEXT) | instid1(VALU_DEP_1)
	v_and_b32_e32 v8, 7, v6
	v_clz_i32_u32_e32 v9, v8
	s_delay_alu instid0(VALU_DEP_1) | instskip(NEXT) | instid1(VALU_DEP_1)
	v_min_u32_e32 v9, 32, v9
	v_subrev_nc_u32_e32 v10, 28, v9
	v_sub_nc_u32_e32 v9, 29, v9
	s_delay_alu instid0(VALU_DEP_2) | instskip(SKIP_1) | instid1(VALU_DEP_2)
	v_lshlrev_b32_e32 v10, v10, v6
	v_bfe_u32 v6, v6, 3, 4
	v_and_b32_e32 v10, 7, v10
	s_delay_alu instid0(VALU_DEP_2) | instskip(NEXT) | instid1(VALU_DEP_2)
	v_cmp_eq_u32_e32 vcc_lo, 0, v6
	v_dual_cndmask_b32 v8, v8, v10 :: v_dual_lshlrev_b32 v5, 24, v5
	v_cndmask_b32_e32 v6, v6, v9, vcc_lo
	s_delay_alu instid0(VALU_DEP_2) | instskip(NEXT) | instid1(VALU_DEP_3)
	v_and_b32_e32 v5, 0x80000000, v5
	v_lshlrev_b32_e32 v8, 20, v8
	s_delay_alu instid0(VALU_DEP_3) | instskip(NEXT) | instid1(VALU_DEP_1)
	v_lshl_add_u32 v6, v6, 23, 0x3b800000
	v_or3_b32 v6, v5, v6, v8
.LBB175_450:
	s_or_b32 exec_lo, exec_lo, s42
	s_delay_alu instid0(VALU_DEP_1) | instskip(SKIP_1) | instid1(VALU_DEP_2)
	v_bfe_u32 v5, v6, 16, 1
	v_cmp_o_f32_e32 vcc_lo, v6, v6
	v_add3_u32 v5, v6, v5, 0x7fff
	s_delay_alu instid0(VALU_DEP_1) | instskip(NEXT) | instid1(VALU_DEP_1)
	v_lshrrev_b32_e32 v5, 16, v5
	v_cndmask_b32_e32 v5, 0x7fc0, v5, vcc_lo
.LBB175_451:
	s_mov_b32 s2, -1
.LBB175_452:
	s_mov_b32 s42, 0
.LBB175_453:
	s_delay_alu instid0(SALU_CYCLE_1)
	s_and_b32 vcc_lo, exec_lo, s42
	s_cbranch_vccz .LBB175_488
; %bb.454:
	v_cmp_lt_i16_e32 vcc_lo, 22, v4
	s_cbranch_vccz .LBB175_464
; %bb.455:
	v_cmp_gt_i16_e32 vcc_lo, 24, v4
	s_cbranch_vccnz .LBB175_467
; %bb.456:
	v_cmp_lt_i16_e32 vcc_lo, 24, v4
	s_cbranch_vccz .LBB175_468
; %bb.457:
	global_load_u8 v5, v[2:3], off
	s_mov_b32 s2, 0
	s_mov_b32 s43, exec_lo
                                        ; implicit-def: $sgpr42
	s_waitcnt vmcnt(0)
	v_cmpx_lt_i16_e32 0x7f, v5
	s_xor_b32 s43, exec_lo, s43
	s_cbranch_execz .LBB175_480
; %bb.458:
	s_mov_b32 s2, -1
	s_mov_b32 s44, exec_lo
                                        ; implicit-def: $sgpr42
	v_cmpx_eq_u16_e32 0x80, v5
; %bb.459:
	s_mov_b32 s42, 0x7f800001
	s_xor_b32 s2, exec_lo, -1
; %bb.460:
	s_or_b32 exec_lo, exec_lo, s44
	s_delay_alu instid0(SALU_CYCLE_1)
	s_and_b32 s2, s2, exec_lo
	s_or_saveexec_b32 s43, s43
	v_mov_b32_e32 v6, s42
	s_xor_b32 exec_lo, exec_lo, s43
	s_cbranch_execnz .LBB175_481
.LBB175_461:
	s_or_b32 exec_lo, exec_lo, s43
	s_and_saveexec_b32 s42, s2
	s_cbranch_execz .LBB175_463
.LBB175_462:
	v_and_b32_e32 v6, 0xffff, v5
	s_delay_alu instid0(VALU_DEP_1) | instskip(NEXT) | instid1(VALU_DEP_1)
	v_and_b32_e32 v8, 3, v6
	v_clz_i32_u32_e32 v9, v8
	s_delay_alu instid0(VALU_DEP_1) | instskip(NEXT) | instid1(VALU_DEP_1)
	v_min_u32_e32 v9, 32, v9
	v_subrev_nc_u32_e32 v10, 29, v9
	v_sub_nc_u32_e32 v9, 30, v9
	s_delay_alu instid0(VALU_DEP_2) | instskip(SKIP_1) | instid1(VALU_DEP_2)
	v_lshlrev_b32_e32 v10, v10, v6
	v_bfe_u32 v6, v6, 2, 5
	v_and_b32_e32 v10, 3, v10
	s_delay_alu instid0(VALU_DEP_2) | instskip(NEXT) | instid1(VALU_DEP_2)
	v_cmp_eq_u32_e32 vcc_lo, 0, v6
	v_dual_cndmask_b32 v8, v8, v10 :: v_dual_lshlrev_b32 v5, 24, v5
	v_cndmask_b32_e32 v6, v6, v9, vcc_lo
	s_delay_alu instid0(VALU_DEP_2) | instskip(NEXT) | instid1(VALU_DEP_3)
	v_and_b32_e32 v5, 0x80000000, v5
	v_lshlrev_b32_e32 v8, 21, v8
	s_delay_alu instid0(VALU_DEP_3) | instskip(NEXT) | instid1(VALU_DEP_1)
	v_lshl_add_u32 v6, v6, 23, 0x37800000
	v_or3_b32 v6, v5, v6, v8
.LBB175_463:
	s_or_b32 exec_lo, exec_lo, s42
	s_delay_alu instid0(VALU_DEP_1) | instskip(SKIP_2) | instid1(VALU_DEP_2)
	v_bfe_u32 v5, v6, 16, 1
	v_cmp_o_f32_e32 vcc_lo, v6, v6
	s_mov_b32 s2, 0
	v_add3_u32 v5, v6, v5, 0x7fff
	s_delay_alu instid0(VALU_DEP_1) | instskip(NEXT) | instid1(VALU_DEP_1)
	v_lshrrev_b32_e32 v5, 16, v5
	v_cndmask_b32_e32 v5, 0x7fc0, v5, vcc_lo
	s_branch .LBB175_469
.LBB175_464:
	s_mov_b32 s42, -1
                                        ; implicit-def: $vgpr5
	s_branch .LBB175_475
.LBB175_465:
	s_or_saveexec_b32 s43, s43
	v_mov_b32_e32 v6, s42
	s_xor_b32 exec_lo, exec_lo, s43
	s_cbranch_execz .LBB175_448
.LBB175_466:
	v_cmp_ne_u16_e32 vcc_lo, 0, v5
	v_mov_b32_e32 v6, 0
	s_and_not1_b32 s2, s2, exec_lo
	s_and_b32 s42, vcc_lo, exec_lo
	s_delay_alu instid0(SALU_CYCLE_1)
	s_or_b32 s2, s2, s42
	s_or_b32 exec_lo, exec_lo, s43
	s_and_saveexec_b32 s42, s2
	s_cbranch_execnz .LBB175_449
	s_branch .LBB175_450
.LBB175_467:
	s_mov_b32 s2, -1
                                        ; implicit-def: $vgpr5
	s_branch .LBB175_472
.LBB175_468:
	s_mov_b32 s2, -1
                                        ; implicit-def: $vgpr5
.LBB175_469:
	s_delay_alu instid0(SALU_CYCLE_1)
	s_and_b32 vcc_lo, exec_lo, s2
	s_cbranch_vccz .LBB175_471
; %bb.470:
	global_load_u8 v5, v[2:3], off
	s_waitcnt vmcnt(0)
	v_lshlrev_b32_e32 v5, 24, v5
	s_delay_alu instid0(VALU_DEP_1) | instskip(NEXT) | instid1(VALU_DEP_1)
	v_and_b32_e32 v6, 0x7f000000, v5
	v_clz_i32_u32_e32 v8, v6
	v_add_nc_u32_e32 v10, 0x1000000, v6
	v_cmp_ne_u32_e32 vcc_lo, 0, v6
	s_delay_alu instid0(VALU_DEP_3) | instskip(NEXT) | instid1(VALU_DEP_1)
	v_min_u32_e32 v8, 32, v8
	v_sub_nc_u32_e64 v8, v8, 4 clamp
	s_delay_alu instid0(VALU_DEP_1) | instskip(SKIP_1) | instid1(VALU_DEP_2)
	v_lshlrev_b32_e32 v9, v8, v6
	v_lshlrev_b32_e32 v8, 23, v8
	v_lshrrev_b32_e32 v9, 4, v9
	s_delay_alu instid0(VALU_DEP_1) | instskip(SKIP_1) | instid1(VALU_DEP_2)
	v_sub_nc_u32_e32 v8, v9, v8
	v_ashrrev_i32_e32 v9, 8, v10
	v_add_nc_u32_e32 v8, 0x3c000000, v8
	s_delay_alu instid0(VALU_DEP_1) | instskip(NEXT) | instid1(VALU_DEP_1)
	v_and_or_b32 v8, 0x7f800000, v9, v8
	v_cndmask_b32_e32 v6, 0, v8, vcc_lo
	s_delay_alu instid0(VALU_DEP_1) | instskip(SKIP_1) | instid1(VALU_DEP_2)
	v_and_or_b32 v5, 0x80000000, v5, v6
	v_bfe_u32 v6, v6, 16, 1
	v_cmp_o_f32_e32 vcc_lo, v5, v5
	s_delay_alu instid0(VALU_DEP_2) | instskip(NEXT) | instid1(VALU_DEP_1)
	v_add3_u32 v6, v5, v6, 0x7fff
	v_lshrrev_b32_e32 v6, 16, v6
	s_delay_alu instid0(VALU_DEP_1)
	v_cndmask_b32_e32 v5, 0x7fc0, v6, vcc_lo
.LBB175_471:
	s_mov_b32 s2, 0
.LBB175_472:
	s_delay_alu instid0(SALU_CYCLE_1)
	s_and_not1_b32 vcc_lo, exec_lo, s2
	s_cbranch_vccnz .LBB175_474
; %bb.473:
	global_load_u8 v5, v[2:3], off
	s_waitcnt vmcnt(0)
	v_lshlrev_b32_e32 v6, 25, v5
	v_lshlrev_b16 v5, 8, v5
	s_delay_alu instid0(VALU_DEP_2) | instskip(NEXT) | instid1(VALU_DEP_2)
	v_lshrrev_b32_e32 v8, 4, v6
	v_and_or_b32 v9, 0x7f00, v5, 0.5
	v_cmp_gt_u32_e32 vcc_lo, 0x8000000, v6
	v_bfe_i32 v5, v5, 0, 16
	s_delay_alu instid0(VALU_DEP_4) | instskip(NEXT) | instid1(VALU_DEP_1)
	v_or_b32_e32 v8, 0x70000000, v8
	v_dual_add_f32 v9, -0.5, v9 :: v_dual_mul_f32 v8, 0x7800000, v8
	s_delay_alu instid0(VALU_DEP_1) | instskip(NEXT) | instid1(VALU_DEP_1)
	v_cndmask_b32_e32 v6, v8, v9, vcc_lo
	v_and_or_b32 v5, 0x80000000, v5, v6
	v_bfe_u32 v6, v6, 16, 1
	s_delay_alu instid0(VALU_DEP_2) | instskip(NEXT) | instid1(VALU_DEP_2)
	v_cmp_o_f32_e32 vcc_lo, v5, v5
	v_add3_u32 v6, v5, v6, 0x7fff
	s_delay_alu instid0(VALU_DEP_1) | instskip(NEXT) | instid1(VALU_DEP_1)
	v_lshrrev_b32_e32 v6, 16, v6
	v_cndmask_b32_e32 v5, 0x7fc0, v6, vcc_lo
.LBB175_474:
	s_mov_b32 s42, 0
	s_mov_b32 s2, -1
.LBB175_475:
	s_and_not1_b32 vcc_lo, exec_lo, s42
	s_cbranch_vccnz .LBB175_488
; %bb.476:
	v_cmp_lt_i16_e32 vcc_lo, 14, v4
	s_cbranch_vccz .LBB175_479
; %bb.477:
	v_cmp_eq_u16_e32 vcc_lo, 15, v4
	s_cbranch_vccz .LBB175_482
; %bb.478:
	global_load_u16 v5, v[2:3], off
	s_mov_b32 s2, -1
	s_mov_b32 s3, 0
	s_branch .LBB175_483
.LBB175_479:
	s_mov_b32 s42, -1
                                        ; implicit-def: $vgpr5
	s_branch .LBB175_484
.LBB175_480:
	s_or_saveexec_b32 s43, s43
	v_mov_b32_e32 v6, s42
	s_xor_b32 exec_lo, exec_lo, s43
	s_cbranch_execz .LBB175_461
.LBB175_481:
	v_cmp_ne_u16_e32 vcc_lo, 0, v5
	v_mov_b32_e32 v6, 0
	s_and_not1_b32 s2, s2, exec_lo
	s_and_b32 s42, vcc_lo, exec_lo
	s_delay_alu instid0(SALU_CYCLE_1)
	s_or_b32 s2, s2, s42
	s_or_b32 exec_lo, exec_lo, s43
	s_and_saveexec_b32 s42, s2
	s_cbranch_execnz .LBB175_462
	s_branch .LBB175_463
.LBB175_482:
	s_mov_b32 s3, -1
                                        ; implicit-def: $vgpr5
.LBB175_483:
	s_mov_b32 s42, 0
.LBB175_484:
	s_delay_alu instid0(SALU_CYCLE_1)
	s_and_b32 vcc_lo, exec_lo, s42
	s_cbranch_vccz .LBB175_488
; %bb.485:
	v_cmp_eq_u16_e32 vcc_lo, 11, v4
	s_cbranch_vccz .LBB175_487
; %bb.486:
	global_load_u8 v5, v[2:3], off
	s_mov_b32 s3, 0
	s_mov_b32 s2, -1
	s_waitcnt vmcnt(0)
	v_cmp_ne_u16_e32 vcc_lo, 0, v5
	v_cndmask_b32_e64 v5, 0, 1.0, vcc_lo
	s_delay_alu instid0(VALU_DEP_1)
	v_lshrrev_b32_e32 v5, 16, v5
	s_branch .LBB175_488
.LBB175_487:
	s_mov_b32 s3, -1
                                        ; implicit-def: $vgpr5
.LBB175_488:
	s_branch .LBB175_405
.LBB175_489:
	v_cmp_gt_i16_e32 vcc_lo, 5, v4
	s_cbranch_vccnz .LBB175_494
; %bb.490:
	v_cmp_gt_i16_e32 vcc_lo, 8, v4
	s_cbranch_vccnz .LBB175_495
; %bb.491:
	;; [unrolled: 3-line block ×3, first 2 shown]
	v_cmp_lt_i16_e32 vcc_lo, 9, v4
	s_cbranch_vccz .LBB175_497
; %bb.493:
	global_load_b64 v[5:6], v[2:3], off
	s_mov_b32 s2, 0
	s_waitcnt vmcnt(0)
	v_cvt_f32_f64_e32 v5, v[5:6]
	s_delay_alu instid0(VALU_DEP_1) | instskip(SKIP_1) | instid1(VALU_DEP_2)
	v_bfe_u32 v6, v5, 16, 1
	v_cmp_o_f32_e32 vcc_lo, v5, v5
	v_add3_u32 v6, v5, v6, 0x7fff
	s_delay_alu instid0(VALU_DEP_1) | instskip(NEXT) | instid1(VALU_DEP_1)
	v_lshrrev_b32_e32 v6, 16, v6
	v_cndmask_b32_e32 v5, 0x7fc0, v6, vcc_lo
	s_branch .LBB175_498
.LBB175_494:
	s_mov_b32 s2, -1
                                        ; implicit-def: $vgpr5
	s_branch .LBB175_516
.LBB175_495:
	s_mov_b32 s2, -1
                                        ; implicit-def: $vgpr5
	s_branch .LBB175_504
.LBB175_496:
	s_mov_b32 s2, -1
                                        ; implicit-def: $vgpr5
	s_branch .LBB175_501
.LBB175_497:
	s_mov_b32 s2, -1
                                        ; implicit-def: $vgpr5
.LBB175_498:
	s_delay_alu instid0(SALU_CYCLE_1)
	s_and_not1_b32 vcc_lo, exec_lo, s2
	s_cbranch_vccnz .LBB175_500
; %bb.499:
	global_load_b32 v5, v[2:3], off
	s_waitcnt vmcnt(0)
	v_bfe_u32 v6, v5, 16, 1
	v_cmp_o_f32_e32 vcc_lo, v5, v5
	s_delay_alu instid0(VALU_DEP_2) | instskip(NEXT) | instid1(VALU_DEP_1)
	v_add3_u32 v6, v5, v6, 0x7fff
	v_lshrrev_b32_e32 v6, 16, v6
	s_delay_alu instid0(VALU_DEP_1)
	v_cndmask_b32_e32 v5, 0x7fc0, v6, vcc_lo
.LBB175_500:
	s_mov_b32 s2, 0
.LBB175_501:
	s_delay_alu instid0(SALU_CYCLE_1)
	s_and_not1_b32 vcc_lo, exec_lo, s2
	s_cbranch_vccnz .LBB175_503
; %bb.502:
	global_load_b32 v5, v[2:3], off
	s_waitcnt vmcnt(0)
	v_cvt_f32_f16_e32 v6, v5
	v_cmp_o_f16_e32 vcc_lo, v5, v5
	s_delay_alu instid0(VALU_DEP_2) | instskip(NEXT) | instid1(VALU_DEP_1)
	v_bfe_u32 v8, v6, 16, 1
	v_add3_u32 v6, v6, v8, 0x7fff
	s_delay_alu instid0(VALU_DEP_1) | instskip(NEXT) | instid1(VALU_DEP_1)
	v_lshrrev_b32_e32 v6, 16, v6
	v_cndmask_b32_e32 v5, 0x7fc0, v6, vcc_lo
.LBB175_503:
	s_mov_b32 s2, 0
.LBB175_504:
	s_delay_alu instid0(SALU_CYCLE_1)
	s_and_not1_b32 vcc_lo, exec_lo, s2
	s_cbranch_vccnz .LBB175_515
; %bb.505:
	v_cmp_gt_i16_e32 vcc_lo, 6, v4
	s_cbranch_vccnz .LBB175_508
; %bb.506:
	v_cmp_lt_i16_e32 vcc_lo, 6, v4
	s_cbranch_vccz .LBB175_509
; %bb.507:
	global_load_b64 v[5:6], v[2:3], off
	s_mov_b32 s2, 0
	s_waitcnt vmcnt(0)
	v_cvt_f32_f64_e32 v5, v[5:6]
	s_delay_alu instid0(VALU_DEP_1) | instskip(SKIP_1) | instid1(VALU_DEP_2)
	v_bfe_u32 v6, v5, 16, 1
	v_cmp_o_f32_e32 vcc_lo, v5, v5
	v_add3_u32 v6, v5, v6, 0x7fff
	s_delay_alu instid0(VALU_DEP_1) | instskip(NEXT) | instid1(VALU_DEP_1)
	v_lshrrev_b32_e32 v6, 16, v6
	v_cndmask_b32_e32 v5, 0x7fc0, v6, vcc_lo
	s_branch .LBB175_510
.LBB175_508:
	s_mov_b32 s2, -1
                                        ; implicit-def: $vgpr5
	s_branch .LBB175_513
.LBB175_509:
	s_mov_b32 s2, -1
                                        ; implicit-def: $vgpr5
.LBB175_510:
	s_delay_alu instid0(SALU_CYCLE_1)
	s_and_not1_b32 vcc_lo, exec_lo, s2
	s_cbranch_vccnz .LBB175_512
; %bb.511:
	global_load_b32 v5, v[2:3], off
	s_waitcnt vmcnt(0)
	v_bfe_u32 v6, v5, 16, 1
	v_cmp_o_f32_e32 vcc_lo, v5, v5
	s_delay_alu instid0(VALU_DEP_2) | instskip(NEXT) | instid1(VALU_DEP_1)
	v_add3_u32 v6, v5, v6, 0x7fff
	v_lshrrev_b32_e32 v6, 16, v6
	s_delay_alu instid0(VALU_DEP_1)
	v_cndmask_b32_e32 v5, 0x7fc0, v6, vcc_lo
.LBB175_512:
	s_mov_b32 s2, 0
.LBB175_513:
	s_delay_alu instid0(SALU_CYCLE_1)
	s_and_not1_b32 vcc_lo, exec_lo, s2
	s_cbranch_vccnz .LBB175_515
; %bb.514:
	global_load_u16 v5, v[2:3], off
	s_waitcnt vmcnt(0)
	v_cvt_f32_f16_e32 v6, v5
	v_cmp_o_f16_e32 vcc_lo, v5, v5
	s_delay_alu instid0(VALU_DEP_2) | instskip(NEXT) | instid1(VALU_DEP_1)
	v_bfe_u32 v8, v6, 16, 1
	v_add3_u32 v6, v6, v8, 0x7fff
	s_delay_alu instid0(VALU_DEP_1) | instskip(NEXT) | instid1(VALU_DEP_1)
	v_lshrrev_b32_e32 v6, 16, v6
	v_cndmask_b32_e32 v5, 0x7fc0, v6, vcc_lo
.LBB175_515:
	s_mov_b32 s2, 0
.LBB175_516:
	s_delay_alu instid0(SALU_CYCLE_1)
	s_and_not1_b32 vcc_lo, exec_lo, s2
	s_cbranch_vccnz .LBB175_536
; %bb.517:
	v_cmp_gt_i16_e32 vcc_lo, 2, v4
	s_cbranch_vccnz .LBB175_521
; %bb.518:
	v_cmp_gt_i16_e32 vcc_lo, 3, v4
	s_cbranch_vccnz .LBB175_522
; %bb.519:
	v_cmp_lt_i16_e32 vcc_lo, 3, v4
	s_cbranch_vccz .LBB175_523
; %bb.520:
	global_load_b64 v[5:6], v[2:3], off
	s_mov_b32 s2, 0
	s_waitcnt vmcnt(0)
	v_xor_b32_e32 v8, v5, v6
	v_cls_i32_e32 v9, v6
	s_delay_alu instid0(VALU_DEP_2) | instskip(NEXT) | instid1(VALU_DEP_2)
	v_ashrrev_i32_e32 v8, 31, v8
	v_add_nc_u32_e32 v9, -1, v9
	s_delay_alu instid0(VALU_DEP_2) | instskip(NEXT) | instid1(VALU_DEP_1)
	v_add_nc_u32_e32 v8, 32, v8
	v_min_u32_e32 v8, v9, v8
	s_delay_alu instid0(VALU_DEP_1) | instskip(NEXT) | instid1(VALU_DEP_1)
	v_lshlrev_b64 v[5:6], v8, v[5:6]
	v_min_u32_e32 v5, 1, v5
	s_delay_alu instid0(VALU_DEP_1) | instskip(SKIP_1) | instid1(VALU_DEP_2)
	v_or_b32_e32 v5, v6, v5
	v_sub_nc_u32_e32 v6, 32, v8
	v_cvt_f32_i32_e32 v5, v5
	s_delay_alu instid0(VALU_DEP_1) | instskip(NEXT) | instid1(VALU_DEP_1)
	v_ldexp_f32 v5, v5, v6
	v_bfe_u32 v6, v5, 16, 1
	s_delay_alu instid0(VALU_DEP_1) | instskip(NEXT) | instid1(VALU_DEP_1)
	v_add3_u32 v5, v5, v6, 0x7fff
	v_lshrrev_b32_e32 v5, 16, v5
	s_branch .LBB175_524
.LBB175_521:
	s_mov_b32 s2, -1
                                        ; implicit-def: $vgpr5
	s_branch .LBB175_530
.LBB175_522:
	s_mov_b32 s2, -1
                                        ; implicit-def: $vgpr5
	s_branch .LBB175_527
.LBB175_523:
	s_mov_b32 s2, -1
                                        ; implicit-def: $vgpr5
.LBB175_524:
	s_delay_alu instid0(SALU_CYCLE_1)
	s_and_not1_b32 vcc_lo, exec_lo, s2
	s_cbranch_vccnz .LBB175_526
; %bb.525:
	global_load_b32 v5, v[2:3], off
	s_waitcnt vmcnt(0)
	v_cvt_f32_i32_e32 v5, v5
	s_delay_alu instid0(VALU_DEP_1) | instskip(NEXT) | instid1(VALU_DEP_1)
	v_bfe_u32 v6, v5, 16, 1
	v_add3_u32 v5, v5, v6, 0x7fff
	s_delay_alu instid0(VALU_DEP_1)
	v_lshrrev_b32_e32 v5, 16, v5
.LBB175_526:
	s_mov_b32 s2, 0
.LBB175_527:
	s_delay_alu instid0(SALU_CYCLE_1)
	s_and_not1_b32 vcc_lo, exec_lo, s2
	s_cbranch_vccnz .LBB175_529
; %bb.528:
	global_load_i16 v5, v[2:3], off
	s_waitcnt vmcnt(0)
	v_cvt_f32_i32_e32 v5, v5
	s_delay_alu instid0(VALU_DEP_1) | instskip(NEXT) | instid1(VALU_DEP_1)
	v_bfe_u32 v6, v5, 16, 1
	v_add3_u32 v5, v5, v6, 0x7fff
	s_delay_alu instid0(VALU_DEP_1)
	v_lshrrev_b32_e32 v5, 16, v5
.LBB175_529:
	s_mov_b32 s2, 0
.LBB175_530:
	s_delay_alu instid0(SALU_CYCLE_1)
	s_and_not1_b32 vcc_lo, exec_lo, s2
	s_cbranch_vccnz .LBB175_536
; %bb.531:
	v_cmp_lt_i16_e32 vcc_lo, 0, v4
	s_mov_b32 s2, 0
	s_cbranch_vccz .LBB175_533
; %bb.532:
	global_load_i8 v4, v[2:3], off
	s_waitcnt vmcnt(0)
	v_cvt_f32_i32_e32 v4, v4
	s_delay_alu instid0(VALU_DEP_1) | instskip(NEXT) | instid1(VALU_DEP_1)
	v_bfe_u32 v5, v4, 16, 1
	v_add3_u32 v4, v4, v5, 0x7fff
	s_delay_alu instid0(VALU_DEP_1)
	v_lshrrev_b32_e32 v5, 16, v4
	s_branch .LBB175_534
.LBB175_533:
	s_mov_b32 s2, -1
                                        ; implicit-def: $vgpr5
.LBB175_534:
	s_delay_alu instid0(SALU_CYCLE_1)
	s_and_not1_b32 vcc_lo, exec_lo, s2
	s_cbranch_vccnz .LBB175_536
; %bb.535:
	global_load_u8 v2, v[2:3], off
	s_waitcnt vmcnt(0)
	v_cvt_f32_ubyte0_e32 v2, v2
	s_delay_alu instid0(VALU_DEP_1) | instskip(NEXT) | instid1(VALU_DEP_1)
	v_bfe_u32 v3, v2, 16, 1
	v_add3_u32 v2, v2, v3, 0x7fff
	s_delay_alu instid0(VALU_DEP_1)
	v_lshrrev_b32_e32 v5, 16, v2
.LBB175_536:
	s_branch .LBB175_406
.LBB175_537:
	s_mov_b32 s46, 0
	s_mov_b32 s2, s38
	;; [unrolled: 1-line block ×3, first 2 shown]
	s_branch .LBB175_701
.LBB175_538:
	s_or_saveexec_b32 s43, s43
                                        ; implicit-def: $sgpr44
	s_delay_alu instid0(SALU_CYCLE_1)
	s_xor_b32 exec_lo, exec_lo, s43
	s_cbranch_execz .LBB175_72
.LBB175_539:
	v_add_f32_e64 v5, 0x42800000, |v6|
	s_and_not1_b32 s40, s40, exec_lo
	s_mov_b32 s44, 0
	s_delay_alu instid0(VALU_DEP_1) | instskip(NEXT) | instid1(VALU_DEP_1)
	v_and_b32_e32 v5, 0xff, v5
	v_cmp_ne_u32_e32 vcc_lo, 0, v5
	s_and_b32 s45, vcc_lo, exec_lo
	s_delay_alu instid0(SALU_CYCLE_1)
	s_or_b32 s40, s40, s45
	s_or_b32 exec_lo, exec_lo, s43
	v_mov_b32_e32 v8, s44
	s_and_saveexec_b32 s43, s40
	s_cbranch_execnz .LBB175_73
	s_branch .LBB175_74
.LBB175_540:
	s_mov_b32 s42, -1
.LBB175_541:
                                        ; implicit-def: $vgpr3
.LBB175_542:
	s_and_b32 vcc_lo, exec_lo, s43
	s_cbranch_vccz .LBB175_546
; %bb.543:
	v_cmp_eq_u16_e32 vcc_lo, 44, v6
	s_cbranch_vccz .LBB175_545
; %bb.544:
	global_load_u8 v3, v[1:2], off
	s_mov_b32 s42, 0
	s_mov_b32 s2, -1
	s_waitcnt vmcnt(0)
	v_lshlrev_b32_e32 v4, 23, v3
	v_cmp_ne_u32_e32 vcc_lo, 0, v3
	s_delay_alu instid0(VALU_DEP_2) | instskip(NEXT) | instid1(VALU_DEP_1)
	v_trunc_f32_e32 v4, v4
	v_mul_f32_e64 v8, 0x2f800000, |v4|
	s_delay_alu instid0(VALU_DEP_1) | instskip(NEXT) | instid1(VALU_DEP_1)
	v_floor_f32_e32 v8, v8
	v_fma_f32 v8, 0xcf800000, v8, |v4|
	v_ashrrev_i32_e32 v4, 31, v4
	s_delay_alu instid0(VALU_DEP_2) | instskip(NEXT) | instid1(VALU_DEP_1)
	v_cvt_u32_f32_e32 v8, v8
	v_xor_b32_e32 v8, v8, v4
	s_delay_alu instid0(VALU_DEP_1) | instskip(NEXT) | instid1(VALU_DEP_1)
	v_sub_nc_u32_e32 v4, v8, v4
	v_cndmask_b32_e32 v3, 0, v4, vcc_lo
	s_branch .LBB175_546
.LBB175_545:
	s_mov_b32 s42, -1
                                        ; implicit-def: $vgpr3
.LBB175_546:
	s_mov_b32 s43, 0
.LBB175_547:
	s_delay_alu instid0(SALU_CYCLE_1)
	s_and_b32 vcc_lo, exec_lo, s43
	s_cbranch_vccz .LBB175_551
; %bb.548:
	v_cmp_eq_u16_e32 vcc_lo, 29, v6
	s_cbranch_vccz .LBB175_550
; %bb.549:
	global_load_b64 v[3:4], v[1:2], off
	s_mov_b32 s2, -1
	s_mov_b32 s42, 0
	s_branch .LBB175_551
.LBB175_550:
	s_mov_b32 s42, -1
                                        ; implicit-def: $vgpr3
.LBB175_551:
	s_mov_b32 s43, 0
.LBB175_552:
	s_delay_alu instid0(SALU_CYCLE_1)
	s_and_b32 vcc_lo, exec_lo, s43
	s_cbranch_vccz .LBB175_568
; %bb.553:
	v_cmp_gt_i16_e32 vcc_lo, 27, v6
	s_cbranch_vccnz .LBB175_556
; %bb.554:
	v_cmp_lt_i16_e32 vcc_lo, 27, v6
	s_cbranch_vccz .LBB175_557
; %bb.555:
	global_load_b32 v3, v[1:2], off
	s_mov_b32 s2, 0
	s_branch .LBB175_558
.LBB175_556:
	s_mov_b32 s2, -1
                                        ; implicit-def: $vgpr3
	s_branch .LBB175_561
.LBB175_557:
	s_mov_b32 s2, -1
                                        ; implicit-def: $vgpr3
.LBB175_558:
	s_delay_alu instid0(SALU_CYCLE_1)
	s_and_not1_b32 vcc_lo, exec_lo, s2
	s_cbranch_vccnz .LBB175_560
; %bb.559:
	global_load_u16 v3, v[1:2], off
.LBB175_560:
	s_mov_b32 s2, 0
.LBB175_561:
	s_delay_alu instid0(SALU_CYCLE_1)
	s_and_not1_b32 vcc_lo, exec_lo, s2
	s_cbranch_vccnz .LBB175_567
; %bb.562:
	global_load_u8 v4, v[1:2], off
	s_mov_b32 s43, 0
	s_mov_b32 s2, exec_lo
                                        ; implicit-def: $sgpr44
	s_waitcnt vmcnt(0)
	v_cmpx_lt_i16_e32 0x7f, v4
	s_xor_b32 s2, exec_lo, s2
	s_cbranch_execz .LBB175_579
; %bb.563:
	v_cmp_ne_u16_e32 vcc_lo, 0x80, v4
	s_mov_b32 s44, 0
	s_and_b32 s43, vcc_lo, exec_lo
	s_or_saveexec_b32 s2, s2
	v_mov_b32_e32 v3, s44
	s_xor_b32 exec_lo, exec_lo, s2
	s_cbranch_execnz .LBB175_580
.LBB175_564:
	s_or_b32 exec_lo, exec_lo, s2
	s_and_saveexec_b32 s2, s43
	s_cbranch_execz .LBB175_566
.LBB175_565:
	v_and_b32_e32 v3, 0xffff, v4
	v_lshlrev_b32_e32 v4, 24, v4
	s_delay_alu instid0(VALU_DEP_2) | instskip(NEXT) | instid1(VALU_DEP_2)
	v_and_b32_e32 v8, 7, v3
	v_and_b32_e32 v4, 0x80000000, v4
	s_delay_alu instid0(VALU_DEP_2) | instskip(NEXT) | instid1(VALU_DEP_1)
	v_clz_i32_u32_e32 v9, v8
	v_min_u32_e32 v9, 32, v9
	s_delay_alu instid0(VALU_DEP_1) | instskip(SKIP_1) | instid1(VALU_DEP_2)
	v_subrev_nc_u32_e32 v10, 28, v9
	v_sub_nc_u32_e32 v9, 29, v9
	v_lshlrev_b32_e32 v10, v10, v3
	v_bfe_u32 v3, v3, 3, 4
	s_delay_alu instid0(VALU_DEP_2) | instskip(NEXT) | instid1(VALU_DEP_2)
	v_and_b32_e32 v10, 7, v10
	v_cmp_eq_u32_e32 vcc_lo, 0, v3
	s_delay_alu instid0(VALU_DEP_2) | instskip(NEXT) | instid1(VALU_DEP_1)
	v_dual_cndmask_b32 v3, v3, v9 :: v_dual_cndmask_b32 v8, v8, v10
	v_lshl_add_u32 v3, v3, 23, 0x3b800000
	s_delay_alu instid0(VALU_DEP_2) | instskip(NEXT) | instid1(VALU_DEP_1)
	v_lshlrev_b32_e32 v8, 20, v8
	v_or3_b32 v3, v4, v3, v8
	s_delay_alu instid0(VALU_DEP_1) | instskip(NEXT) | instid1(VALU_DEP_1)
	v_trunc_f32_e32 v3, v3
	v_mul_f32_e64 v4, 0x2f800000, |v3|
	s_delay_alu instid0(VALU_DEP_1) | instskip(NEXT) | instid1(VALU_DEP_1)
	v_floor_f32_e32 v4, v4
	v_fma_f32 v4, 0xcf800000, v4, |v3|
	v_ashrrev_i32_e32 v3, 31, v3
	s_delay_alu instid0(VALU_DEP_2) | instskip(NEXT) | instid1(VALU_DEP_1)
	v_cvt_u32_f32_e32 v4, v4
	v_xor_b32_e32 v4, v4, v3
	s_delay_alu instid0(VALU_DEP_1)
	v_sub_nc_u32_e32 v3, v4, v3
.LBB175_566:
	s_or_b32 exec_lo, exec_lo, s2
.LBB175_567:
	s_mov_b32 s2, -1
.LBB175_568:
	s_mov_b32 s43, 0
.LBB175_569:
	s_delay_alu instid0(SALU_CYCLE_1)
	s_and_b32 vcc_lo, exec_lo, s43
	s_cbranch_vccz .LBB175_602
; %bb.570:
	v_cmp_lt_i16_e32 vcc_lo, 22, v6
	s_cbranch_vccz .LBB175_578
; %bb.571:
	v_cmp_gt_i16_e32 vcc_lo, 24, v6
	s_cbranch_vccnz .LBB175_581
; %bb.572:
	v_cmp_lt_i16_e32 vcc_lo, 24, v6
	s_cbranch_vccz .LBB175_582
; %bb.573:
	global_load_u8 v4, v[1:2], off
	s_mov_b32 s43, 0
	s_mov_b32 s2, exec_lo
                                        ; implicit-def: $sgpr44
	s_waitcnt vmcnt(0)
	v_cmpx_lt_i16_e32 0x7f, v4
	s_xor_b32 s2, exec_lo, s2
	s_cbranch_execz .LBB175_594
; %bb.574:
	v_cmp_ne_u16_e32 vcc_lo, 0x80, v4
	s_mov_b32 s44, 0
	s_and_b32 s43, vcc_lo, exec_lo
	s_or_saveexec_b32 s2, s2
	v_mov_b32_e32 v3, s44
	s_xor_b32 exec_lo, exec_lo, s2
	s_cbranch_execnz .LBB175_595
.LBB175_575:
	s_or_b32 exec_lo, exec_lo, s2
	s_and_saveexec_b32 s2, s43
	s_cbranch_execz .LBB175_577
.LBB175_576:
	v_and_b32_e32 v3, 0xffff, v4
	v_lshlrev_b32_e32 v4, 24, v4
	s_delay_alu instid0(VALU_DEP_2) | instskip(NEXT) | instid1(VALU_DEP_2)
	v_and_b32_e32 v8, 3, v3
	v_and_b32_e32 v4, 0x80000000, v4
	s_delay_alu instid0(VALU_DEP_2) | instskip(NEXT) | instid1(VALU_DEP_1)
	v_clz_i32_u32_e32 v9, v8
	v_min_u32_e32 v9, 32, v9
	s_delay_alu instid0(VALU_DEP_1) | instskip(SKIP_1) | instid1(VALU_DEP_2)
	v_subrev_nc_u32_e32 v10, 29, v9
	v_sub_nc_u32_e32 v9, 30, v9
	v_lshlrev_b32_e32 v10, v10, v3
	v_bfe_u32 v3, v3, 2, 5
	s_delay_alu instid0(VALU_DEP_2) | instskip(NEXT) | instid1(VALU_DEP_2)
	v_and_b32_e32 v10, 3, v10
	v_cmp_eq_u32_e32 vcc_lo, 0, v3
	s_delay_alu instid0(VALU_DEP_2) | instskip(NEXT) | instid1(VALU_DEP_1)
	v_dual_cndmask_b32 v3, v3, v9 :: v_dual_cndmask_b32 v8, v8, v10
	v_lshl_add_u32 v3, v3, 23, 0x37800000
	s_delay_alu instid0(VALU_DEP_2) | instskip(NEXT) | instid1(VALU_DEP_1)
	v_lshlrev_b32_e32 v8, 21, v8
	v_or3_b32 v3, v4, v3, v8
	s_delay_alu instid0(VALU_DEP_1) | instskip(NEXT) | instid1(VALU_DEP_1)
	v_trunc_f32_e32 v3, v3
	v_mul_f32_e64 v4, 0x2f800000, |v3|
	s_delay_alu instid0(VALU_DEP_1) | instskip(NEXT) | instid1(VALU_DEP_1)
	v_floor_f32_e32 v4, v4
	v_fma_f32 v4, 0xcf800000, v4, |v3|
	v_ashrrev_i32_e32 v3, 31, v3
	s_delay_alu instid0(VALU_DEP_2) | instskip(NEXT) | instid1(VALU_DEP_1)
	v_cvt_u32_f32_e32 v4, v4
	v_xor_b32_e32 v4, v4, v3
	s_delay_alu instid0(VALU_DEP_1)
	v_sub_nc_u32_e32 v3, v4, v3
.LBB175_577:
	s_or_b32 exec_lo, exec_lo, s2
	s_mov_b32 s2, 0
	s_branch .LBB175_583
.LBB175_578:
	s_mov_b32 s43, -1
                                        ; implicit-def: $vgpr3
	s_branch .LBB175_589
.LBB175_579:
	s_or_saveexec_b32 s2, s2
	v_mov_b32_e32 v3, s44
	s_xor_b32 exec_lo, exec_lo, s2
	s_cbranch_execz .LBB175_564
.LBB175_580:
	v_cmp_ne_u16_e32 vcc_lo, 0, v4
	v_mov_b32_e32 v3, 0
	s_and_not1_b32 s43, s43, exec_lo
	s_and_b32 s44, vcc_lo, exec_lo
	s_delay_alu instid0(SALU_CYCLE_1)
	s_or_b32 s43, s43, s44
	s_or_b32 exec_lo, exec_lo, s2
	s_and_saveexec_b32 s2, s43
	s_cbranch_execnz .LBB175_565
	s_branch .LBB175_566
.LBB175_581:
	s_mov_b32 s2, -1
                                        ; implicit-def: $vgpr3
	s_branch .LBB175_586
.LBB175_582:
	s_mov_b32 s2, -1
                                        ; implicit-def: $vgpr3
.LBB175_583:
	s_delay_alu instid0(SALU_CYCLE_1)
	s_and_b32 vcc_lo, exec_lo, s2
	s_cbranch_vccz .LBB175_585
; %bb.584:
	global_load_u8 v3, v[1:2], off
	s_waitcnt vmcnt(0)
	v_lshlrev_b32_e32 v3, 24, v3
	s_delay_alu instid0(VALU_DEP_1) | instskip(NEXT) | instid1(VALU_DEP_1)
	v_and_b32_e32 v4, 0x7f000000, v3
	v_clz_i32_u32_e32 v8, v4
	v_add_nc_u32_e32 v10, 0x1000000, v4
	v_cmp_ne_u32_e32 vcc_lo, 0, v4
	s_delay_alu instid0(VALU_DEP_3) | instskip(NEXT) | instid1(VALU_DEP_1)
	v_min_u32_e32 v8, 32, v8
	v_sub_nc_u32_e64 v8, v8, 4 clamp
	s_delay_alu instid0(VALU_DEP_1) | instskip(SKIP_1) | instid1(VALU_DEP_2)
	v_lshlrev_b32_e32 v9, v8, v4
	v_lshlrev_b32_e32 v8, 23, v8
	v_lshrrev_b32_e32 v9, 4, v9
	s_delay_alu instid0(VALU_DEP_1) | instskip(SKIP_1) | instid1(VALU_DEP_2)
	v_sub_nc_u32_e32 v8, v9, v8
	v_ashrrev_i32_e32 v9, 8, v10
	v_add_nc_u32_e32 v8, 0x3c000000, v8
	s_delay_alu instid0(VALU_DEP_1) | instskip(NEXT) | instid1(VALU_DEP_1)
	v_and_or_b32 v8, 0x7f800000, v9, v8
	v_cndmask_b32_e32 v4, 0, v8, vcc_lo
	s_delay_alu instid0(VALU_DEP_1) | instskip(NEXT) | instid1(VALU_DEP_1)
	v_and_or_b32 v3, 0x80000000, v3, v4
	v_trunc_f32_e32 v3, v3
	s_delay_alu instid0(VALU_DEP_1) | instskip(NEXT) | instid1(VALU_DEP_1)
	v_mul_f32_e64 v4, 0x2f800000, |v3|
	v_floor_f32_e32 v4, v4
	s_delay_alu instid0(VALU_DEP_1) | instskip(SKIP_1) | instid1(VALU_DEP_2)
	v_fma_f32 v4, 0xcf800000, v4, |v3|
	v_ashrrev_i32_e32 v3, 31, v3
	v_cvt_u32_f32_e32 v4, v4
	s_delay_alu instid0(VALU_DEP_1) | instskip(NEXT) | instid1(VALU_DEP_1)
	v_xor_b32_e32 v4, v4, v3
	v_sub_nc_u32_e32 v3, v4, v3
.LBB175_585:
	s_mov_b32 s2, 0
.LBB175_586:
	s_delay_alu instid0(SALU_CYCLE_1)
	s_and_not1_b32 vcc_lo, exec_lo, s2
	s_cbranch_vccnz .LBB175_588
; %bb.587:
	global_load_u8 v3, v[1:2], off
	s_waitcnt vmcnt(0)
	v_lshlrev_b32_e32 v4, 25, v3
	v_lshlrev_b16 v3, 8, v3
	s_delay_alu instid0(VALU_DEP_1) | instskip(SKIP_1) | instid1(VALU_DEP_2)
	v_and_or_b32 v9, 0x7f00, v3, 0.5
	v_bfe_i32 v3, v3, 0, 16
	v_add_f32_e32 v9, -0.5, v9
	v_lshrrev_b32_e32 v8, 4, v4
	v_cmp_gt_u32_e32 vcc_lo, 0x8000000, v4
	s_delay_alu instid0(VALU_DEP_2) | instskip(NEXT) | instid1(VALU_DEP_1)
	v_or_b32_e32 v8, 0x70000000, v8
	v_mul_f32_e32 v8, 0x7800000, v8
	s_delay_alu instid0(VALU_DEP_1) | instskip(NEXT) | instid1(VALU_DEP_1)
	v_cndmask_b32_e32 v4, v8, v9, vcc_lo
	v_and_or_b32 v3, 0x80000000, v3, v4
	s_delay_alu instid0(VALU_DEP_1) | instskip(NEXT) | instid1(VALU_DEP_1)
	v_trunc_f32_e32 v3, v3
	v_mul_f32_e64 v4, 0x2f800000, |v3|
	s_delay_alu instid0(VALU_DEP_1) | instskip(NEXT) | instid1(VALU_DEP_1)
	v_floor_f32_e32 v4, v4
	v_fma_f32 v4, 0xcf800000, v4, |v3|
	v_ashrrev_i32_e32 v3, 31, v3
	s_delay_alu instid0(VALU_DEP_2) | instskip(NEXT) | instid1(VALU_DEP_1)
	v_cvt_u32_f32_e32 v4, v4
	v_xor_b32_e32 v4, v4, v3
	s_delay_alu instid0(VALU_DEP_1)
	v_sub_nc_u32_e32 v3, v4, v3
.LBB175_588:
	s_mov_b32 s43, 0
	s_mov_b32 s2, -1
.LBB175_589:
	s_and_not1_b32 vcc_lo, exec_lo, s43
	s_cbranch_vccnz .LBB175_602
; %bb.590:
	v_cmp_lt_i16_e32 vcc_lo, 14, v6
	s_cbranch_vccz .LBB175_593
; %bb.591:
	v_cmp_eq_u16_e32 vcc_lo, 15, v6
	s_cbranch_vccz .LBB175_596
; %bb.592:
	global_load_u16 v3, v[1:2], off
	s_mov_b32 s2, -1
	s_mov_b32 s42, 0
	s_waitcnt vmcnt(0)
	v_lshlrev_b32_e32 v3, 16, v3
	s_delay_alu instid0(VALU_DEP_1) | instskip(NEXT) | instid1(VALU_DEP_1)
	v_trunc_f32_e32 v3, v3
	v_mul_f32_e64 v4, 0x2f800000, |v3|
	s_delay_alu instid0(VALU_DEP_1) | instskip(NEXT) | instid1(VALU_DEP_1)
	v_floor_f32_e32 v4, v4
	v_fma_f32 v4, 0xcf800000, v4, |v3|
	v_ashrrev_i32_e32 v3, 31, v3
	s_delay_alu instid0(VALU_DEP_2) | instskip(NEXT) | instid1(VALU_DEP_1)
	v_cvt_u32_f32_e32 v4, v4
	v_xor_b32_e32 v4, v4, v3
	s_delay_alu instid0(VALU_DEP_1)
	v_sub_nc_u32_e32 v3, v4, v3
	s_branch .LBB175_597
.LBB175_593:
	s_mov_b32 s43, -1
                                        ; implicit-def: $vgpr3
	s_branch .LBB175_598
.LBB175_594:
	s_or_saveexec_b32 s2, s2
	v_mov_b32_e32 v3, s44
	s_xor_b32 exec_lo, exec_lo, s2
	s_cbranch_execz .LBB175_575
.LBB175_595:
	v_cmp_ne_u16_e32 vcc_lo, 0, v4
	v_mov_b32_e32 v3, 0
	s_and_not1_b32 s43, s43, exec_lo
	s_and_b32 s44, vcc_lo, exec_lo
	s_delay_alu instid0(SALU_CYCLE_1)
	s_or_b32 s43, s43, s44
	s_or_b32 exec_lo, exec_lo, s2
	s_and_saveexec_b32 s2, s43
	s_cbranch_execnz .LBB175_576
	s_branch .LBB175_577
.LBB175_596:
	s_mov_b32 s42, -1
                                        ; implicit-def: $vgpr3
.LBB175_597:
	s_mov_b32 s43, 0
.LBB175_598:
	s_delay_alu instid0(SALU_CYCLE_1)
	s_and_b32 vcc_lo, exec_lo, s43
	s_cbranch_vccz .LBB175_602
; %bb.599:
	v_cmp_eq_u16_e32 vcc_lo, 11, v6
	s_cbranch_vccz .LBB175_601
; %bb.600:
	global_load_u8 v3, v[1:2], off
	s_mov_b32 s42, 0
	s_mov_b32 s2, -1
	s_waitcnt vmcnt(0)
	v_cmp_ne_u16_e32 vcc_lo, 0, v3
	v_cndmask_b32_e64 v3, 0, 1, vcc_lo
	s_branch .LBB175_602
.LBB175_601:
	s_mov_b32 s42, -1
                                        ; implicit-def: $vgpr3
.LBB175_602:
	s_mov_b32 s43, 0
.LBB175_603:
	s_delay_alu instid0(SALU_CYCLE_1)
	s_and_b32 vcc_lo, exec_lo, s43
	s_cbranch_vccz .LBB175_652
; %bb.604:
	v_cmp_gt_i16_e32 vcc_lo, 5, v6
	s_cbranch_vccnz .LBB175_609
; %bb.605:
	v_cmp_gt_i16_e32 vcc_lo, 8, v6
	s_cbranch_vccnz .LBB175_610
	;; [unrolled: 3-line block ×3, first 2 shown]
; %bb.607:
	v_cmp_lt_i16_e32 vcc_lo, 9, v6
	s_cbranch_vccz .LBB175_612
; %bb.608:
	global_load_b64 v[3:4], v[1:2], off
	s_mov_b32 s2, 0
	s_waitcnt vmcnt(0)
	v_trunc_f64_e32 v[3:4], v[3:4]
	s_delay_alu instid0(VALU_DEP_1) | instskip(NEXT) | instid1(VALU_DEP_1)
	v_ldexp_f64 v[8:9], v[3:4], 0xffffffe0
	v_floor_f64_e32 v[8:9], v[8:9]
	s_delay_alu instid0(VALU_DEP_1) | instskip(NEXT) | instid1(VALU_DEP_1)
	v_fma_f64 v[3:4], 0xc1f00000, v[8:9], v[3:4]
	v_cvt_u32_f64_e32 v3, v[3:4]
	s_branch .LBB175_613
.LBB175_609:
	s_mov_b32 s2, -1
                                        ; implicit-def: $vgpr3
	s_branch .LBB175_631
.LBB175_610:
	s_mov_b32 s2, -1
                                        ; implicit-def: $vgpr3
	s_branch .LBB175_619
.LBB175_611:
	s_mov_b32 s2, -1
                                        ; implicit-def: $vgpr3
	s_branch .LBB175_616
.LBB175_612:
	s_mov_b32 s2, -1
                                        ; implicit-def: $vgpr3
.LBB175_613:
	s_delay_alu instid0(SALU_CYCLE_1)
	s_and_not1_b32 vcc_lo, exec_lo, s2
	s_cbranch_vccnz .LBB175_615
; %bb.614:
	global_load_b32 v3, v[1:2], off
	s_waitcnt vmcnt(0)
	v_trunc_f32_e32 v3, v3
	s_delay_alu instid0(VALU_DEP_1) | instskip(NEXT) | instid1(VALU_DEP_1)
	v_mul_f32_e64 v4, 0x2f800000, |v3|
	v_floor_f32_e32 v4, v4
	s_delay_alu instid0(VALU_DEP_1) | instskip(SKIP_1) | instid1(VALU_DEP_2)
	v_fma_f32 v4, 0xcf800000, v4, |v3|
	v_ashrrev_i32_e32 v3, 31, v3
	v_cvt_u32_f32_e32 v4, v4
	s_delay_alu instid0(VALU_DEP_1) | instskip(NEXT) | instid1(VALU_DEP_1)
	v_xor_b32_e32 v4, v4, v3
	v_sub_nc_u32_e32 v3, v4, v3
.LBB175_615:
	s_mov_b32 s2, 0
.LBB175_616:
	s_delay_alu instid0(SALU_CYCLE_1)
	s_and_not1_b32 vcc_lo, exec_lo, s2
	s_cbranch_vccnz .LBB175_618
; %bb.617:
	global_load_b32 v3, v[1:2], off
	s_waitcnt vmcnt(0)
	v_cvt_f32_f16_e32 v3, v3
	s_delay_alu instid0(VALU_DEP_1)
	v_cvt_i32_f32_e32 v3, v3
.LBB175_618:
	s_mov_b32 s2, 0
.LBB175_619:
	s_delay_alu instid0(SALU_CYCLE_1)
	s_and_not1_b32 vcc_lo, exec_lo, s2
	s_cbranch_vccnz .LBB175_630
; %bb.620:
	v_cmp_gt_i16_e32 vcc_lo, 6, v6
	s_cbranch_vccnz .LBB175_623
; %bb.621:
	v_cmp_lt_i16_e32 vcc_lo, 6, v6
	s_cbranch_vccz .LBB175_624
; %bb.622:
	global_load_b64 v[3:4], v[1:2], off
	s_mov_b32 s2, 0
	s_waitcnt vmcnt(0)
	v_trunc_f64_e32 v[3:4], v[3:4]
	s_delay_alu instid0(VALU_DEP_1) | instskip(NEXT) | instid1(VALU_DEP_1)
	v_ldexp_f64 v[8:9], v[3:4], 0xffffffe0
	v_floor_f64_e32 v[8:9], v[8:9]
	s_delay_alu instid0(VALU_DEP_1) | instskip(NEXT) | instid1(VALU_DEP_1)
	v_fma_f64 v[3:4], 0xc1f00000, v[8:9], v[3:4]
	v_cvt_u32_f64_e32 v3, v[3:4]
	s_branch .LBB175_625
.LBB175_623:
	s_mov_b32 s2, -1
                                        ; implicit-def: $vgpr3
	s_branch .LBB175_628
.LBB175_624:
	s_mov_b32 s2, -1
                                        ; implicit-def: $vgpr3
.LBB175_625:
	s_delay_alu instid0(SALU_CYCLE_1)
	s_and_not1_b32 vcc_lo, exec_lo, s2
	s_cbranch_vccnz .LBB175_627
; %bb.626:
	global_load_b32 v3, v[1:2], off
	s_waitcnt vmcnt(0)
	v_trunc_f32_e32 v3, v3
	s_delay_alu instid0(VALU_DEP_1) | instskip(NEXT) | instid1(VALU_DEP_1)
	v_mul_f32_e64 v4, 0x2f800000, |v3|
	v_floor_f32_e32 v4, v4
	s_delay_alu instid0(VALU_DEP_1) | instskip(SKIP_1) | instid1(VALU_DEP_2)
	v_fma_f32 v4, 0xcf800000, v4, |v3|
	v_ashrrev_i32_e32 v3, 31, v3
	v_cvt_u32_f32_e32 v4, v4
	s_delay_alu instid0(VALU_DEP_1) | instskip(NEXT) | instid1(VALU_DEP_1)
	v_xor_b32_e32 v4, v4, v3
	v_sub_nc_u32_e32 v3, v4, v3
.LBB175_627:
	s_mov_b32 s2, 0
.LBB175_628:
	s_delay_alu instid0(SALU_CYCLE_1)
	s_and_not1_b32 vcc_lo, exec_lo, s2
	s_cbranch_vccnz .LBB175_630
; %bb.629:
	global_load_u16 v3, v[1:2], off
	s_waitcnt vmcnt(0)
	v_cvt_f32_f16_e32 v3, v3
	s_delay_alu instid0(VALU_DEP_1)
	v_cvt_i32_f32_e32 v3, v3
.LBB175_630:
	s_mov_b32 s2, 0
.LBB175_631:
	s_delay_alu instid0(SALU_CYCLE_1)
	s_and_not1_b32 vcc_lo, exec_lo, s2
	s_cbranch_vccnz .LBB175_651
; %bb.632:
	v_cmp_gt_i16_e32 vcc_lo, 2, v6
	s_cbranch_vccnz .LBB175_636
; %bb.633:
	v_cmp_gt_i16_e32 vcc_lo, 3, v6
	s_cbranch_vccnz .LBB175_637
; %bb.634:
	v_cmp_lt_i16_e32 vcc_lo, 3, v6
	s_cbranch_vccz .LBB175_638
; %bb.635:
	global_load_b64 v[3:4], v[1:2], off
	s_mov_b32 s2, 0
	s_branch .LBB175_639
.LBB175_636:
	s_mov_b32 s2, -1
                                        ; implicit-def: $vgpr3
	s_branch .LBB175_645
.LBB175_637:
	s_mov_b32 s2, -1
                                        ; implicit-def: $vgpr3
	s_branch .LBB175_642
.LBB175_638:
	s_mov_b32 s2, -1
                                        ; implicit-def: $vgpr3
.LBB175_639:
	s_delay_alu instid0(SALU_CYCLE_1)
	s_and_not1_b32 vcc_lo, exec_lo, s2
	s_cbranch_vccnz .LBB175_641
; %bb.640:
	global_load_b32 v3, v[1:2], off
.LBB175_641:
	s_mov_b32 s2, 0
.LBB175_642:
	s_delay_alu instid0(SALU_CYCLE_1)
	s_and_not1_b32 vcc_lo, exec_lo, s2
	s_cbranch_vccnz .LBB175_644
; %bb.643:
	global_load_u16 v3, v[1:2], off
.LBB175_644:
	s_mov_b32 s2, 0
.LBB175_645:
	s_delay_alu instid0(SALU_CYCLE_1)
	s_and_not1_b32 vcc_lo, exec_lo, s2
	s_cbranch_vccnz .LBB175_651
; %bb.646:
	v_cmp_lt_i16_e32 vcc_lo, 0, v6
	s_mov_b32 s2, 0
	s_cbranch_vccz .LBB175_648
; %bb.647:
	global_load_u8 v3, v[1:2], off
	s_branch .LBB175_649
.LBB175_648:
	s_mov_b32 s2, -1
                                        ; implicit-def: $vgpr3
.LBB175_649:
	s_delay_alu instid0(SALU_CYCLE_1)
	s_and_not1_b32 vcc_lo, exec_lo, s2
	s_cbranch_vccnz .LBB175_651
; %bb.650:
	global_load_u8 v3, v[1:2], off
.LBB175_651:
	s_mov_b32 s2, -1
.LBB175_652:
	s_delay_alu instid0(SALU_CYCLE_1)
	s_and_not1_b32 vcc_lo, exec_lo, s2
	s_cbranch_vccnz .LBB175_660
; %bb.653:
	s_waitcnt vmcnt(0)
	s_delay_alu instid0(VALU_DEP_1) | instskip(SKIP_4) | instid1(VALU_DEP_3)
	v_cvt_f32_ubyte0_e32 v1, v3
	v_lshlrev_b32_e32 v2, 16, v5
	v_and_b32_e64 v3, 0xff, s11
	v_add_co_u32 v0, s2, s4, v0
	s_mov_b32 s43, 0
	v_mul_f32_e32 v1, v2, v1
	s_delay_alu instid0(VALU_DEP_3) | instskip(SKIP_1) | instid1(VALU_DEP_2)
	v_cmp_gt_i16_e32 vcc_lo, 11, v3
	s_mov_b32 s44, -1
	v_mul_f32_e32 v2, s10, v1
	s_and_b32 vcc_lo, exec_lo, vcc_lo
	s_delay_alu instid0(VALU_DEP_1) | instskip(NEXT) | instid1(VALU_DEP_1)
	v_bfe_u32 v1, v2, 16, 1
	v_add3_u32 v1, v2, v1, 0x7fff
	s_delay_alu instid0(VALU_DEP_1) | instskip(SKIP_2) | instid1(VALU_DEP_1)
	v_lshrrev_b32_e32 v4, 16, v1
	v_add_co_ci_u32_e64 v1, null, s5, 0, s2
	v_cmp_o_f32_e64 s2, v2, v2
	v_cndmask_b32_e64 v2, 0x7fc0, v4, s2
	s_mov_b32 s2, s38
	s_cbranch_vccnz .LBB175_661
; %bb.654:
	v_cmp_lt_i16_e32 vcc_lo, 25, v3
	s_cbranch_vccz .LBB175_724
; %bb.655:
	v_cmp_lt_i16_e32 vcc_lo, 28, v3
	s_cbranch_vccz .LBB175_726
	;; [unrolled: 3-line block ×4, first 2 shown]
; %bb.658:
	v_cmp_eq_u16_e32 vcc_lo, 46, v3
	s_mov_b32 s44, 0
	s_mov_b32 s2, -1
	s_cbranch_vccz .LBB175_731
; %bb.659:
	v_and_b32_e32 v4, 0xffff, v2
	s_mov_b32 s43, -1
	s_mov_b32 s2, 0
	global_store_b32 v[0:1], v4, off
	s_branch .LBB175_731
.LBB175_660:
	s_mov_b32 s46, 0
	s_mov_b32 s2, s38
	s_branch .LBB175_701
.LBB175_661:
	s_and_b32 vcc_lo, exec_lo, s44
	s_cbranch_vccz .LBB175_800
; %bb.662:
	v_cmp_gt_i16_e32 vcc_lo, 5, v3
	s_mov_b32 s43, -1
	s_cbranch_vccnz .LBB175_683
; %bb.663:
	v_cmp_gt_i16_e32 vcc_lo, 8, v3
	s_cbranch_vccnz .LBB175_673
; %bb.664:
	v_cmp_gt_i16_e32 vcc_lo, 9, v3
	s_cbranch_vccnz .LBB175_670
; %bb.665:
	v_cmp_lt_i16_e32 vcc_lo, 9, v3
	s_cbranch_vccz .LBB175_667
; %bb.666:
	v_mov_b32_e32 v10, 0
	v_lshlrev_b32_e32 v4, 16, v2
	s_mov_b32 s43, 0
	s_delay_alu instid0(VALU_DEP_2) | instskip(NEXT) | instid1(VALU_DEP_2)
	v_mov_b32_e32 v11, v10
	v_cvt_f64_f32_e32 v[8:9], v4
	global_store_b128 v[0:1], v[8:11], off
.LBB175_667:
	s_and_not1_b32 vcc_lo, exec_lo, s43
	s_cbranch_vccnz .LBB175_669
; %bb.668:
	v_dual_mov_b32 v5, 0 :: v_dual_lshlrev_b32 v4, 16, v2
	global_store_b64 v[0:1], v[4:5], off
.LBB175_669:
	s_mov_b32 s43, 0
.LBB175_670:
	s_delay_alu instid0(SALU_CYCLE_1)
	s_and_not1_b32 vcc_lo, exec_lo, s43
	s_cbranch_vccnz .LBB175_672
; %bb.671:
	v_lshlrev_b32_e32 v4, 16, v2
	s_delay_alu instid0(VALU_DEP_1) | instskip(NEXT) | instid1(VALU_DEP_1)
	v_cvt_f16_f32_e32 v4, v4
	v_and_b32_e32 v4, 0xffff, v4
	global_store_b32 v[0:1], v4, off
.LBB175_672:
	s_mov_b32 s43, 0
.LBB175_673:
	s_delay_alu instid0(SALU_CYCLE_1)
	s_and_not1_b32 vcc_lo, exec_lo, s43
	s_cbranch_vccnz .LBB175_682
; %bb.674:
	v_cmp_gt_i16_e32 vcc_lo, 6, v3
	s_mov_b32 s43, -1
	s_cbranch_vccnz .LBB175_680
; %bb.675:
	v_cmp_lt_i16_e32 vcc_lo, 6, v3
	s_cbranch_vccz .LBB175_677
; %bb.676:
	v_lshlrev_b32_e32 v4, 16, v2
	s_mov_b32 s43, 0
	s_delay_alu instid0(VALU_DEP_1)
	v_cvt_f64_f32_e32 v[4:5], v4
	global_store_b64 v[0:1], v[4:5], off
.LBB175_677:
	s_and_not1_b32 vcc_lo, exec_lo, s43
	s_cbranch_vccnz .LBB175_679
; %bb.678:
	v_lshlrev_b32_e32 v4, 16, v2
	global_store_b32 v[0:1], v4, off
.LBB175_679:
	s_mov_b32 s43, 0
.LBB175_680:
	s_delay_alu instid0(SALU_CYCLE_1)
	s_and_not1_b32 vcc_lo, exec_lo, s43
	s_cbranch_vccnz .LBB175_682
; %bb.681:
	v_lshlrev_b32_e32 v4, 16, v2
	s_delay_alu instid0(VALU_DEP_1)
	v_cvt_f16_f32_e32 v4, v4
	global_store_b16 v[0:1], v4, off
.LBB175_682:
	s_mov_b32 s43, 0
.LBB175_683:
	s_delay_alu instid0(SALU_CYCLE_1)
	s_and_not1_b32 vcc_lo, exec_lo, s43
	s_cbranch_vccnz .LBB175_699
; %bb.684:
	v_cmp_gt_i16_e32 vcc_lo, 2, v3
	s_mov_b32 s43, -1
	s_cbranch_vccnz .LBB175_694
; %bb.685:
	v_cmp_gt_i16_e32 vcc_lo, 3, v3
	s_cbranch_vccnz .LBB175_691
; %bb.686:
	v_cmp_lt_i16_e32 vcc_lo, 3, v3
	s_cbranch_vccz .LBB175_688
; %bb.687:
	v_lshlrev_b32_e32 v4, 16, v2
	s_mov_b32 s43, 0
	s_delay_alu instid0(VALU_DEP_1) | instskip(NEXT) | instid1(VALU_DEP_1)
	v_trunc_f32_e32 v4, v4
	v_mul_f32_e64 v5, 0x2f800000, |v4|
	v_ashrrev_i32_e32 v8, 31, v4
	s_delay_alu instid0(VALU_DEP_2) | instskip(NEXT) | instid1(VALU_DEP_1)
	v_floor_f32_e32 v5, v5
	v_fma_f32 v6, 0xcf800000, v5, |v4|
	v_cvt_u32_f32_e32 v5, v5
	s_delay_alu instid0(VALU_DEP_2) | instskip(NEXT) | instid1(VALU_DEP_2)
	v_cvt_u32_f32_e32 v4, v6
	v_xor_b32_e32 v5, v5, v8
	s_delay_alu instid0(VALU_DEP_2) | instskip(NEXT) | instid1(VALU_DEP_1)
	v_xor_b32_e32 v4, v4, v8
	v_sub_co_u32 v4, vcc_lo, v4, v8
	s_delay_alu instid0(VALU_DEP_3)
	v_sub_co_ci_u32_e32 v5, vcc_lo, v5, v8, vcc_lo
	global_store_b64 v[0:1], v[4:5], off
.LBB175_688:
	s_and_not1_b32 vcc_lo, exec_lo, s43
	s_cbranch_vccnz .LBB175_690
; %bb.689:
	v_lshlrev_b32_e32 v4, 16, v2
	s_delay_alu instid0(VALU_DEP_1)
	v_cvt_i32_f32_e32 v4, v4
	global_store_b32 v[0:1], v4, off
.LBB175_690:
	s_mov_b32 s43, 0
.LBB175_691:
	s_delay_alu instid0(SALU_CYCLE_1)
	s_and_not1_b32 vcc_lo, exec_lo, s43
	s_cbranch_vccnz .LBB175_693
; %bb.692:
	v_lshlrev_b32_e32 v4, 16, v2
	s_delay_alu instid0(VALU_DEP_1)
	v_cvt_i32_f32_e32 v4, v4
	global_store_b16 v[0:1], v4, off
.LBB175_693:
	s_mov_b32 s43, 0
.LBB175_694:
	s_delay_alu instid0(SALU_CYCLE_1)
	s_and_not1_b32 vcc_lo, exec_lo, s43
	s_cbranch_vccnz .LBB175_699
; %bb.695:
	v_cmp_lt_i16_e32 vcc_lo, 0, v3
	s_mov_b32 s43, -1
	s_cbranch_vccz .LBB175_697
; %bb.696:
	v_lshlrev_b32_e32 v3, 16, v2
	s_mov_b32 s43, 0
	s_delay_alu instid0(VALU_DEP_1)
	v_cvt_i32_f32_e32 v3, v3
	global_store_b8 v[0:1], v3, off
.LBB175_697:
	s_and_not1_b32 vcc_lo, exec_lo, s43
	s_cbranch_vccnz .LBB175_699
; %bb.698:
	v_lshlrev_b32_e32 v2, 16, v2
	s_delay_alu instid0(VALU_DEP_1) | instskip(NEXT) | instid1(VALU_DEP_1)
	v_trunc_f32_e32 v2, v2
	v_mul_f32_e64 v3, 0x2f800000, |v2|
	s_delay_alu instid0(VALU_DEP_1) | instskip(NEXT) | instid1(VALU_DEP_1)
	v_floor_f32_e32 v3, v3
	v_fma_f32 v3, 0xcf800000, v3, |v2|
	v_ashrrev_i32_e32 v2, 31, v2
	s_delay_alu instid0(VALU_DEP_2) | instskip(NEXT) | instid1(VALU_DEP_1)
	v_cvt_u32_f32_e32 v3, v3
	v_xor_b32_e32 v3, v3, v2
	s_delay_alu instid0(VALU_DEP_1)
	v_sub_nc_u32_e32 v2, v3, v2
	global_store_b8 v[0:1], v2, off
.LBB175_699:
	s_branch .LBB175_801
.LBB175_700:
	s_mov_b32 s46, 0
.LBB175_701:
                                        ; implicit-def: $vgpr7
.LBB175_702:
	s_and_not1_b32 s43, s38, exec_lo
	s_and_b32 s2, s2, exec_lo
	s_and_b32 s42, s42, exec_lo
	s_or_b32 s43, s43, s2
	s_and_not1_b32 s2, s39, exec_lo
	s_and_not1_b32 s47, s40, exec_lo
	s_and_b32 s3, s3, exec_lo
	s_or_b32 s44, s2, s42
	s_or_b32 s42, s47, s3
	s_or_not1_b32 s47, s46, exec_lo
.LBB175_703:
	s_or_b32 exec_lo, exec_lo, s45
	s_mov_b32 s2, 0
	s_mov_b32 s3, 0
	;; [unrolled: 1-line block ×3, first 2 shown]
                                        ; implicit-def: $vgpr4
                                        ; implicit-def: $vgpr2_vgpr3
                                        ; implicit-def: $vgpr0
                                        ; implicit-def: $vgpr1
                                        ; implicit-def: $vgpr6
	s_and_saveexec_b32 s45, s47
	s_cbranch_execz .LBB175_1268
; %bb.704:
	s_mov_b32 s51, -1
	s_mov_b32 s47, s42
	s_mov_b32 s49, s44
	;; [unrolled: 1-line block ×3, first 2 shown]
	s_mov_b32 s46, exec_lo
	v_cmpx_gt_i32_e64 s36, v7
	s_cbranch_execz .LBB175_1099
; %bb.705:
	s_and_not1_b32 vcc_lo, exec_lo, s29
	s_cbranch_vccnz .LBB175_711
; %bb.706:
	v_dual_mov_b32 v0, 0 :: v_dual_mov_b32 v1, 0
	v_mov_b32_e32 v2, 0
	s_and_not1_b32 vcc_lo, exec_lo, s37
	s_mov_b32 s47, 0
	s_cbranch_vccnz .LBB175_712
; %bb.707:
	s_add_i32 s2, s35, 1
	v_dual_mov_b32 v1, 0 :: v_dual_mov_b32 v2, 0
	s_waitcnt vmcnt(0)
	v_dual_mov_b32 v0, 0 :: v_dual_mov_b32 v3, v7
	s_and_b32 s48, s2, 30
	s_add_u32 s2, s20, 0xffffffec
	s_addc_u32 s3, s21, -1
	s_set_inst_prefetch_distance 0x1
	.p2align	6
.LBB175_708:                            ; =>This Inner Loop Header: Depth=1
	s_clause 0x2
	s_load_b128 s[52:55], s[2:3], 0x18
	s_load_b64 s[50:51], s[2:3], 0x28
	s_load_b128 s[56:59], s[2:3], 0xd8
	s_waitcnt lgkmcnt(0)
	v_mul_hi_u32 v4, s53, v3
	s_delay_alu instid0(VALU_DEP_1) | instskip(NEXT) | instid1(VALU_DEP_1)
	v_add_nc_u32_e32 v4, v3, v4
	v_lshrrev_b32_e32 v4, s54, v4
	s_delay_alu instid0(VALU_DEP_1)
	v_mul_hi_u32 v5, s50, v4
	v_mul_lo_u32 v6, v4, s52
	s_load_b64 s[52:53], s[2:3], 0xe8
	s_add_u32 s2, s2, 24
	s_addc_u32 s3, s3, 0
	s_add_i32 s48, s48, -2
	s_delay_alu instid0(SALU_CYCLE_1) | instskip(NEXT) | instid1(VALU_DEP_2)
	s_cmp_eq_u32 s48, 0
	v_add_nc_u32_e32 v5, v4, v5
	s_delay_alu instid0(VALU_DEP_2) | instskip(NEXT) | instid1(VALU_DEP_2)
	v_sub_nc_u32_e32 v6, v3, v6
	v_lshrrev_b32_e32 v3, s51, v5
	s_delay_alu instid0(VALU_DEP_2) | instskip(NEXT) | instid1(VALU_DEP_2)
	v_mul_lo_u32 v8, v6, s56
	v_mul_lo_u32 v5, v3, s55
	s_delay_alu instid0(VALU_DEP_1) | instskip(SKIP_2) | instid1(VALU_DEP_3)
	v_sub_nc_u32_e32 v4, v4, v5
	v_mul_lo_u32 v5, v6, s57
	v_mul_lo_u32 v6, v6, s58
	;; [unrolled: 1-line block ×3, first 2 shown]
	s_waitcnt lgkmcnt(0)
	v_mul_lo_u32 v10, v4, s52
	v_mul_lo_u32 v4, v4, s53
	s_delay_alu instid0(VALU_DEP_3) | instskip(NEXT) | instid1(VALU_DEP_3)
	v_add3_u32 v0, v8, v0, v9
	v_add3_u32 v2, v5, v2, v10
	s_delay_alu instid0(VALU_DEP_3)
	v_add3_u32 v1, v6, v1, v4
	s_cbranch_scc0 .LBB175_708
; %bb.709:
	s_set_inst_prefetch_distance 0x2
	s_bitcmp1_b32 s35, 0
	s_cselect_b32 s48, -1, 0
	s_delay_alu instid0(SALU_CYCLE_1)
	s_and_b32 vcc_lo, exec_lo, s48
	s_cbranch_vccnz .LBB175_712
; %bb.710:
	s_clause 0x3
	s_load_b64 s[48:49], s[2:3], 0x18
	s_load_b32 s52, s[2:3], 0x20
	s_load_b64 s[50:51], s[2:3], 0xd8
	s_load_b32 s2, s[2:3], 0xe0
	s_waitcnt lgkmcnt(0)
	v_mul_hi_u32 v4, s49, v3
	s_delay_alu instid0(VALU_DEP_1) | instskip(NEXT) | instid1(VALU_DEP_1)
	v_add_nc_u32_e32 v4, v3, v4
	v_lshrrev_b32_e32 v4, s52, v4
	s_delay_alu instid0(VALU_DEP_1) | instskip(NEXT) | instid1(VALU_DEP_1)
	v_mul_lo_u32 v4, v4, s48
	v_sub_nc_u32_e32 v8, v3, v4
	s_delay_alu instid0(VALU_DEP_1) | instskip(NEXT) | instid1(VALU_DEP_1)
	v_mad_u64_u32 v[3:4], null, v8, s50, v[0:1]
	v_mad_u64_u32 v[4:5], null, v8, s51, v[2:3]
	;; [unrolled: 1-line block ×3, first 2 shown]
	v_mov_b32_e32 v0, v3
	s_delay_alu instid0(VALU_DEP_2)
	v_dual_mov_b32 v2, v4 :: v_dual_mov_b32 v1, v5
	s_branch .LBB175_712
.LBB175_711:
	s_mov_b32 s47, -1
                                        ; implicit-def: $vgpr0
                                        ; implicit-def: $vgpr2
                                        ; implicit-def: $vgpr1
.LBB175_712:
	s_delay_alu instid0(SALU_CYCLE_1)
	s_and_not1_b32 vcc_lo, exec_lo, s47
	s_cbranch_vccnz .LBB175_715
; %bb.713:
	v_mul_hi_u32 v0, s17, v7
	s_and_not1_b32 vcc_lo, exec_lo, s34
	s_delay_alu instid0(VALU_DEP_1) | instskip(SKIP_1) | instid1(VALU_DEP_1)
	v_add_nc_u32_e32 v0, v7, v0
	s_waitcnt vmcnt(0)
	v_lshrrev_b32_e32 v3, s18, v0
	s_delay_alu instid0(VALU_DEP_1) | instskip(NEXT) | instid1(VALU_DEP_1)
	v_mul_lo_u32 v0, v3, s16
	v_sub_nc_u32_e32 v1, v7, v0
	s_delay_alu instid0(VALU_DEP_1)
	v_mul_lo_u32 v0, v1, s12
	v_mul_lo_u32 v2, v1, s13
	;; [unrolled: 1-line block ×3, first 2 shown]
	s_cbranch_vccnz .LBB175_715
; %bb.714:
	v_mul_hi_u32 v4, s24, v3
	s_delay_alu instid0(VALU_DEP_1) | instskip(NEXT) | instid1(VALU_DEP_1)
	v_add_nc_u32_e32 v4, v3, v4
	v_lshrrev_b32_e32 v4, s25, v4
	s_delay_alu instid0(VALU_DEP_1) | instskip(NEXT) | instid1(VALU_DEP_1)
	v_mul_lo_u32 v4, v4, s19
	v_sub_nc_u32_e32 v8, v3, v4
	s_delay_alu instid0(VALU_DEP_1) | instskip(NEXT) | instid1(VALU_DEP_1)
	v_mad_u64_u32 v[3:4], null, v8, s15, v[0:1]
	v_mad_u64_u32 v[4:5], null, v8, s22, v[2:3]
	;; [unrolled: 1-line block ×3, first 2 shown]
	v_mov_b32_e32 v0, v3
	s_delay_alu instid0(VALU_DEP_2)
	v_dual_mov_b32 v2, v4 :: v_dual_mov_b32 v1, v5
.LBB175_715:
	s_waitcnt vmcnt(0)
	v_and_b32_e64 v4, 0xff, s33
	s_delay_alu instid0(VALU_DEP_2) | instskip(NEXT) | instid1(VALU_DEP_1)
	v_add_co_u32 v2, s2, s6, v2
	v_add_co_ci_u32_e64 v3, null, s7, 0, s2
	s_delay_alu instid0(VALU_DEP_3)
	v_cmp_gt_i16_e32 vcc_lo, 11, v4
	s_mov_b32 s2, 0
	s_cbranch_vccnz .LBB175_722
; %bb.716:
	v_cmp_lt_i16_e32 vcc_lo, 25, v4
	s_cbranch_vccz .LBB175_723
; %bb.717:
	v_cmp_lt_i16_e32 vcc_lo, 28, v4
	s_cbranch_vccz .LBB175_725
	;; [unrolled: 3-line block ×4, first 2 shown]
; %bb.720:
	v_cmp_eq_u16_e32 vcc_lo, 46, v4
	s_mov_b32 s47, 0
	s_cbranch_vccz .LBB175_802
; %bb.721:
	global_load_b32 v5, v[2:3], off
	s_mov_b32 s2, -1
	s_mov_b32 s3, 0
	s_branch .LBB175_804
.LBB175_722:
	s_mov_b32 s47, -1
	s_mov_b32 s3, s42
                                        ; implicit-def: $vgpr5
	s_branch .LBB175_871
.LBB175_723:
	s_mov_b32 s47, -1
	s_mov_b32 s3, s42
                                        ; implicit-def: $vgpr5
	s_branch .LBB175_835
.LBB175_724:
	s_mov_b32 s2, s38
	s_branch .LBB175_758
.LBB175_725:
	s_mov_b32 s47, -1
	s_mov_b32 s3, s42
                                        ; implicit-def: $vgpr5
	s_branch .LBB175_816
.LBB175_726:
	s_mov_b32 s2, s38
	s_branch .LBB175_741
.LBB175_727:
	s_mov_b32 s47, -1
	s_mov_b32 s3, s42
                                        ; implicit-def: $vgpr5
	s_branch .LBB175_811
.LBB175_728:
	s_mov_b32 s2, s38
	s_branch .LBB175_737
.LBB175_729:
	s_mov_b32 s47, -1
	s_mov_b32 s3, s42
	s_branch .LBB175_803
.LBB175_730:
	s_mov_b32 s2, s38
.LBB175_731:
	s_and_b32 vcc_lo, exec_lo, s44
	s_cbranch_vccz .LBB175_736
; %bb.732:
	v_cmp_eq_u16_e32 vcc_lo, 44, v3
	s_mov_b32 s2, -1
	s_cbranch_vccz .LBB175_736
; %bb.733:
	v_and_b32_e32 v4, 0xffff, v2
	v_mov_b32_e32 v5, 0xff
	s_mov_b32 s43, exec_lo
	s_delay_alu instid0(VALU_DEP_2) | instskip(NEXT) | instid1(VALU_DEP_1)
	v_bfe_u32 v6, v4, 7, 8
	v_cmpx_ne_u32_e32 0xff, v6
; %bb.734:
	v_lshlrev_b32_e32 v5, 16, v4
	v_and_b32_e32 v8, 64, v4
	v_lshrrev_b32_e32 v4, 7, v4
	s_delay_alu instid0(VALU_DEP_3) | instskip(NEXT) | instid1(VALU_DEP_3)
	v_and_or_b32 v5, 0x3f0000, v5, v6
	v_cmp_ne_u32_e32 vcc_lo, 0, v8
	s_delay_alu instid0(VALU_DEP_2) | instskip(NEXT) | instid1(VALU_DEP_1)
	v_cmp_ne_u32_e64 s2, 0, v5
	s_and_b32 s2, vcc_lo, s2
	s_delay_alu instid0(SALU_CYCLE_1) | instskip(NEXT) | instid1(VALU_DEP_1)
	v_cndmask_b32_e64 v5, 0, 1, s2
	v_add_nc_u32_e32 v5, v4, v5
; %bb.735:
	s_or_b32 exec_lo, exec_lo, s43
	s_mov_b32 s43, -1
	s_mov_b32 s2, 0
	global_store_b8 v[0:1], v5, off
.LBB175_736:
	s_mov_b32 s44, 0
.LBB175_737:
	s_delay_alu instid0(SALU_CYCLE_1)
	s_and_b32 vcc_lo, exec_lo, s44
	s_cbranch_vccz .LBB175_740
; %bb.738:
	v_cmp_eq_u16_e32 vcc_lo, 29, v3
	s_mov_b32 s2, -1
	s_cbranch_vccz .LBB175_740
; %bb.739:
	v_lshlrev_b32_e32 v4, 16, v2
	s_mov_b32 s43, -1
	s_mov_b32 s2, 0
	s_mov_b32 s44, 0
	s_delay_alu instid0(VALU_DEP_1) | instskip(NEXT) | instid1(VALU_DEP_1)
	v_trunc_f32_e32 v4, v4
	v_mul_f32_e32 v5, 0x2f800000, v4
	s_delay_alu instid0(VALU_DEP_1) | instskip(NEXT) | instid1(VALU_DEP_1)
	v_floor_f32_e32 v5, v5
	v_fmamk_f32 v4, v5, 0xcf800000, v4
	v_cvt_u32_f32_e32 v5, v5
	s_delay_alu instid0(VALU_DEP_2)
	v_cvt_u32_f32_e32 v4, v4
	global_store_b64 v[0:1], v[4:5], off
	s_branch .LBB175_741
.LBB175_740:
	s_mov_b32 s44, 0
.LBB175_741:
	s_delay_alu instid0(SALU_CYCLE_1)
	s_and_b32 vcc_lo, exec_lo, s44
	s_cbranch_vccz .LBB175_757
; %bb.742:
	v_cmp_gt_i16_e32 vcc_lo, 27, v3
	s_mov_b32 s43, -1
	s_cbranch_vccnz .LBB175_748
; %bb.743:
	v_cmp_lt_i16_e32 vcc_lo, 27, v3
	s_cbranch_vccz .LBB175_745
; %bb.744:
	v_lshlrev_b32_e32 v4, 16, v2
	s_mov_b32 s43, 0
	s_delay_alu instid0(VALU_DEP_1)
	v_cvt_u32_f32_e32 v4, v4
	global_store_b32 v[0:1], v4, off
.LBB175_745:
	s_and_not1_b32 vcc_lo, exec_lo, s43
	s_cbranch_vccnz .LBB175_747
; %bb.746:
	v_lshlrev_b32_e32 v4, 16, v2
	s_delay_alu instid0(VALU_DEP_1)
	v_cvt_u32_f32_e32 v4, v4
	global_store_b16 v[0:1], v4, off
.LBB175_747:
	s_mov_b32 s43, 0
.LBB175_748:
	s_delay_alu instid0(SALU_CYCLE_1)
	s_and_not1_b32 vcc_lo, exec_lo, s43
	s_cbranch_vccnz .LBB175_756
; %bb.749:
	v_lshlrev_b32_e32 v6, 16, v2
	v_mov_b32_e32 v8, 0x80
	s_mov_b32 s43, exec_lo
	s_delay_alu instid0(VALU_DEP_2) | instskip(NEXT) | instid1(VALU_DEP_1)
	v_and_b32_e32 v5, 0x7fffffff, v6
	v_cmpx_gt_u32_e32 0x43800000, v5
	s_cbranch_execz .LBB175_755
; %bb.750:
	v_and_b32_e32 v4, 0xffff, v2
	v_cmp_lt_u32_e32 vcc_lo, 0x3bffffff, v5
	s_mov_b32 s44, 0
                                        ; implicit-def: $vgpr5
	s_and_saveexec_b32 s46, vcc_lo
	s_delay_alu instid0(SALU_CYCLE_1)
	s_xor_b32 s46, exec_lo, s46
	s_cbranch_execz .LBB175_807
; %bb.751:
	v_bfe_u32 v5, v4, 4, 1
	s_mov_b32 s44, exec_lo
	s_delay_alu instid0(VALU_DEP_1) | instskip(NEXT) | instid1(VALU_DEP_1)
	v_add3_u32 v5, v6, v5, 0x487ffff
                                        ; implicit-def: $vgpr6
	v_lshrrev_b32_e32 v5, 20, v5
	s_or_saveexec_b32 s46, s46
                                        ; implicit-def: $sgpr47
	s_delay_alu instid0(SALU_CYCLE_1)
	s_xor_b32 exec_lo, exec_lo, s46
	s_cbranch_execnz .LBB175_808
.LBB175_752:
	s_or_b32 exec_lo, exec_lo, s46
	v_mov_b32_e32 v8, s47
	s_and_saveexec_b32 s46, s44
.LBB175_753:
	v_lshrrev_b32_e32 v4, 8, v4
	s_delay_alu instid0(VALU_DEP_1)
	v_and_or_b32 v8, 0x80, v4, v5
.LBB175_754:
	s_or_b32 exec_lo, exec_lo, s46
.LBB175_755:
	s_delay_alu instid0(SALU_CYCLE_1)
	s_or_b32 exec_lo, exec_lo, s43
	global_store_b8 v[0:1], v8, off
.LBB175_756:
	s_mov_b32 s43, -1
.LBB175_757:
	s_mov_b32 s44, 0
.LBB175_758:
	s_delay_alu instid0(SALU_CYCLE_1)
	s_and_b32 vcc_lo, exec_lo, s44
	s_cbranch_vccz .LBB175_799
; %bb.759:
	v_cmp_lt_i16_e32 vcc_lo, 22, v3
	s_mov_b32 s44, -1
	s_cbranch_vccz .LBB175_791
; %bb.760:
	v_cmp_gt_i16_e32 vcc_lo, 24, v3
	s_mov_b32 s43, -1
	s_cbranch_vccnz .LBB175_780
; %bb.761:
	v_cmp_lt_i16_e32 vcc_lo, 24, v3
	s_cbranch_vccz .LBB175_769
; %bb.762:
	v_lshlrev_b32_e32 v6, 16, v2
	v_mov_b32_e32 v8, 0x80
	s_mov_b32 s43, exec_lo
	s_delay_alu instid0(VALU_DEP_2) | instskip(NEXT) | instid1(VALU_DEP_1)
	v_and_b32_e32 v5, 0x7fffffff, v6
	v_cmpx_gt_u32_e32 0x47800000, v5
	s_cbranch_execz .LBB175_768
; %bb.763:
	v_and_b32_e32 v4, 0xffff, v2
	v_cmp_lt_u32_e32 vcc_lo, 0x37ffffff, v5
	s_mov_b32 s44, 0
                                        ; implicit-def: $vgpr5
	s_and_saveexec_b32 s46, vcc_lo
	s_delay_alu instid0(SALU_CYCLE_1)
	s_xor_b32 s46, exec_lo, s46
	s_cbranch_execz .LBB175_934
; %bb.764:
	v_bfe_u32 v5, v4, 5, 1
	s_mov_b32 s44, exec_lo
	s_delay_alu instid0(VALU_DEP_1) | instskip(NEXT) | instid1(VALU_DEP_1)
	v_add3_u32 v5, v6, v5, 0x88fffff
                                        ; implicit-def: $vgpr6
	v_lshrrev_b32_e32 v5, 21, v5
	s_or_saveexec_b32 s46, s46
                                        ; implicit-def: $sgpr47
	s_delay_alu instid0(SALU_CYCLE_1)
	s_xor_b32 exec_lo, exec_lo, s46
	s_cbranch_execnz .LBB175_935
.LBB175_765:
	s_or_b32 exec_lo, exec_lo, s46
	v_mov_b32_e32 v8, s47
	s_and_saveexec_b32 s46, s44
.LBB175_766:
	v_lshrrev_b32_e32 v4, 8, v4
	s_delay_alu instid0(VALU_DEP_1)
	v_and_or_b32 v8, 0x80, v4, v5
.LBB175_767:
	s_or_b32 exec_lo, exec_lo, s46
.LBB175_768:
	s_delay_alu instid0(SALU_CYCLE_1)
	s_or_b32 exec_lo, exec_lo, s43
	s_mov_b32 s43, 0
	global_store_b8 v[0:1], v8, off
.LBB175_769:
	s_and_b32 vcc_lo, exec_lo, s43
	s_cbranch_vccz .LBB175_779
; %bb.770:
	v_lshlrev_b32_e32 v6, 16, v2
	v_and_b32_e32 v4, 0xffff, v2
	s_mov_b32 s43, exec_lo
                                        ; implicit-def: $vgpr5
	s_delay_alu instid0(VALU_DEP_2) | instskip(NEXT) | instid1(VALU_DEP_1)
	v_and_b32_e32 v8, 0x7fffffff, v6
	v_cmpx_gt_u32_e32 0x43f00000, v8
	s_xor_b32 s43, exec_lo, s43
	s_cbranch_execz .LBB175_776
; %bb.771:
	s_mov_b32 s44, exec_lo
                                        ; implicit-def: $vgpr5
	v_cmpx_lt_u32_e32 0x3c7fffff, v8
	s_xor_b32 s44, exec_lo, s44
; %bb.772:
	v_bfe_u32 v5, v4, 4, 1
	s_delay_alu instid0(VALU_DEP_1) | instskip(NEXT) | instid1(VALU_DEP_1)
	v_add3_u32 v5, v6, v5, 0x407ffff
	v_and_b32_e32 v6, 0xff00000, v5
	v_lshrrev_b32_e32 v5, 20, v5
	s_delay_alu instid0(VALU_DEP_2) | instskip(NEXT) | instid1(VALU_DEP_2)
	v_cmp_ne_u32_e32 vcc_lo, 0x7f00000, v6
                                        ; implicit-def: $vgpr6
	v_cndmask_b32_e32 v5, 0x7e, v5, vcc_lo
; %bb.773:
	s_and_not1_saveexec_b32 s44, s44
; %bb.774:
	v_add_f32_e64 v5, 0x46800000, |v6|
; %bb.775:
	s_or_b32 exec_lo, exec_lo, s44
                                        ; implicit-def: $vgpr8
.LBB175_776:
	s_and_not1_saveexec_b32 s43, s43
; %bb.777:
	v_mov_b32_e32 v5, 0x7f
	v_cmp_lt_u32_e32 vcc_lo, 0x7f800000, v8
	s_delay_alu instid0(VALU_DEP_2)
	v_cndmask_b32_e32 v5, 0x7e, v5, vcc_lo
; %bb.778:
	s_or_b32 exec_lo, exec_lo, s43
	v_lshrrev_b32_e32 v4, 8, v4
	s_delay_alu instid0(VALU_DEP_1)
	v_and_or_b32 v4, 0x80, v4, v5
	global_store_b8 v[0:1], v4, off
.LBB175_779:
	s_mov_b32 s43, 0
.LBB175_780:
	s_delay_alu instid0(SALU_CYCLE_1)
	s_and_not1_b32 vcc_lo, exec_lo, s43
	s_cbranch_vccnz .LBB175_790
; %bb.781:
	v_lshlrev_b32_e32 v6, 16, v2
	v_and_b32_e32 v4, 0xffff, v2
	s_mov_b32 s43, exec_lo
                                        ; implicit-def: $vgpr5
	s_delay_alu instid0(VALU_DEP_2) | instskip(NEXT) | instid1(VALU_DEP_1)
	v_and_b32_e32 v8, 0x7fffffff, v6
	v_cmpx_gt_u32_e32 0x47800000, v8
	s_xor_b32 s43, exec_lo, s43
	s_cbranch_execz .LBB175_787
; %bb.782:
	s_mov_b32 s44, exec_lo
                                        ; implicit-def: $vgpr5
	v_cmpx_lt_u32_e32 0x387fffff, v8
	s_xor_b32 s44, exec_lo, s44
; %bb.783:
	v_bfe_u32 v5, v4, 5, 1
	s_delay_alu instid0(VALU_DEP_1) | instskip(NEXT) | instid1(VALU_DEP_1)
	v_add3_u32 v5, v6, v5, 0x80fffff
                                        ; implicit-def: $vgpr6
	v_lshrrev_b32_e32 v5, 21, v5
; %bb.784:
	s_and_not1_saveexec_b32 s44, s44
; %bb.785:
	v_add_f32_e64 v5, 0x43000000, |v6|
; %bb.786:
	s_or_b32 exec_lo, exec_lo, s44
                                        ; implicit-def: $vgpr8
.LBB175_787:
	s_and_not1_saveexec_b32 s43, s43
; %bb.788:
	v_mov_b32_e32 v5, 0x7f
	v_cmp_lt_u32_e32 vcc_lo, 0x7f800000, v8
	s_delay_alu instid0(VALU_DEP_2)
	v_cndmask_b32_e32 v5, 0x7c, v5, vcc_lo
; %bb.789:
	s_or_b32 exec_lo, exec_lo, s43
	v_lshrrev_b32_e32 v4, 8, v4
	s_delay_alu instid0(VALU_DEP_1)
	v_and_or_b32 v4, 0x80, v4, v5
	global_store_b8 v[0:1], v4, off
.LBB175_790:
	s_mov_b32 s44, 0
	s_mov_b32 s43, -1
.LBB175_791:
	s_and_not1_b32 vcc_lo, exec_lo, s44
	s_cbranch_vccnz .LBB175_799
; %bb.792:
	v_cmp_lt_i16_e32 vcc_lo, 14, v3
	s_mov_b32 s44, -1
	s_cbranch_vccz .LBB175_796
; %bb.793:
	v_cmp_eq_u16_e32 vcc_lo, 15, v3
	s_mov_b32 s2, -1
	s_cbranch_vccz .LBB175_795
; %bb.794:
	s_mov_b32 s43, -1
	s_mov_b32 s2, 0
	global_store_b16 v[0:1], v2, off
.LBB175_795:
	s_mov_b32 s44, 0
.LBB175_796:
	s_delay_alu instid0(SALU_CYCLE_1)
	s_and_b32 vcc_lo, exec_lo, s44
	s_cbranch_vccz .LBB175_799
; %bb.797:
	v_cmp_eq_u16_e32 vcc_lo, 11, v3
	s_mov_b32 s2, -1
	s_cbranch_vccz .LBB175_799
; %bb.798:
	v_and_b32_e32 v4, 0x7fff, v2
	s_mov_b32 s2, 0
	s_mov_b32 s43, -1
	s_delay_alu instid0(VALU_DEP_1)
	v_cmp_ne_u16_e32 vcc_lo, 0, v4
	v_cndmask_b32_e64 v4, 0, 1, vcc_lo
	global_store_b8 v[0:1], v4, off
.LBB175_799:
.LBB175_800:
	s_and_not1_b32 vcc_lo, exec_lo, s43
	s_cbranch_vccnz .LBB175_700
.LBB175_801:
	v_add_nc_u32_e32 v7, 0x80, v7
	s_mov_b32 s46, -1
	s_branch .LBB175_702
.LBB175_802:
	s_mov_b32 s3, -1
.LBB175_803:
                                        ; implicit-def: $vgpr5
.LBB175_804:
	s_and_b32 vcc_lo, exec_lo, s47
	s_cbranch_vccz .LBB175_810
; %bb.805:
	v_cmp_eq_u16_e32 vcc_lo, 44, v4
	s_cbranch_vccz .LBB175_809
; %bb.806:
	global_load_u8 v5, v[2:3], off
	s_mov_b32 s3, 0
	s_mov_b32 s2, -1
	s_waitcnt vmcnt(0)
	v_lshlrev_b32_e32 v6, 23, v5
	v_cmp_ne_u32_e32 vcc_lo, 0xff, v5
	s_delay_alu instid0(VALU_DEP_2) | instskip(SKIP_1) | instid1(VALU_DEP_2)
	v_cndmask_b32_e32 v6, 0x7f800001, v6, vcc_lo
	v_cmp_ne_u32_e32 vcc_lo, 0, v5
	v_cndmask_b32_e32 v5, 0x400000, v6, vcc_lo
	s_delay_alu instid0(VALU_DEP_1) | instskip(SKIP_1) | instid1(VALU_DEP_2)
	v_add_nc_u32_e32 v6, 0x7fff, v5
	v_cmp_o_f32_e32 vcc_lo, v5, v5
	v_lshrrev_b32_e32 v6, 16, v6
	s_delay_alu instid0(VALU_DEP_1)
	v_cndmask_b32_e32 v5, 0x7fc0, v6, vcc_lo
	s_branch .LBB175_810
.LBB175_807:
	s_or_saveexec_b32 s46, s46
                                        ; implicit-def: $sgpr47
	s_delay_alu instid0(SALU_CYCLE_1)
	s_xor_b32 exec_lo, exec_lo, s46
	s_cbranch_execz .LBB175_752
.LBB175_808:
	v_add_f32_e64 v5, 0x46000000, |v6|
	s_and_not1_b32 s44, s44, exec_lo
	s_mov_b32 s47, 0
	s_delay_alu instid0(VALU_DEP_1) | instskip(NEXT) | instid1(VALU_DEP_1)
	v_and_b32_e32 v5, 0xff, v5
	v_cmp_ne_u32_e32 vcc_lo, 0, v5
	s_and_b32 s48, vcc_lo, exec_lo
	s_delay_alu instid0(SALU_CYCLE_1)
	s_or_b32 s44, s44, s48
	s_or_b32 exec_lo, exec_lo, s46
	v_mov_b32_e32 v8, s47
	s_and_saveexec_b32 s46, s44
	s_cbranch_execnz .LBB175_753
	s_branch .LBB175_754
.LBB175_809:
	s_mov_b32 s3, -1
                                        ; implicit-def: $vgpr5
.LBB175_810:
	s_mov_b32 s47, 0
.LBB175_811:
	s_delay_alu instid0(SALU_CYCLE_1)
	s_and_b32 vcc_lo, exec_lo, s47
	s_cbranch_vccz .LBB175_815
; %bb.812:
	v_cmp_eq_u16_e32 vcc_lo, 29, v4
	s_cbranch_vccz .LBB175_814
; %bb.813:
	global_load_b64 v[5:6], v[2:3], off
	s_mov_b32 s2, -1
	s_mov_b32 s3, 0
	s_mov_b32 s47, 0
	s_waitcnt vmcnt(0)
	v_clz_i32_u32_e32 v8, v6
	s_delay_alu instid0(VALU_DEP_1) | instskip(NEXT) | instid1(VALU_DEP_1)
	v_min_u32_e32 v8, 32, v8
	v_lshlrev_b64 v[5:6], v8, v[5:6]
	s_delay_alu instid0(VALU_DEP_1) | instskip(NEXT) | instid1(VALU_DEP_1)
	v_min_u32_e32 v5, 1, v5
	v_or_b32_e32 v5, v6, v5
	v_sub_nc_u32_e32 v6, 32, v8
	s_delay_alu instid0(VALU_DEP_2) | instskip(NEXT) | instid1(VALU_DEP_1)
	v_cvt_f32_u32_e32 v5, v5
	v_ldexp_f32 v5, v5, v6
	s_delay_alu instid0(VALU_DEP_1) | instskip(NEXT) | instid1(VALU_DEP_1)
	v_bfe_u32 v6, v5, 16, 1
	v_add3_u32 v5, v5, v6, 0x7fff
	s_delay_alu instid0(VALU_DEP_1)
	v_lshrrev_b32_e32 v5, 16, v5
	s_branch .LBB175_816
.LBB175_814:
	s_mov_b32 s3, -1
                                        ; implicit-def: $vgpr5
.LBB175_815:
	s_mov_b32 s47, 0
.LBB175_816:
	s_delay_alu instid0(SALU_CYCLE_1)
	s_and_b32 vcc_lo, exec_lo, s47
	s_cbranch_vccz .LBB175_834
; %bb.817:
	v_cmp_gt_i16_e32 vcc_lo, 27, v4
	s_cbranch_vccnz .LBB175_820
; %bb.818:
	v_cmp_lt_i16_e32 vcc_lo, 27, v4
	s_cbranch_vccz .LBB175_821
; %bb.819:
	global_load_b32 v5, v[2:3], off
	s_mov_b32 s2, 0
	s_waitcnt vmcnt(0)
	v_cvt_f32_u32_e32 v5, v5
	s_delay_alu instid0(VALU_DEP_1) | instskip(NEXT) | instid1(VALU_DEP_1)
	v_bfe_u32 v6, v5, 16, 1
	v_add3_u32 v5, v5, v6, 0x7fff
	s_delay_alu instid0(VALU_DEP_1)
	v_lshrrev_b32_e32 v5, 16, v5
	s_branch .LBB175_822
.LBB175_820:
	s_mov_b32 s2, -1
                                        ; implicit-def: $vgpr5
	s_branch .LBB175_825
.LBB175_821:
	s_mov_b32 s2, -1
                                        ; implicit-def: $vgpr5
.LBB175_822:
	s_delay_alu instid0(SALU_CYCLE_1)
	s_and_not1_b32 vcc_lo, exec_lo, s2
	s_cbranch_vccnz .LBB175_824
; %bb.823:
	global_load_u16 v5, v[2:3], off
	s_waitcnt vmcnt(0)
	v_cvt_f32_u32_e32 v5, v5
	s_delay_alu instid0(VALU_DEP_1) | instskip(NEXT) | instid1(VALU_DEP_1)
	v_bfe_u32 v6, v5, 16, 1
	v_add3_u32 v5, v5, v6, 0x7fff
	s_delay_alu instid0(VALU_DEP_1)
	v_lshrrev_b32_e32 v5, 16, v5
.LBB175_824:
	s_mov_b32 s2, 0
.LBB175_825:
	s_delay_alu instid0(SALU_CYCLE_1)
	s_and_not1_b32 vcc_lo, exec_lo, s2
	s_cbranch_vccnz .LBB175_833
; %bb.826:
	global_load_u8 v5, v[2:3], off
	s_mov_b32 s2, 0
	s_mov_b32 s48, exec_lo
                                        ; implicit-def: $sgpr47
	s_waitcnt vmcnt(0)
	v_cmpx_lt_i16_e32 0x7f, v5
	s_xor_b32 s48, exec_lo, s48
	s_cbranch_execz .LBB175_847
; %bb.827:
	s_mov_b32 s2, -1
	s_mov_b32 s49, exec_lo
                                        ; implicit-def: $sgpr47
	v_cmpx_eq_u16_e32 0x80, v5
; %bb.828:
	s_mov_b32 s47, 0x7f800001
	s_xor_b32 s2, exec_lo, -1
; %bb.829:
	s_or_b32 exec_lo, exec_lo, s49
	s_delay_alu instid0(SALU_CYCLE_1)
	s_and_b32 s2, s2, exec_lo
	s_or_saveexec_b32 s48, s48
	v_mov_b32_e32 v6, s47
	s_xor_b32 exec_lo, exec_lo, s48
	s_cbranch_execnz .LBB175_848
.LBB175_830:
	s_or_b32 exec_lo, exec_lo, s48
	s_and_saveexec_b32 s47, s2
	s_cbranch_execz .LBB175_832
.LBB175_831:
	v_and_b32_e32 v6, 0xffff, v5
	s_delay_alu instid0(VALU_DEP_1) | instskip(NEXT) | instid1(VALU_DEP_1)
	v_and_b32_e32 v8, 7, v6
	v_clz_i32_u32_e32 v9, v8
	s_delay_alu instid0(VALU_DEP_1) | instskip(NEXT) | instid1(VALU_DEP_1)
	v_min_u32_e32 v9, 32, v9
	v_subrev_nc_u32_e32 v10, 28, v9
	v_sub_nc_u32_e32 v9, 29, v9
	s_delay_alu instid0(VALU_DEP_2) | instskip(SKIP_1) | instid1(VALU_DEP_2)
	v_lshlrev_b32_e32 v10, v10, v6
	v_bfe_u32 v6, v6, 3, 4
	v_and_b32_e32 v10, 7, v10
	s_delay_alu instid0(VALU_DEP_2) | instskip(NEXT) | instid1(VALU_DEP_2)
	v_cmp_eq_u32_e32 vcc_lo, 0, v6
	v_dual_cndmask_b32 v8, v8, v10 :: v_dual_lshlrev_b32 v5, 24, v5
	v_cndmask_b32_e32 v6, v6, v9, vcc_lo
	s_delay_alu instid0(VALU_DEP_2) | instskip(NEXT) | instid1(VALU_DEP_3)
	v_and_b32_e32 v5, 0x80000000, v5
	v_lshlrev_b32_e32 v8, 20, v8
	s_delay_alu instid0(VALU_DEP_3) | instskip(NEXT) | instid1(VALU_DEP_1)
	v_lshl_add_u32 v6, v6, 23, 0x3b800000
	v_or3_b32 v6, v5, v6, v8
.LBB175_832:
	s_or_b32 exec_lo, exec_lo, s47
	s_delay_alu instid0(VALU_DEP_1) | instskip(SKIP_1) | instid1(VALU_DEP_2)
	v_bfe_u32 v5, v6, 16, 1
	v_cmp_o_f32_e32 vcc_lo, v6, v6
	v_add3_u32 v5, v6, v5, 0x7fff
	s_delay_alu instid0(VALU_DEP_1) | instskip(NEXT) | instid1(VALU_DEP_1)
	v_lshrrev_b32_e32 v5, 16, v5
	v_cndmask_b32_e32 v5, 0x7fc0, v5, vcc_lo
.LBB175_833:
	s_mov_b32 s2, -1
.LBB175_834:
	s_mov_b32 s47, 0
.LBB175_835:
	s_delay_alu instid0(SALU_CYCLE_1)
	s_and_b32 vcc_lo, exec_lo, s47
	s_cbranch_vccz .LBB175_870
; %bb.836:
	v_cmp_lt_i16_e32 vcc_lo, 22, v4
	s_cbranch_vccz .LBB175_846
; %bb.837:
	v_cmp_gt_i16_e32 vcc_lo, 24, v4
	s_cbranch_vccnz .LBB175_849
; %bb.838:
	v_cmp_lt_i16_e32 vcc_lo, 24, v4
	s_cbranch_vccz .LBB175_850
; %bb.839:
	global_load_u8 v5, v[2:3], off
	s_mov_b32 s2, 0
	s_mov_b32 s48, exec_lo
                                        ; implicit-def: $sgpr47
	s_waitcnt vmcnt(0)
	v_cmpx_lt_i16_e32 0x7f, v5
	s_xor_b32 s48, exec_lo, s48
	s_cbranch_execz .LBB175_862
; %bb.840:
	s_mov_b32 s2, -1
	s_mov_b32 s49, exec_lo
                                        ; implicit-def: $sgpr47
	v_cmpx_eq_u16_e32 0x80, v5
; %bb.841:
	s_mov_b32 s47, 0x7f800001
	s_xor_b32 s2, exec_lo, -1
; %bb.842:
	s_or_b32 exec_lo, exec_lo, s49
	s_delay_alu instid0(SALU_CYCLE_1)
	s_and_b32 s2, s2, exec_lo
	s_or_saveexec_b32 s48, s48
	v_mov_b32_e32 v6, s47
	s_xor_b32 exec_lo, exec_lo, s48
	s_cbranch_execnz .LBB175_863
.LBB175_843:
	s_or_b32 exec_lo, exec_lo, s48
	s_and_saveexec_b32 s47, s2
	s_cbranch_execz .LBB175_845
.LBB175_844:
	v_and_b32_e32 v6, 0xffff, v5
	s_delay_alu instid0(VALU_DEP_1) | instskip(NEXT) | instid1(VALU_DEP_1)
	v_and_b32_e32 v8, 3, v6
	v_clz_i32_u32_e32 v9, v8
	s_delay_alu instid0(VALU_DEP_1) | instskip(NEXT) | instid1(VALU_DEP_1)
	v_min_u32_e32 v9, 32, v9
	v_subrev_nc_u32_e32 v10, 29, v9
	v_sub_nc_u32_e32 v9, 30, v9
	s_delay_alu instid0(VALU_DEP_2) | instskip(SKIP_1) | instid1(VALU_DEP_2)
	v_lshlrev_b32_e32 v10, v10, v6
	v_bfe_u32 v6, v6, 2, 5
	v_and_b32_e32 v10, 3, v10
	s_delay_alu instid0(VALU_DEP_2) | instskip(NEXT) | instid1(VALU_DEP_2)
	v_cmp_eq_u32_e32 vcc_lo, 0, v6
	v_dual_cndmask_b32 v8, v8, v10 :: v_dual_lshlrev_b32 v5, 24, v5
	v_cndmask_b32_e32 v6, v6, v9, vcc_lo
	s_delay_alu instid0(VALU_DEP_2) | instskip(NEXT) | instid1(VALU_DEP_3)
	v_and_b32_e32 v5, 0x80000000, v5
	v_lshlrev_b32_e32 v8, 21, v8
	s_delay_alu instid0(VALU_DEP_3) | instskip(NEXT) | instid1(VALU_DEP_1)
	v_lshl_add_u32 v6, v6, 23, 0x37800000
	v_or3_b32 v6, v5, v6, v8
.LBB175_845:
	s_or_b32 exec_lo, exec_lo, s47
	s_delay_alu instid0(VALU_DEP_1) | instskip(SKIP_2) | instid1(VALU_DEP_2)
	v_bfe_u32 v5, v6, 16, 1
	v_cmp_o_f32_e32 vcc_lo, v6, v6
	s_mov_b32 s2, 0
	v_add3_u32 v5, v6, v5, 0x7fff
	s_delay_alu instid0(VALU_DEP_1) | instskip(NEXT) | instid1(VALU_DEP_1)
	v_lshrrev_b32_e32 v5, 16, v5
	v_cndmask_b32_e32 v5, 0x7fc0, v5, vcc_lo
	s_branch .LBB175_851
.LBB175_846:
	s_mov_b32 s47, -1
                                        ; implicit-def: $vgpr5
	s_branch .LBB175_857
.LBB175_847:
	s_or_saveexec_b32 s48, s48
	v_mov_b32_e32 v6, s47
	s_xor_b32 exec_lo, exec_lo, s48
	s_cbranch_execz .LBB175_830
.LBB175_848:
	v_cmp_ne_u16_e32 vcc_lo, 0, v5
	v_mov_b32_e32 v6, 0
	s_and_not1_b32 s2, s2, exec_lo
	s_and_b32 s47, vcc_lo, exec_lo
	s_delay_alu instid0(SALU_CYCLE_1)
	s_or_b32 s2, s2, s47
	s_or_b32 exec_lo, exec_lo, s48
	s_and_saveexec_b32 s47, s2
	s_cbranch_execnz .LBB175_831
	s_branch .LBB175_832
.LBB175_849:
	s_mov_b32 s2, -1
                                        ; implicit-def: $vgpr5
	s_branch .LBB175_854
.LBB175_850:
	s_mov_b32 s2, -1
                                        ; implicit-def: $vgpr5
.LBB175_851:
	s_delay_alu instid0(SALU_CYCLE_1)
	s_and_b32 vcc_lo, exec_lo, s2
	s_cbranch_vccz .LBB175_853
; %bb.852:
	global_load_u8 v5, v[2:3], off
	s_waitcnt vmcnt(0)
	v_lshlrev_b32_e32 v5, 24, v5
	s_delay_alu instid0(VALU_DEP_1) | instskip(NEXT) | instid1(VALU_DEP_1)
	v_and_b32_e32 v6, 0x7f000000, v5
	v_clz_i32_u32_e32 v8, v6
	v_add_nc_u32_e32 v10, 0x1000000, v6
	v_cmp_ne_u32_e32 vcc_lo, 0, v6
	s_delay_alu instid0(VALU_DEP_3) | instskip(NEXT) | instid1(VALU_DEP_1)
	v_min_u32_e32 v8, 32, v8
	v_sub_nc_u32_e64 v8, v8, 4 clamp
	s_delay_alu instid0(VALU_DEP_1) | instskip(SKIP_1) | instid1(VALU_DEP_2)
	v_lshlrev_b32_e32 v9, v8, v6
	v_lshlrev_b32_e32 v8, 23, v8
	v_lshrrev_b32_e32 v9, 4, v9
	s_delay_alu instid0(VALU_DEP_1) | instskip(SKIP_1) | instid1(VALU_DEP_2)
	v_sub_nc_u32_e32 v8, v9, v8
	v_ashrrev_i32_e32 v9, 8, v10
	v_add_nc_u32_e32 v8, 0x3c000000, v8
	s_delay_alu instid0(VALU_DEP_1) | instskip(NEXT) | instid1(VALU_DEP_1)
	v_and_or_b32 v8, 0x7f800000, v9, v8
	v_cndmask_b32_e32 v6, 0, v8, vcc_lo
	s_delay_alu instid0(VALU_DEP_1) | instskip(SKIP_1) | instid1(VALU_DEP_2)
	v_and_or_b32 v5, 0x80000000, v5, v6
	v_bfe_u32 v6, v6, 16, 1
	v_cmp_o_f32_e32 vcc_lo, v5, v5
	s_delay_alu instid0(VALU_DEP_2) | instskip(NEXT) | instid1(VALU_DEP_1)
	v_add3_u32 v6, v5, v6, 0x7fff
	v_lshrrev_b32_e32 v6, 16, v6
	s_delay_alu instid0(VALU_DEP_1)
	v_cndmask_b32_e32 v5, 0x7fc0, v6, vcc_lo
.LBB175_853:
	s_mov_b32 s2, 0
.LBB175_854:
	s_delay_alu instid0(SALU_CYCLE_1)
	s_and_not1_b32 vcc_lo, exec_lo, s2
	s_cbranch_vccnz .LBB175_856
; %bb.855:
	global_load_u8 v5, v[2:3], off
	s_waitcnt vmcnt(0)
	v_lshlrev_b32_e32 v6, 25, v5
	v_lshlrev_b16 v5, 8, v5
	s_delay_alu instid0(VALU_DEP_2) | instskip(NEXT) | instid1(VALU_DEP_2)
	v_lshrrev_b32_e32 v8, 4, v6
	v_and_or_b32 v9, 0x7f00, v5, 0.5
	v_cmp_gt_u32_e32 vcc_lo, 0x8000000, v6
	v_bfe_i32 v5, v5, 0, 16
	s_delay_alu instid0(VALU_DEP_4) | instskip(NEXT) | instid1(VALU_DEP_1)
	v_or_b32_e32 v8, 0x70000000, v8
	v_dual_add_f32 v9, -0.5, v9 :: v_dual_mul_f32 v8, 0x7800000, v8
	s_delay_alu instid0(VALU_DEP_1) | instskip(NEXT) | instid1(VALU_DEP_1)
	v_cndmask_b32_e32 v6, v8, v9, vcc_lo
	v_and_or_b32 v5, 0x80000000, v5, v6
	v_bfe_u32 v6, v6, 16, 1
	s_delay_alu instid0(VALU_DEP_2) | instskip(NEXT) | instid1(VALU_DEP_2)
	v_cmp_o_f32_e32 vcc_lo, v5, v5
	v_add3_u32 v6, v5, v6, 0x7fff
	s_delay_alu instid0(VALU_DEP_1) | instskip(NEXT) | instid1(VALU_DEP_1)
	v_lshrrev_b32_e32 v6, 16, v6
	v_cndmask_b32_e32 v5, 0x7fc0, v6, vcc_lo
.LBB175_856:
	s_mov_b32 s47, 0
	s_mov_b32 s2, -1
.LBB175_857:
	s_and_not1_b32 vcc_lo, exec_lo, s47
	s_cbranch_vccnz .LBB175_870
; %bb.858:
	v_cmp_lt_i16_e32 vcc_lo, 14, v4
	s_cbranch_vccz .LBB175_861
; %bb.859:
	v_cmp_eq_u16_e32 vcc_lo, 15, v4
	s_cbranch_vccz .LBB175_864
; %bb.860:
	global_load_u16 v5, v[2:3], off
	s_mov_b32 s2, -1
	s_mov_b32 s3, 0
	s_branch .LBB175_865
.LBB175_861:
	s_mov_b32 s47, -1
                                        ; implicit-def: $vgpr5
	s_branch .LBB175_866
.LBB175_862:
	s_or_saveexec_b32 s48, s48
	v_mov_b32_e32 v6, s47
	s_xor_b32 exec_lo, exec_lo, s48
	s_cbranch_execz .LBB175_843
.LBB175_863:
	v_cmp_ne_u16_e32 vcc_lo, 0, v5
	v_mov_b32_e32 v6, 0
	s_and_not1_b32 s2, s2, exec_lo
	s_and_b32 s47, vcc_lo, exec_lo
	s_delay_alu instid0(SALU_CYCLE_1)
	s_or_b32 s2, s2, s47
	s_or_b32 exec_lo, exec_lo, s48
	s_and_saveexec_b32 s47, s2
	s_cbranch_execnz .LBB175_844
	s_branch .LBB175_845
.LBB175_864:
	s_mov_b32 s3, -1
                                        ; implicit-def: $vgpr5
.LBB175_865:
	s_mov_b32 s47, 0
.LBB175_866:
	s_delay_alu instid0(SALU_CYCLE_1)
	s_and_b32 vcc_lo, exec_lo, s47
	s_cbranch_vccz .LBB175_870
; %bb.867:
	v_cmp_eq_u16_e32 vcc_lo, 11, v4
	s_cbranch_vccz .LBB175_869
; %bb.868:
	global_load_u8 v5, v[2:3], off
	s_mov_b32 s3, 0
	s_mov_b32 s2, -1
	s_waitcnt vmcnt(0)
	v_cmp_ne_u16_e32 vcc_lo, 0, v5
	v_cndmask_b32_e64 v5, 0, 1.0, vcc_lo
	s_delay_alu instid0(VALU_DEP_1)
	v_lshrrev_b32_e32 v5, 16, v5
	s_branch .LBB175_870
.LBB175_869:
	s_mov_b32 s3, -1
                                        ; implicit-def: $vgpr5
.LBB175_870:
	s_mov_b32 s47, 0
.LBB175_871:
	s_delay_alu instid0(SALU_CYCLE_1)
	s_and_b32 vcc_lo, exec_lo, s47
	s_cbranch_vccz .LBB175_920
; %bb.872:
	v_cmp_gt_i16_e32 vcc_lo, 5, v4
	s_cbranch_vccnz .LBB175_877
; %bb.873:
	v_cmp_gt_i16_e32 vcc_lo, 8, v4
	s_cbranch_vccnz .LBB175_878
; %bb.874:
	v_cmp_gt_i16_e32 vcc_lo, 9, v4
	s_cbranch_vccnz .LBB175_879
; %bb.875:
	v_cmp_lt_i16_e32 vcc_lo, 9, v4
	s_cbranch_vccz .LBB175_880
; %bb.876:
	global_load_b64 v[5:6], v[2:3], off
	s_mov_b32 s2, 0
	s_waitcnt vmcnt(0)
	v_cvt_f32_f64_e32 v5, v[5:6]
	s_delay_alu instid0(VALU_DEP_1) | instskip(SKIP_1) | instid1(VALU_DEP_2)
	v_bfe_u32 v6, v5, 16, 1
	v_cmp_o_f32_e32 vcc_lo, v5, v5
	v_add3_u32 v6, v5, v6, 0x7fff
	s_delay_alu instid0(VALU_DEP_1) | instskip(NEXT) | instid1(VALU_DEP_1)
	v_lshrrev_b32_e32 v6, 16, v6
	v_cndmask_b32_e32 v5, 0x7fc0, v6, vcc_lo
	s_branch .LBB175_881
.LBB175_877:
	s_mov_b32 s2, -1
                                        ; implicit-def: $vgpr5
	s_branch .LBB175_899
.LBB175_878:
	s_mov_b32 s2, -1
                                        ; implicit-def: $vgpr5
	s_branch .LBB175_887
.LBB175_879:
	s_mov_b32 s2, -1
                                        ; implicit-def: $vgpr5
	s_branch .LBB175_884
.LBB175_880:
	s_mov_b32 s2, -1
                                        ; implicit-def: $vgpr5
.LBB175_881:
	s_delay_alu instid0(SALU_CYCLE_1)
	s_and_not1_b32 vcc_lo, exec_lo, s2
	s_cbranch_vccnz .LBB175_883
; %bb.882:
	global_load_b32 v5, v[2:3], off
	s_waitcnt vmcnt(0)
	v_bfe_u32 v6, v5, 16, 1
	v_cmp_o_f32_e32 vcc_lo, v5, v5
	s_delay_alu instid0(VALU_DEP_2) | instskip(NEXT) | instid1(VALU_DEP_1)
	v_add3_u32 v6, v5, v6, 0x7fff
	v_lshrrev_b32_e32 v6, 16, v6
	s_delay_alu instid0(VALU_DEP_1)
	v_cndmask_b32_e32 v5, 0x7fc0, v6, vcc_lo
.LBB175_883:
	s_mov_b32 s2, 0
.LBB175_884:
	s_delay_alu instid0(SALU_CYCLE_1)
	s_and_not1_b32 vcc_lo, exec_lo, s2
	s_cbranch_vccnz .LBB175_886
; %bb.885:
	global_load_b32 v5, v[2:3], off
	s_waitcnt vmcnt(0)
	v_cvt_f32_f16_e32 v6, v5
	v_cmp_o_f16_e32 vcc_lo, v5, v5
	s_delay_alu instid0(VALU_DEP_2) | instskip(NEXT) | instid1(VALU_DEP_1)
	v_bfe_u32 v8, v6, 16, 1
	v_add3_u32 v6, v6, v8, 0x7fff
	s_delay_alu instid0(VALU_DEP_1) | instskip(NEXT) | instid1(VALU_DEP_1)
	v_lshrrev_b32_e32 v6, 16, v6
	v_cndmask_b32_e32 v5, 0x7fc0, v6, vcc_lo
.LBB175_886:
	s_mov_b32 s2, 0
.LBB175_887:
	s_delay_alu instid0(SALU_CYCLE_1)
	s_and_not1_b32 vcc_lo, exec_lo, s2
	s_cbranch_vccnz .LBB175_898
; %bb.888:
	v_cmp_gt_i16_e32 vcc_lo, 6, v4
	s_cbranch_vccnz .LBB175_891
; %bb.889:
	v_cmp_lt_i16_e32 vcc_lo, 6, v4
	s_cbranch_vccz .LBB175_892
; %bb.890:
	global_load_b64 v[5:6], v[2:3], off
	s_mov_b32 s2, 0
	s_waitcnt vmcnt(0)
	v_cvt_f32_f64_e32 v5, v[5:6]
	s_delay_alu instid0(VALU_DEP_1) | instskip(SKIP_1) | instid1(VALU_DEP_2)
	v_bfe_u32 v6, v5, 16, 1
	v_cmp_o_f32_e32 vcc_lo, v5, v5
	v_add3_u32 v6, v5, v6, 0x7fff
	s_delay_alu instid0(VALU_DEP_1) | instskip(NEXT) | instid1(VALU_DEP_1)
	v_lshrrev_b32_e32 v6, 16, v6
	v_cndmask_b32_e32 v5, 0x7fc0, v6, vcc_lo
	s_branch .LBB175_893
.LBB175_891:
	s_mov_b32 s2, -1
                                        ; implicit-def: $vgpr5
	s_branch .LBB175_896
.LBB175_892:
	s_mov_b32 s2, -1
                                        ; implicit-def: $vgpr5
.LBB175_893:
	s_delay_alu instid0(SALU_CYCLE_1)
	s_and_not1_b32 vcc_lo, exec_lo, s2
	s_cbranch_vccnz .LBB175_895
; %bb.894:
	global_load_b32 v5, v[2:3], off
	s_waitcnt vmcnt(0)
	v_bfe_u32 v6, v5, 16, 1
	v_cmp_o_f32_e32 vcc_lo, v5, v5
	s_delay_alu instid0(VALU_DEP_2) | instskip(NEXT) | instid1(VALU_DEP_1)
	v_add3_u32 v6, v5, v6, 0x7fff
	v_lshrrev_b32_e32 v6, 16, v6
	s_delay_alu instid0(VALU_DEP_1)
	v_cndmask_b32_e32 v5, 0x7fc0, v6, vcc_lo
.LBB175_895:
	s_mov_b32 s2, 0
.LBB175_896:
	s_delay_alu instid0(SALU_CYCLE_1)
	s_and_not1_b32 vcc_lo, exec_lo, s2
	s_cbranch_vccnz .LBB175_898
; %bb.897:
	global_load_u16 v5, v[2:3], off
	s_waitcnt vmcnt(0)
	v_cvt_f32_f16_e32 v6, v5
	v_cmp_o_f16_e32 vcc_lo, v5, v5
	s_delay_alu instid0(VALU_DEP_2) | instskip(NEXT) | instid1(VALU_DEP_1)
	v_bfe_u32 v8, v6, 16, 1
	v_add3_u32 v6, v6, v8, 0x7fff
	s_delay_alu instid0(VALU_DEP_1) | instskip(NEXT) | instid1(VALU_DEP_1)
	v_lshrrev_b32_e32 v6, 16, v6
	v_cndmask_b32_e32 v5, 0x7fc0, v6, vcc_lo
.LBB175_898:
	s_mov_b32 s2, 0
.LBB175_899:
	s_delay_alu instid0(SALU_CYCLE_1)
	s_and_not1_b32 vcc_lo, exec_lo, s2
	s_cbranch_vccnz .LBB175_919
; %bb.900:
	v_cmp_gt_i16_e32 vcc_lo, 2, v4
	s_cbranch_vccnz .LBB175_904
; %bb.901:
	v_cmp_gt_i16_e32 vcc_lo, 3, v4
	s_cbranch_vccnz .LBB175_905
; %bb.902:
	v_cmp_lt_i16_e32 vcc_lo, 3, v4
	s_cbranch_vccz .LBB175_906
; %bb.903:
	global_load_b64 v[5:6], v[2:3], off
	s_mov_b32 s2, 0
	s_waitcnt vmcnt(0)
	v_xor_b32_e32 v8, v5, v6
	v_cls_i32_e32 v9, v6
	s_delay_alu instid0(VALU_DEP_2) | instskip(NEXT) | instid1(VALU_DEP_2)
	v_ashrrev_i32_e32 v8, 31, v8
	v_add_nc_u32_e32 v9, -1, v9
	s_delay_alu instid0(VALU_DEP_2) | instskip(NEXT) | instid1(VALU_DEP_1)
	v_add_nc_u32_e32 v8, 32, v8
	v_min_u32_e32 v8, v9, v8
	s_delay_alu instid0(VALU_DEP_1) | instskip(NEXT) | instid1(VALU_DEP_1)
	v_lshlrev_b64 v[5:6], v8, v[5:6]
	v_min_u32_e32 v5, 1, v5
	s_delay_alu instid0(VALU_DEP_1) | instskip(SKIP_1) | instid1(VALU_DEP_2)
	v_or_b32_e32 v5, v6, v5
	v_sub_nc_u32_e32 v6, 32, v8
	v_cvt_f32_i32_e32 v5, v5
	s_delay_alu instid0(VALU_DEP_1) | instskip(NEXT) | instid1(VALU_DEP_1)
	v_ldexp_f32 v5, v5, v6
	v_bfe_u32 v6, v5, 16, 1
	s_delay_alu instid0(VALU_DEP_1) | instskip(NEXT) | instid1(VALU_DEP_1)
	v_add3_u32 v5, v5, v6, 0x7fff
	v_lshrrev_b32_e32 v5, 16, v5
	s_branch .LBB175_907
.LBB175_904:
	s_mov_b32 s2, -1
                                        ; implicit-def: $vgpr5
	s_branch .LBB175_913
.LBB175_905:
	s_mov_b32 s2, -1
                                        ; implicit-def: $vgpr5
	s_branch .LBB175_910
.LBB175_906:
	s_mov_b32 s2, -1
                                        ; implicit-def: $vgpr5
.LBB175_907:
	s_delay_alu instid0(SALU_CYCLE_1)
	s_and_not1_b32 vcc_lo, exec_lo, s2
	s_cbranch_vccnz .LBB175_909
; %bb.908:
	global_load_b32 v5, v[2:3], off
	s_waitcnt vmcnt(0)
	v_cvt_f32_i32_e32 v5, v5
	s_delay_alu instid0(VALU_DEP_1) | instskip(NEXT) | instid1(VALU_DEP_1)
	v_bfe_u32 v6, v5, 16, 1
	v_add3_u32 v5, v5, v6, 0x7fff
	s_delay_alu instid0(VALU_DEP_1)
	v_lshrrev_b32_e32 v5, 16, v5
.LBB175_909:
	s_mov_b32 s2, 0
.LBB175_910:
	s_delay_alu instid0(SALU_CYCLE_1)
	s_and_not1_b32 vcc_lo, exec_lo, s2
	s_cbranch_vccnz .LBB175_912
; %bb.911:
	global_load_i16 v5, v[2:3], off
	s_waitcnt vmcnt(0)
	v_cvt_f32_i32_e32 v5, v5
	s_delay_alu instid0(VALU_DEP_1) | instskip(NEXT) | instid1(VALU_DEP_1)
	v_bfe_u32 v6, v5, 16, 1
	v_add3_u32 v5, v5, v6, 0x7fff
	s_delay_alu instid0(VALU_DEP_1)
	v_lshrrev_b32_e32 v5, 16, v5
.LBB175_912:
	s_mov_b32 s2, 0
.LBB175_913:
	s_delay_alu instid0(SALU_CYCLE_1)
	s_and_not1_b32 vcc_lo, exec_lo, s2
	s_cbranch_vccnz .LBB175_919
; %bb.914:
	v_cmp_lt_i16_e32 vcc_lo, 0, v4
	s_mov_b32 s2, 0
	s_cbranch_vccz .LBB175_916
; %bb.915:
	global_load_i8 v4, v[2:3], off
	s_waitcnt vmcnt(0)
	v_cvt_f32_i32_e32 v4, v4
	s_delay_alu instid0(VALU_DEP_1) | instskip(NEXT) | instid1(VALU_DEP_1)
	v_bfe_u32 v5, v4, 16, 1
	v_add3_u32 v4, v4, v5, 0x7fff
	s_delay_alu instid0(VALU_DEP_1)
	v_lshrrev_b32_e32 v5, 16, v4
	s_branch .LBB175_917
.LBB175_916:
	s_mov_b32 s2, -1
                                        ; implicit-def: $vgpr5
.LBB175_917:
	s_delay_alu instid0(SALU_CYCLE_1)
	s_and_not1_b32 vcc_lo, exec_lo, s2
	s_cbranch_vccnz .LBB175_919
; %bb.918:
	global_load_u8 v2, v[2:3], off
	s_waitcnt vmcnt(0)
	v_cvt_f32_ubyte0_e32 v2, v2
	s_delay_alu instid0(VALU_DEP_1) | instskip(NEXT) | instid1(VALU_DEP_1)
	v_bfe_u32 v3, v2, 16, 1
	v_add3_u32 v2, v2, v3, 0x7fff
	s_delay_alu instid0(VALU_DEP_1)
	v_lshrrev_b32_e32 v5, 16, v2
.LBB175_919:
	s_mov_b32 s2, -1
.LBB175_920:
	s_delay_alu instid0(SALU_CYCLE_1)
	s_and_not1_b32 vcc_lo, exec_lo, s2
	s_cbranch_vccnz .LBB175_928
; %bb.921:
	v_and_b32_e64 v6, 0xff, s31
	v_add_co_u32 v1, s2, s8, v1
	s_delay_alu instid0(VALU_DEP_1) | instskip(NEXT) | instid1(VALU_DEP_3)
	v_add_co_ci_u32_e64 v2, null, s9, 0, s2
	v_cmp_gt_i16_e32 vcc_lo, 11, v6
	s_mov_b32 s2, 0
	s_cbranch_vccnz .LBB175_929
; %bb.922:
	v_cmp_lt_i16_e32 vcc_lo, 25, v6
	s_cbranch_vccz .LBB175_930
; %bb.923:
	v_cmp_lt_i16_e32 vcc_lo, 28, v6
	s_cbranch_vccz .LBB175_931
	;; [unrolled: 3-line block ×4, first 2 shown]
; %bb.926:
	v_cmp_eq_u16_e32 vcc_lo, 46, v6
	s_mov_b32 s48, 0
	s_cbranch_vccz .LBB175_936
; %bb.927:
	global_load_b32 v3, v[1:2], off
	s_mov_b32 s2, -1
	s_mov_b32 s47, 0
	s_waitcnt vmcnt(0)
	v_lshlrev_b32_e32 v3, 16, v3
	s_delay_alu instid0(VALU_DEP_1) | instskip(NEXT) | instid1(VALU_DEP_1)
	v_trunc_f32_e32 v3, v3
	v_mul_f32_e64 v4, 0x2f800000, |v3|
	s_delay_alu instid0(VALU_DEP_1) | instskip(NEXT) | instid1(VALU_DEP_1)
	v_floor_f32_e32 v4, v4
	v_fma_f32 v4, 0xcf800000, v4, |v3|
	v_ashrrev_i32_e32 v3, 31, v3
	s_delay_alu instid0(VALU_DEP_2) | instskip(NEXT) | instid1(VALU_DEP_1)
	v_cvt_u32_f32_e32 v4, v4
	v_xor_b32_e32 v4, v4, v3
	s_delay_alu instid0(VALU_DEP_1)
	v_sub_nc_u32_e32 v3, v4, v3
	s_branch .LBB175_938
.LBB175_928:
	s_mov_b32 s50, 0
	s_mov_b32 s2, s43
	;; [unrolled: 1-line block ×3, first 2 shown]
	s_branch .LBB175_1097
.LBB175_929:
	s_mov_b32 s48, -1
	s_mov_b32 s47, s44
                                        ; implicit-def: $vgpr3
	s_branch .LBB175_999
.LBB175_930:
	s_mov_b32 s48, -1
	s_mov_b32 s47, s44
                                        ; implicit-def: $vgpr3
	s_branch .LBB175_965
.LBB175_931:
	s_mov_b32 s48, -1
	s_mov_b32 s47, s44
                                        ; implicit-def: $vgpr3
	s_branch .LBB175_948
.LBB175_932:
	s_mov_b32 s48, -1
	s_mov_b32 s47, s44
                                        ; implicit-def: $vgpr3
	s_branch .LBB175_943
.LBB175_933:
	s_mov_b32 s48, -1
	s_mov_b32 s47, s44
	s_branch .LBB175_937
.LBB175_934:
	s_or_saveexec_b32 s46, s46
                                        ; implicit-def: $sgpr47
	s_delay_alu instid0(SALU_CYCLE_1)
	s_xor_b32 exec_lo, exec_lo, s46
	s_cbranch_execz .LBB175_765
.LBB175_935:
	v_add_f32_e64 v5, 0x42800000, |v6|
	s_and_not1_b32 s44, s44, exec_lo
	s_mov_b32 s47, 0
	s_delay_alu instid0(VALU_DEP_1) | instskip(NEXT) | instid1(VALU_DEP_1)
	v_and_b32_e32 v5, 0xff, v5
	v_cmp_ne_u32_e32 vcc_lo, 0, v5
	s_and_b32 s48, vcc_lo, exec_lo
	s_delay_alu instid0(SALU_CYCLE_1)
	s_or_b32 s44, s44, s48
	s_or_b32 exec_lo, exec_lo, s46
	v_mov_b32_e32 v8, s47
	s_and_saveexec_b32 s46, s44
	s_cbranch_execnz .LBB175_766
	s_branch .LBB175_767
.LBB175_936:
	s_mov_b32 s47, -1
.LBB175_937:
                                        ; implicit-def: $vgpr3
.LBB175_938:
	s_and_b32 vcc_lo, exec_lo, s48
	s_cbranch_vccz .LBB175_942
; %bb.939:
	v_cmp_eq_u16_e32 vcc_lo, 44, v6
	s_cbranch_vccz .LBB175_941
; %bb.940:
	global_load_u8 v3, v[1:2], off
	s_mov_b32 s47, 0
	s_mov_b32 s2, -1
	s_waitcnt vmcnt(0)
	v_lshlrev_b32_e32 v4, 23, v3
	v_cmp_ne_u32_e32 vcc_lo, 0, v3
	s_delay_alu instid0(VALU_DEP_2) | instskip(NEXT) | instid1(VALU_DEP_1)
	v_trunc_f32_e32 v4, v4
	v_mul_f32_e64 v8, 0x2f800000, |v4|
	s_delay_alu instid0(VALU_DEP_1) | instskip(NEXT) | instid1(VALU_DEP_1)
	v_floor_f32_e32 v8, v8
	v_fma_f32 v8, 0xcf800000, v8, |v4|
	v_ashrrev_i32_e32 v4, 31, v4
	s_delay_alu instid0(VALU_DEP_2) | instskip(NEXT) | instid1(VALU_DEP_1)
	v_cvt_u32_f32_e32 v8, v8
	v_xor_b32_e32 v8, v8, v4
	s_delay_alu instid0(VALU_DEP_1) | instskip(NEXT) | instid1(VALU_DEP_1)
	v_sub_nc_u32_e32 v4, v8, v4
	v_cndmask_b32_e32 v3, 0, v4, vcc_lo
	s_branch .LBB175_942
.LBB175_941:
	s_mov_b32 s47, -1
                                        ; implicit-def: $vgpr3
.LBB175_942:
	s_mov_b32 s48, 0
.LBB175_943:
	s_delay_alu instid0(SALU_CYCLE_1)
	s_and_b32 vcc_lo, exec_lo, s48
	s_cbranch_vccz .LBB175_947
; %bb.944:
	v_cmp_eq_u16_e32 vcc_lo, 29, v6
	s_cbranch_vccz .LBB175_946
; %bb.945:
	global_load_b64 v[3:4], v[1:2], off
	s_mov_b32 s2, -1
	s_mov_b32 s47, 0
	s_branch .LBB175_947
.LBB175_946:
	s_mov_b32 s47, -1
                                        ; implicit-def: $vgpr3
.LBB175_947:
	s_mov_b32 s48, 0
.LBB175_948:
	s_delay_alu instid0(SALU_CYCLE_1)
	s_and_b32 vcc_lo, exec_lo, s48
	s_cbranch_vccz .LBB175_964
; %bb.949:
	v_cmp_gt_i16_e32 vcc_lo, 27, v6
	s_cbranch_vccnz .LBB175_952
; %bb.950:
	v_cmp_lt_i16_e32 vcc_lo, 27, v6
	s_cbranch_vccz .LBB175_953
; %bb.951:
	global_load_b32 v3, v[1:2], off
	s_mov_b32 s2, 0
	s_branch .LBB175_954
.LBB175_952:
	s_mov_b32 s2, -1
                                        ; implicit-def: $vgpr3
	s_branch .LBB175_957
.LBB175_953:
	s_mov_b32 s2, -1
                                        ; implicit-def: $vgpr3
.LBB175_954:
	s_delay_alu instid0(SALU_CYCLE_1)
	s_and_not1_b32 vcc_lo, exec_lo, s2
	s_cbranch_vccnz .LBB175_956
; %bb.955:
	global_load_u16 v3, v[1:2], off
.LBB175_956:
	s_mov_b32 s2, 0
.LBB175_957:
	s_delay_alu instid0(SALU_CYCLE_1)
	s_and_not1_b32 vcc_lo, exec_lo, s2
	s_cbranch_vccnz .LBB175_963
; %bb.958:
	global_load_u8 v4, v[1:2], off
	s_mov_b32 s48, 0
	s_mov_b32 s2, exec_lo
                                        ; implicit-def: $sgpr49
	s_waitcnt vmcnt(0)
	v_cmpx_lt_i16_e32 0x7f, v4
	s_xor_b32 s2, exec_lo, s2
	s_cbranch_execz .LBB175_975
; %bb.959:
	v_cmp_ne_u16_e32 vcc_lo, 0x80, v4
	s_mov_b32 s49, 0
	s_and_b32 s48, vcc_lo, exec_lo
	s_or_saveexec_b32 s2, s2
	v_mov_b32_e32 v3, s49
	s_xor_b32 exec_lo, exec_lo, s2
	s_cbranch_execnz .LBB175_976
.LBB175_960:
	s_or_b32 exec_lo, exec_lo, s2
	s_and_saveexec_b32 s2, s48
	s_cbranch_execz .LBB175_962
.LBB175_961:
	v_and_b32_e32 v3, 0xffff, v4
	v_lshlrev_b32_e32 v4, 24, v4
	s_delay_alu instid0(VALU_DEP_2) | instskip(NEXT) | instid1(VALU_DEP_2)
	v_and_b32_e32 v8, 7, v3
	v_and_b32_e32 v4, 0x80000000, v4
	s_delay_alu instid0(VALU_DEP_2) | instskip(NEXT) | instid1(VALU_DEP_1)
	v_clz_i32_u32_e32 v9, v8
	v_min_u32_e32 v9, 32, v9
	s_delay_alu instid0(VALU_DEP_1) | instskip(SKIP_1) | instid1(VALU_DEP_2)
	v_subrev_nc_u32_e32 v10, 28, v9
	v_sub_nc_u32_e32 v9, 29, v9
	v_lshlrev_b32_e32 v10, v10, v3
	v_bfe_u32 v3, v3, 3, 4
	s_delay_alu instid0(VALU_DEP_2) | instskip(NEXT) | instid1(VALU_DEP_2)
	v_and_b32_e32 v10, 7, v10
	v_cmp_eq_u32_e32 vcc_lo, 0, v3
	s_delay_alu instid0(VALU_DEP_2) | instskip(NEXT) | instid1(VALU_DEP_1)
	v_dual_cndmask_b32 v3, v3, v9 :: v_dual_cndmask_b32 v8, v8, v10
	v_lshl_add_u32 v3, v3, 23, 0x3b800000
	s_delay_alu instid0(VALU_DEP_2) | instskip(NEXT) | instid1(VALU_DEP_1)
	v_lshlrev_b32_e32 v8, 20, v8
	v_or3_b32 v3, v4, v3, v8
	s_delay_alu instid0(VALU_DEP_1) | instskip(NEXT) | instid1(VALU_DEP_1)
	v_trunc_f32_e32 v3, v3
	v_mul_f32_e64 v4, 0x2f800000, |v3|
	s_delay_alu instid0(VALU_DEP_1) | instskip(NEXT) | instid1(VALU_DEP_1)
	v_floor_f32_e32 v4, v4
	v_fma_f32 v4, 0xcf800000, v4, |v3|
	v_ashrrev_i32_e32 v3, 31, v3
	s_delay_alu instid0(VALU_DEP_2) | instskip(NEXT) | instid1(VALU_DEP_1)
	v_cvt_u32_f32_e32 v4, v4
	v_xor_b32_e32 v4, v4, v3
	s_delay_alu instid0(VALU_DEP_1)
	v_sub_nc_u32_e32 v3, v4, v3
.LBB175_962:
	s_or_b32 exec_lo, exec_lo, s2
.LBB175_963:
	s_mov_b32 s2, -1
.LBB175_964:
	s_mov_b32 s48, 0
.LBB175_965:
	s_delay_alu instid0(SALU_CYCLE_1)
	s_and_b32 vcc_lo, exec_lo, s48
	s_cbranch_vccz .LBB175_998
; %bb.966:
	v_cmp_lt_i16_e32 vcc_lo, 22, v6
	s_cbranch_vccz .LBB175_974
; %bb.967:
	v_cmp_gt_i16_e32 vcc_lo, 24, v6
	s_cbranch_vccnz .LBB175_977
; %bb.968:
	v_cmp_lt_i16_e32 vcc_lo, 24, v6
	s_cbranch_vccz .LBB175_978
; %bb.969:
	global_load_u8 v4, v[1:2], off
	s_mov_b32 s48, 0
	s_mov_b32 s2, exec_lo
                                        ; implicit-def: $sgpr49
	s_waitcnt vmcnt(0)
	v_cmpx_lt_i16_e32 0x7f, v4
	s_xor_b32 s2, exec_lo, s2
	s_cbranch_execz .LBB175_990
; %bb.970:
	v_cmp_ne_u16_e32 vcc_lo, 0x80, v4
	s_mov_b32 s49, 0
	s_and_b32 s48, vcc_lo, exec_lo
	s_or_saveexec_b32 s2, s2
	v_mov_b32_e32 v3, s49
	s_xor_b32 exec_lo, exec_lo, s2
	s_cbranch_execnz .LBB175_991
.LBB175_971:
	s_or_b32 exec_lo, exec_lo, s2
	s_and_saveexec_b32 s2, s48
	s_cbranch_execz .LBB175_973
.LBB175_972:
	v_and_b32_e32 v3, 0xffff, v4
	v_lshlrev_b32_e32 v4, 24, v4
	s_delay_alu instid0(VALU_DEP_2) | instskip(NEXT) | instid1(VALU_DEP_2)
	v_and_b32_e32 v8, 3, v3
	v_and_b32_e32 v4, 0x80000000, v4
	s_delay_alu instid0(VALU_DEP_2) | instskip(NEXT) | instid1(VALU_DEP_1)
	v_clz_i32_u32_e32 v9, v8
	v_min_u32_e32 v9, 32, v9
	s_delay_alu instid0(VALU_DEP_1) | instskip(SKIP_1) | instid1(VALU_DEP_2)
	v_subrev_nc_u32_e32 v10, 29, v9
	v_sub_nc_u32_e32 v9, 30, v9
	v_lshlrev_b32_e32 v10, v10, v3
	v_bfe_u32 v3, v3, 2, 5
	s_delay_alu instid0(VALU_DEP_2) | instskip(NEXT) | instid1(VALU_DEP_2)
	v_and_b32_e32 v10, 3, v10
	v_cmp_eq_u32_e32 vcc_lo, 0, v3
	s_delay_alu instid0(VALU_DEP_2) | instskip(NEXT) | instid1(VALU_DEP_1)
	v_dual_cndmask_b32 v3, v3, v9 :: v_dual_cndmask_b32 v8, v8, v10
	v_lshl_add_u32 v3, v3, 23, 0x37800000
	s_delay_alu instid0(VALU_DEP_2) | instskip(NEXT) | instid1(VALU_DEP_1)
	v_lshlrev_b32_e32 v8, 21, v8
	v_or3_b32 v3, v4, v3, v8
	s_delay_alu instid0(VALU_DEP_1) | instskip(NEXT) | instid1(VALU_DEP_1)
	v_trunc_f32_e32 v3, v3
	v_mul_f32_e64 v4, 0x2f800000, |v3|
	s_delay_alu instid0(VALU_DEP_1) | instskip(NEXT) | instid1(VALU_DEP_1)
	v_floor_f32_e32 v4, v4
	v_fma_f32 v4, 0xcf800000, v4, |v3|
	v_ashrrev_i32_e32 v3, 31, v3
	s_delay_alu instid0(VALU_DEP_2) | instskip(NEXT) | instid1(VALU_DEP_1)
	v_cvt_u32_f32_e32 v4, v4
	v_xor_b32_e32 v4, v4, v3
	s_delay_alu instid0(VALU_DEP_1)
	v_sub_nc_u32_e32 v3, v4, v3
.LBB175_973:
	s_or_b32 exec_lo, exec_lo, s2
	s_mov_b32 s2, 0
	s_branch .LBB175_979
.LBB175_974:
	s_mov_b32 s48, -1
                                        ; implicit-def: $vgpr3
	s_branch .LBB175_985
.LBB175_975:
	s_or_saveexec_b32 s2, s2
	v_mov_b32_e32 v3, s49
	s_xor_b32 exec_lo, exec_lo, s2
	s_cbranch_execz .LBB175_960
.LBB175_976:
	v_cmp_ne_u16_e32 vcc_lo, 0, v4
	v_mov_b32_e32 v3, 0
	s_and_not1_b32 s48, s48, exec_lo
	s_and_b32 s49, vcc_lo, exec_lo
	s_delay_alu instid0(SALU_CYCLE_1)
	s_or_b32 s48, s48, s49
	s_or_b32 exec_lo, exec_lo, s2
	s_and_saveexec_b32 s2, s48
	s_cbranch_execnz .LBB175_961
	s_branch .LBB175_962
.LBB175_977:
	s_mov_b32 s2, -1
                                        ; implicit-def: $vgpr3
	s_branch .LBB175_982
.LBB175_978:
	s_mov_b32 s2, -1
                                        ; implicit-def: $vgpr3
.LBB175_979:
	s_delay_alu instid0(SALU_CYCLE_1)
	s_and_b32 vcc_lo, exec_lo, s2
	s_cbranch_vccz .LBB175_981
; %bb.980:
	global_load_u8 v3, v[1:2], off
	s_waitcnt vmcnt(0)
	v_lshlrev_b32_e32 v3, 24, v3
	s_delay_alu instid0(VALU_DEP_1) | instskip(NEXT) | instid1(VALU_DEP_1)
	v_and_b32_e32 v4, 0x7f000000, v3
	v_clz_i32_u32_e32 v8, v4
	v_add_nc_u32_e32 v10, 0x1000000, v4
	v_cmp_ne_u32_e32 vcc_lo, 0, v4
	s_delay_alu instid0(VALU_DEP_3) | instskip(NEXT) | instid1(VALU_DEP_1)
	v_min_u32_e32 v8, 32, v8
	v_sub_nc_u32_e64 v8, v8, 4 clamp
	s_delay_alu instid0(VALU_DEP_1) | instskip(SKIP_1) | instid1(VALU_DEP_2)
	v_lshlrev_b32_e32 v9, v8, v4
	v_lshlrev_b32_e32 v8, 23, v8
	v_lshrrev_b32_e32 v9, 4, v9
	s_delay_alu instid0(VALU_DEP_1) | instskip(SKIP_1) | instid1(VALU_DEP_2)
	v_sub_nc_u32_e32 v8, v9, v8
	v_ashrrev_i32_e32 v9, 8, v10
	v_add_nc_u32_e32 v8, 0x3c000000, v8
	s_delay_alu instid0(VALU_DEP_1) | instskip(NEXT) | instid1(VALU_DEP_1)
	v_and_or_b32 v8, 0x7f800000, v9, v8
	v_cndmask_b32_e32 v4, 0, v8, vcc_lo
	s_delay_alu instid0(VALU_DEP_1) | instskip(NEXT) | instid1(VALU_DEP_1)
	v_and_or_b32 v3, 0x80000000, v3, v4
	v_trunc_f32_e32 v3, v3
	s_delay_alu instid0(VALU_DEP_1) | instskip(NEXT) | instid1(VALU_DEP_1)
	v_mul_f32_e64 v4, 0x2f800000, |v3|
	v_floor_f32_e32 v4, v4
	s_delay_alu instid0(VALU_DEP_1) | instskip(SKIP_1) | instid1(VALU_DEP_2)
	v_fma_f32 v4, 0xcf800000, v4, |v3|
	v_ashrrev_i32_e32 v3, 31, v3
	v_cvt_u32_f32_e32 v4, v4
	s_delay_alu instid0(VALU_DEP_1) | instskip(NEXT) | instid1(VALU_DEP_1)
	v_xor_b32_e32 v4, v4, v3
	v_sub_nc_u32_e32 v3, v4, v3
.LBB175_981:
	s_mov_b32 s2, 0
.LBB175_982:
	s_delay_alu instid0(SALU_CYCLE_1)
	s_and_not1_b32 vcc_lo, exec_lo, s2
	s_cbranch_vccnz .LBB175_984
; %bb.983:
	global_load_u8 v3, v[1:2], off
	s_waitcnt vmcnt(0)
	v_lshlrev_b32_e32 v4, 25, v3
	v_lshlrev_b16 v3, 8, v3
	s_delay_alu instid0(VALU_DEP_1) | instskip(SKIP_1) | instid1(VALU_DEP_2)
	v_and_or_b32 v9, 0x7f00, v3, 0.5
	v_bfe_i32 v3, v3, 0, 16
	v_add_f32_e32 v9, -0.5, v9
	v_lshrrev_b32_e32 v8, 4, v4
	v_cmp_gt_u32_e32 vcc_lo, 0x8000000, v4
	s_delay_alu instid0(VALU_DEP_2) | instskip(NEXT) | instid1(VALU_DEP_1)
	v_or_b32_e32 v8, 0x70000000, v8
	v_mul_f32_e32 v8, 0x7800000, v8
	s_delay_alu instid0(VALU_DEP_1) | instskip(NEXT) | instid1(VALU_DEP_1)
	v_cndmask_b32_e32 v4, v8, v9, vcc_lo
	v_and_or_b32 v3, 0x80000000, v3, v4
	s_delay_alu instid0(VALU_DEP_1) | instskip(NEXT) | instid1(VALU_DEP_1)
	v_trunc_f32_e32 v3, v3
	v_mul_f32_e64 v4, 0x2f800000, |v3|
	s_delay_alu instid0(VALU_DEP_1) | instskip(NEXT) | instid1(VALU_DEP_1)
	v_floor_f32_e32 v4, v4
	v_fma_f32 v4, 0xcf800000, v4, |v3|
	v_ashrrev_i32_e32 v3, 31, v3
	s_delay_alu instid0(VALU_DEP_2) | instskip(NEXT) | instid1(VALU_DEP_1)
	v_cvt_u32_f32_e32 v4, v4
	v_xor_b32_e32 v4, v4, v3
	s_delay_alu instid0(VALU_DEP_1)
	v_sub_nc_u32_e32 v3, v4, v3
.LBB175_984:
	s_mov_b32 s48, 0
	s_mov_b32 s2, -1
.LBB175_985:
	s_and_not1_b32 vcc_lo, exec_lo, s48
	s_cbranch_vccnz .LBB175_998
; %bb.986:
	v_cmp_lt_i16_e32 vcc_lo, 14, v6
	s_cbranch_vccz .LBB175_989
; %bb.987:
	v_cmp_eq_u16_e32 vcc_lo, 15, v6
	s_cbranch_vccz .LBB175_992
; %bb.988:
	global_load_u16 v3, v[1:2], off
	s_mov_b32 s2, -1
	s_mov_b32 s47, 0
	s_waitcnt vmcnt(0)
	v_lshlrev_b32_e32 v3, 16, v3
	s_delay_alu instid0(VALU_DEP_1) | instskip(NEXT) | instid1(VALU_DEP_1)
	v_trunc_f32_e32 v3, v3
	v_mul_f32_e64 v4, 0x2f800000, |v3|
	s_delay_alu instid0(VALU_DEP_1) | instskip(NEXT) | instid1(VALU_DEP_1)
	v_floor_f32_e32 v4, v4
	v_fma_f32 v4, 0xcf800000, v4, |v3|
	v_ashrrev_i32_e32 v3, 31, v3
	s_delay_alu instid0(VALU_DEP_2) | instskip(NEXT) | instid1(VALU_DEP_1)
	v_cvt_u32_f32_e32 v4, v4
	v_xor_b32_e32 v4, v4, v3
	s_delay_alu instid0(VALU_DEP_1)
	v_sub_nc_u32_e32 v3, v4, v3
	s_branch .LBB175_993
.LBB175_989:
	s_mov_b32 s48, -1
                                        ; implicit-def: $vgpr3
	s_branch .LBB175_994
.LBB175_990:
	s_or_saveexec_b32 s2, s2
	v_mov_b32_e32 v3, s49
	s_xor_b32 exec_lo, exec_lo, s2
	s_cbranch_execz .LBB175_971
.LBB175_991:
	v_cmp_ne_u16_e32 vcc_lo, 0, v4
	v_mov_b32_e32 v3, 0
	s_and_not1_b32 s48, s48, exec_lo
	s_and_b32 s49, vcc_lo, exec_lo
	s_delay_alu instid0(SALU_CYCLE_1)
	s_or_b32 s48, s48, s49
	s_or_b32 exec_lo, exec_lo, s2
	s_and_saveexec_b32 s2, s48
	s_cbranch_execnz .LBB175_972
	s_branch .LBB175_973
.LBB175_992:
	s_mov_b32 s47, -1
                                        ; implicit-def: $vgpr3
.LBB175_993:
	s_mov_b32 s48, 0
.LBB175_994:
	s_delay_alu instid0(SALU_CYCLE_1)
	s_and_b32 vcc_lo, exec_lo, s48
	s_cbranch_vccz .LBB175_998
; %bb.995:
	v_cmp_eq_u16_e32 vcc_lo, 11, v6
	s_cbranch_vccz .LBB175_997
; %bb.996:
	global_load_u8 v3, v[1:2], off
	s_mov_b32 s47, 0
	s_mov_b32 s2, -1
	s_waitcnt vmcnt(0)
	v_cmp_ne_u16_e32 vcc_lo, 0, v3
	v_cndmask_b32_e64 v3, 0, 1, vcc_lo
	s_branch .LBB175_998
.LBB175_997:
	s_mov_b32 s47, -1
                                        ; implicit-def: $vgpr3
.LBB175_998:
	s_mov_b32 s48, 0
.LBB175_999:
	s_delay_alu instid0(SALU_CYCLE_1)
	s_and_b32 vcc_lo, exec_lo, s48
	s_cbranch_vccz .LBB175_1048
; %bb.1000:
	v_cmp_gt_i16_e32 vcc_lo, 5, v6
	s_cbranch_vccnz .LBB175_1005
; %bb.1001:
	v_cmp_gt_i16_e32 vcc_lo, 8, v6
	s_cbranch_vccnz .LBB175_1006
; %bb.1002:
	v_cmp_gt_i16_e32 vcc_lo, 9, v6
	s_cbranch_vccnz .LBB175_1007
; %bb.1003:
	v_cmp_lt_i16_e32 vcc_lo, 9, v6
	s_cbranch_vccz .LBB175_1008
; %bb.1004:
	global_load_b64 v[3:4], v[1:2], off
	s_mov_b32 s2, 0
	s_waitcnt vmcnt(0)
	v_trunc_f64_e32 v[3:4], v[3:4]
	s_delay_alu instid0(VALU_DEP_1) | instskip(NEXT) | instid1(VALU_DEP_1)
	v_ldexp_f64 v[8:9], v[3:4], 0xffffffe0
	v_floor_f64_e32 v[8:9], v[8:9]
	s_delay_alu instid0(VALU_DEP_1) | instskip(NEXT) | instid1(VALU_DEP_1)
	v_fma_f64 v[3:4], 0xc1f00000, v[8:9], v[3:4]
	v_cvt_u32_f64_e32 v3, v[3:4]
	s_branch .LBB175_1009
.LBB175_1005:
	s_mov_b32 s2, -1
                                        ; implicit-def: $vgpr3
	s_branch .LBB175_1027
.LBB175_1006:
	s_mov_b32 s2, -1
                                        ; implicit-def: $vgpr3
	s_branch .LBB175_1015
.LBB175_1007:
	s_mov_b32 s2, -1
                                        ; implicit-def: $vgpr3
	s_branch .LBB175_1012
.LBB175_1008:
	s_mov_b32 s2, -1
                                        ; implicit-def: $vgpr3
.LBB175_1009:
	s_delay_alu instid0(SALU_CYCLE_1)
	s_and_not1_b32 vcc_lo, exec_lo, s2
	s_cbranch_vccnz .LBB175_1011
; %bb.1010:
	global_load_b32 v3, v[1:2], off
	s_waitcnt vmcnt(0)
	v_trunc_f32_e32 v3, v3
	s_delay_alu instid0(VALU_DEP_1) | instskip(NEXT) | instid1(VALU_DEP_1)
	v_mul_f32_e64 v4, 0x2f800000, |v3|
	v_floor_f32_e32 v4, v4
	s_delay_alu instid0(VALU_DEP_1) | instskip(SKIP_1) | instid1(VALU_DEP_2)
	v_fma_f32 v4, 0xcf800000, v4, |v3|
	v_ashrrev_i32_e32 v3, 31, v3
	v_cvt_u32_f32_e32 v4, v4
	s_delay_alu instid0(VALU_DEP_1) | instskip(NEXT) | instid1(VALU_DEP_1)
	v_xor_b32_e32 v4, v4, v3
	v_sub_nc_u32_e32 v3, v4, v3
.LBB175_1011:
	s_mov_b32 s2, 0
.LBB175_1012:
	s_delay_alu instid0(SALU_CYCLE_1)
	s_and_not1_b32 vcc_lo, exec_lo, s2
	s_cbranch_vccnz .LBB175_1014
; %bb.1013:
	global_load_b32 v3, v[1:2], off
	s_waitcnt vmcnt(0)
	v_cvt_f32_f16_e32 v3, v3
	s_delay_alu instid0(VALU_DEP_1)
	v_cvt_i32_f32_e32 v3, v3
.LBB175_1014:
	s_mov_b32 s2, 0
.LBB175_1015:
	s_delay_alu instid0(SALU_CYCLE_1)
	s_and_not1_b32 vcc_lo, exec_lo, s2
	s_cbranch_vccnz .LBB175_1026
; %bb.1016:
	v_cmp_gt_i16_e32 vcc_lo, 6, v6
	s_cbranch_vccnz .LBB175_1019
; %bb.1017:
	v_cmp_lt_i16_e32 vcc_lo, 6, v6
	s_cbranch_vccz .LBB175_1020
; %bb.1018:
	global_load_b64 v[3:4], v[1:2], off
	s_mov_b32 s2, 0
	s_waitcnt vmcnt(0)
	v_trunc_f64_e32 v[3:4], v[3:4]
	s_delay_alu instid0(VALU_DEP_1) | instskip(NEXT) | instid1(VALU_DEP_1)
	v_ldexp_f64 v[8:9], v[3:4], 0xffffffe0
	v_floor_f64_e32 v[8:9], v[8:9]
	s_delay_alu instid0(VALU_DEP_1) | instskip(NEXT) | instid1(VALU_DEP_1)
	v_fma_f64 v[3:4], 0xc1f00000, v[8:9], v[3:4]
	v_cvt_u32_f64_e32 v3, v[3:4]
	s_branch .LBB175_1021
.LBB175_1019:
	s_mov_b32 s2, -1
                                        ; implicit-def: $vgpr3
	s_branch .LBB175_1024
.LBB175_1020:
	s_mov_b32 s2, -1
                                        ; implicit-def: $vgpr3
.LBB175_1021:
	s_delay_alu instid0(SALU_CYCLE_1)
	s_and_not1_b32 vcc_lo, exec_lo, s2
	s_cbranch_vccnz .LBB175_1023
; %bb.1022:
	global_load_b32 v3, v[1:2], off
	s_waitcnt vmcnt(0)
	v_trunc_f32_e32 v3, v3
	s_delay_alu instid0(VALU_DEP_1) | instskip(NEXT) | instid1(VALU_DEP_1)
	v_mul_f32_e64 v4, 0x2f800000, |v3|
	v_floor_f32_e32 v4, v4
	s_delay_alu instid0(VALU_DEP_1) | instskip(SKIP_1) | instid1(VALU_DEP_2)
	v_fma_f32 v4, 0xcf800000, v4, |v3|
	v_ashrrev_i32_e32 v3, 31, v3
	v_cvt_u32_f32_e32 v4, v4
	s_delay_alu instid0(VALU_DEP_1) | instskip(NEXT) | instid1(VALU_DEP_1)
	v_xor_b32_e32 v4, v4, v3
	v_sub_nc_u32_e32 v3, v4, v3
.LBB175_1023:
	s_mov_b32 s2, 0
.LBB175_1024:
	s_delay_alu instid0(SALU_CYCLE_1)
	s_and_not1_b32 vcc_lo, exec_lo, s2
	s_cbranch_vccnz .LBB175_1026
; %bb.1025:
	global_load_u16 v3, v[1:2], off
	s_waitcnt vmcnt(0)
	v_cvt_f32_f16_e32 v3, v3
	s_delay_alu instid0(VALU_DEP_1)
	v_cvt_i32_f32_e32 v3, v3
.LBB175_1026:
	s_mov_b32 s2, 0
.LBB175_1027:
	s_delay_alu instid0(SALU_CYCLE_1)
	s_and_not1_b32 vcc_lo, exec_lo, s2
	s_cbranch_vccnz .LBB175_1047
; %bb.1028:
	v_cmp_gt_i16_e32 vcc_lo, 2, v6
	s_cbranch_vccnz .LBB175_1032
; %bb.1029:
	v_cmp_gt_i16_e32 vcc_lo, 3, v6
	s_cbranch_vccnz .LBB175_1033
; %bb.1030:
	v_cmp_lt_i16_e32 vcc_lo, 3, v6
	s_cbranch_vccz .LBB175_1034
; %bb.1031:
	global_load_b64 v[3:4], v[1:2], off
	s_mov_b32 s2, 0
	s_branch .LBB175_1035
.LBB175_1032:
	s_mov_b32 s2, -1
                                        ; implicit-def: $vgpr3
	s_branch .LBB175_1041
.LBB175_1033:
	s_mov_b32 s2, -1
                                        ; implicit-def: $vgpr3
	s_branch .LBB175_1038
.LBB175_1034:
	s_mov_b32 s2, -1
                                        ; implicit-def: $vgpr3
.LBB175_1035:
	s_delay_alu instid0(SALU_CYCLE_1)
	s_and_not1_b32 vcc_lo, exec_lo, s2
	s_cbranch_vccnz .LBB175_1037
; %bb.1036:
	global_load_b32 v3, v[1:2], off
.LBB175_1037:
	s_mov_b32 s2, 0
.LBB175_1038:
	s_delay_alu instid0(SALU_CYCLE_1)
	s_and_not1_b32 vcc_lo, exec_lo, s2
	s_cbranch_vccnz .LBB175_1040
; %bb.1039:
	global_load_u16 v3, v[1:2], off
.LBB175_1040:
	s_mov_b32 s2, 0
.LBB175_1041:
	s_delay_alu instid0(SALU_CYCLE_1)
	s_and_not1_b32 vcc_lo, exec_lo, s2
	s_cbranch_vccnz .LBB175_1047
; %bb.1042:
	v_cmp_lt_i16_e32 vcc_lo, 0, v6
	s_mov_b32 s2, 0
	s_cbranch_vccz .LBB175_1044
; %bb.1043:
	global_load_u8 v3, v[1:2], off
	s_branch .LBB175_1045
.LBB175_1044:
	s_mov_b32 s2, -1
                                        ; implicit-def: $vgpr3
.LBB175_1045:
	s_delay_alu instid0(SALU_CYCLE_1)
	s_and_not1_b32 vcc_lo, exec_lo, s2
	s_cbranch_vccnz .LBB175_1047
; %bb.1046:
	global_load_u8 v3, v[1:2], off
.LBB175_1047:
	s_mov_b32 s2, -1
.LBB175_1048:
	s_delay_alu instid0(SALU_CYCLE_1)
	s_and_not1_b32 vcc_lo, exec_lo, s2
	s_cbranch_vccnz .LBB175_1056
; %bb.1049:
	s_waitcnt vmcnt(0)
	s_delay_alu instid0(VALU_DEP_1) | instskip(SKIP_4) | instid1(VALU_DEP_3)
	v_cvt_f32_ubyte0_e32 v1, v3
	v_lshlrev_b32_e32 v2, 16, v5
	v_and_b32_e64 v3, 0xff, s11
	v_add_co_u32 v0, s2, s4, v0
	s_mov_b32 s48, 0
	v_mul_f32_e32 v1, v2, v1
	s_delay_alu instid0(VALU_DEP_3) | instskip(SKIP_1) | instid1(VALU_DEP_2)
	v_cmp_gt_i16_e32 vcc_lo, 11, v3
	s_mov_b32 s49, -1
	v_mul_f32_e32 v2, s10, v1
	s_and_b32 vcc_lo, exec_lo, vcc_lo
	s_delay_alu instid0(VALU_DEP_1) | instskip(NEXT) | instid1(VALU_DEP_1)
	v_bfe_u32 v1, v2, 16, 1
	v_add3_u32 v1, v2, v1, 0x7fff
	s_delay_alu instid0(VALU_DEP_1) | instskip(SKIP_2) | instid1(VALU_DEP_1)
	v_lshrrev_b32_e32 v4, 16, v1
	v_add_co_ci_u32_e64 v1, null, s5, 0, s2
	v_cmp_o_f32_e64 s2, v2, v2
	v_cndmask_b32_e64 v2, 0x7fc0, v4, s2
	s_mov_b32 s2, s43
	s_cbranch_vccnz .LBB175_1057
; %bb.1050:
	v_cmp_lt_i16_e32 vcc_lo, 25, v3
	s_cbranch_vccz .LBB175_1120
; %bb.1051:
	v_cmp_lt_i16_e32 vcc_lo, 28, v3
	s_cbranch_vccz .LBB175_1122
	;; [unrolled: 3-line block ×4, first 2 shown]
; %bb.1054:
	v_cmp_eq_u16_e32 vcc_lo, 46, v3
	s_mov_b32 s49, 0
	s_mov_b32 s2, -1
	s_cbranch_vccz .LBB175_1127
; %bb.1055:
	v_and_b32_e32 v4, 0xffff, v2
	s_mov_b32 s48, -1
	s_mov_b32 s2, 0
	global_store_b32 v[0:1], v4, off
	s_branch .LBB175_1127
.LBB175_1056:
	s_mov_b32 s50, 0
	s_mov_b32 s2, s43
	s_branch .LBB175_1097
.LBB175_1057:
	s_and_b32 vcc_lo, exec_lo, s49
	s_cbranch_vccz .LBB175_1196
; %bb.1058:
	v_cmp_gt_i16_e32 vcc_lo, 5, v3
	s_mov_b32 s48, -1
	s_cbranch_vccnz .LBB175_1079
; %bb.1059:
	v_cmp_gt_i16_e32 vcc_lo, 8, v3
	s_cbranch_vccnz .LBB175_1069
; %bb.1060:
	v_cmp_gt_i16_e32 vcc_lo, 9, v3
	s_cbranch_vccnz .LBB175_1066
; %bb.1061:
	v_cmp_lt_i16_e32 vcc_lo, 9, v3
	s_cbranch_vccz .LBB175_1063
; %bb.1062:
	v_mov_b32_e32 v10, 0
	v_lshlrev_b32_e32 v4, 16, v2
	s_mov_b32 s48, 0
	s_delay_alu instid0(VALU_DEP_2) | instskip(NEXT) | instid1(VALU_DEP_2)
	v_mov_b32_e32 v11, v10
	v_cvt_f64_f32_e32 v[8:9], v4
	global_store_b128 v[0:1], v[8:11], off
.LBB175_1063:
	s_and_not1_b32 vcc_lo, exec_lo, s48
	s_cbranch_vccnz .LBB175_1065
; %bb.1064:
	v_dual_mov_b32 v5, 0 :: v_dual_lshlrev_b32 v4, 16, v2
	global_store_b64 v[0:1], v[4:5], off
.LBB175_1065:
	s_mov_b32 s48, 0
.LBB175_1066:
	s_delay_alu instid0(SALU_CYCLE_1)
	s_and_not1_b32 vcc_lo, exec_lo, s48
	s_cbranch_vccnz .LBB175_1068
; %bb.1067:
	v_lshlrev_b32_e32 v4, 16, v2
	s_delay_alu instid0(VALU_DEP_1) | instskip(NEXT) | instid1(VALU_DEP_1)
	v_cvt_f16_f32_e32 v4, v4
	v_and_b32_e32 v4, 0xffff, v4
	global_store_b32 v[0:1], v4, off
.LBB175_1068:
	s_mov_b32 s48, 0
.LBB175_1069:
	s_delay_alu instid0(SALU_CYCLE_1)
	s_and_not1_b32 vcc_lo, exec_lo, s48
	s_cbranch_vccnz .LBB175_1078
; %bb.1070:
	v_cmp_gt_i16_e32 vcc_lo, 6, v3
	s_mov_b32 s48, -1
	s_cbranch_vccnz .LBB175_1076
; %bb.1071:
	v_cmp_lt_i16_e32 vcc_lo, 6, v3
	s_cbranch_vccz .LBB175_1073
; %bb.1072:
	v_lshlrev_b32_e32 v4, 16, v2
	s_mov_b32 s48, 0
	s_delay_alu instid0(VALU_DEP_1)
	v_cvt_f64_f32_e32 v[4:5], v4
	global_store_b64 v[0:1], v[4:5], off
.LBB175_1073:
	s_and_not1_b32 vcc_lo, exec_lo, s48
	s_cbranch_vccnz .LBB175_1075
; %bb.1074:
	v_lshlrev_b32_e32 v4, 16, v2
	global_store_b32 v[0:1], v4, off
.LBB175_1075:
	s_mov_b32 s48, 0
.LBB175_1076:
	s_delay_alu instid0(SALU_CYCLE_1)
	s_and_not1_b32 vcc_lo, exec_lo, s48
	s_cbranch_vccnz .LBB175_1078
; %bb.1077:
	v_lshlrev_b32_e32 v4, 16, v2
	s_delay_alu instid0(VALU_DEP_1)
	v_cvt_f16_f32_e32 v4, v4
	global_store_b16 v[0:1], v4, off
.LBB175_1078:
	s_mov_b32 s48, 0
.LBB175_1079:
	s_delay_alu instid0(SALU_CYCLE_1)
	s_and_not1_b32 vcc_lo, exec_lo, s48
	s_cbranch_vccnz .LBB175_1095
; %bb.1080:
	v_cmp_gt_i16_e32 vcc_lo, 2, v3
	s_mov_b32 s48, -1
	s_cbranch_vccnz .LBB175_1090
; %bb.1081:
	v_cmp_gt_i16_e32 vcc_lo, 3, v3
	s_cbranch_vccnz .LBB175_1087
; %bb.1082:
	v_cmp_lt_i16_e32 vcc_lo, 3, v3
	s_cbranch_vccz .LBB175_1084
; %bb.1083:
	v_lshlrev_b32_e32 v4, 16, v2
	s_mov_b32 s48, 0
	s_delay_alu instid0(VALU_DEP_1) | instskip(NEXT) | instid1(VALU_DEP_1)
	v_trunc_f32_e32 v4, v4
	v_mul_f32_e64 v5, 0x2f800000, |v4|
	v_ashrrev_i32_e32 v8, 31, v4
	s_delay_alu instid0(VALU_DEP_2) | instskip(NEXT) | instid1(VALU_DEP_1)
	v_floor_f32_e32 v5, v5
	v_fma_f32 v6, 0xcf800000, v5, |v4|
	v_cvt_u32_f32_e32 v5, v5
	s_delay_alu instid0(VALU_DEP_2) | instskip(NEXT) | instid1(VALU_DEP_2)
	v_cvt_u32_f32_e32 v4, v6
	v_xor_b32_e32 v5, v5, v8
	s_delay_alu instid0(VALU_DEP_2) | instskip(NEXT) | instid1(VALU_DEP_1)
	v_xor_b32_e32 v4, v4, v8
	v_sub_co_u32 v4, vcc_lo, v4, v8
	s_delay_alu instid0(VALU_DEP_3)
	v_sub_co_ci_u32_e32 v5, vcc_lo, v5, v8, vcc_lo
	global_store_b64 v[0:1], v[4:5], off
.LBB175_1084:
	s_and_not1_b32 vcc_lo, exec_lo, s48
	s_cbranch_vccnz .LBB175_1086
; %bb.1085:
	v_lshlrev_b32_e32 v4, 16, v2
	s_delay_alu instid0(VALU_DEP_1)
	v_cvt_i32_f32_e32 v4, v4
	global_store_b32 v[0:1], v4, off
.LBB175_1086:
	s_mov_b32 s48, 0
.LBB175_1087:
	s_delay_alu instid0(SALU_CYCLE_1)
	s_and_not1_b32 vcc_lo, exec_lo, s48
	s_cbranch_vccnz .LBB175_1089
; %bb.1088:
	v_lshlrev_b32_e32 v4, 16, v2
	s_delay_alu instid0(VALU_DEP_1)
	v_cvt_i32_f32_e32 v4, v4
	global_store_b16 v[0:1], v4, off
.LBB175_1089:
	s_mov_b32 s48, 0
.LBB175_1090:
	s_delay_alu instid0(SALU_CYCLE_1)
	s_and_not1_b32 vcc_lo, exec_lo, s48
	s_cbranch_vccnz .LBB175_1095
; %bb.1091:
	v_cmp_lt_i16_e32 vcc_lo, 0, v3
	s_mov_b32 s48, -1
	s_cbranch_vccz .LBB175_1093
; %bb.1092:
	v_lshlrev_b32_e32 v3, 16, v2
	s_mov_b32 s48, 0
	s_delay_alu instid0(VALU_DEP_1)
	v_cvt_i32_f32_e32 v3, v3
	global_store_b8 v[0:1], v3, off
.LBB175_1093:
	s_and_not1_b32 vcc_lo, exec_lo, s48
	s_cbranch_vccnz .LBB175_1095
; %bb.1094:
	v_lshlrev_b32_e32 v2, 16, v2
	s_delay_alu instid0(VALU_DEP_1) | instskip(NEXT) | instid1(VALU_DEP_1)
	v_trunc_f32_e32 v2, v2
	v_mul_f32_e64 v3, 0x2f800000, |v2|
	s_delay_alu instid0(VALU_DEP_1) | instskip(NEXT) | instid1(VALU_DEP_1)
	v_floor_f32_e32 v3, v3
	v_fma_f32 v3, 0xcf800000, v3, |v2|
	v_ashrrev_i32_e32 v2, 31, v2
	s_delay_alu instid0(VALU_DEP_2) | instskip(NEXT) | instid1(VALU_DEP_1)
	v_cvt_u32_f32_e32 v3, v3
	v_xor_b32_e32 v3, v3, v2
	s_delay_alu instid0(VALU_DEP_1)
	v_sub_nc_u32_e32 v2, v3, v2
	global_store_b8 v[0:1], v2, off
.LBB175_1095:
	s_branch .LBB175_1197
.LBB175_1096:
	s_mov_b32 s50, 0
.LBB175_1097:
                                        ; implicit-def: $vgpr7
.LBB175_1098:
	s_and_not1_b32 s48, s43, exec_lo
	s_and_b32 s2, s2, exec_lo
	s_and_b32 s47, s47, exec_lo
	s_or_b32 s48, s48, s2
	s_and_not1_b32 s2, s44, exec_lo
	s_and_not1_b32 s51, s42, exec_lo
	s_and_b32 s3, s3, exec_lo
	s_or_b32 s49, s2, s47
	s_or_b32 s47, s51, s3
	s_or_not1_b32 s51, s50, exec_lo
.LBB175_1099:
	s_or_b32 exec_lo, exec_lo, s46
	s_mov_b32 s2, 0
	s_mov_b32 s3, 0
	;; [unrolled: 1-line block ×3, first 2 shown]
                                        ; implicit-def: $vgpr4
                                        ; implicit-def: $vgpr2_vgpr3
                                        ; implicit-def: $vgpr0
                                        ; implicit-def: $vgpr1
                                        ; implicit-def: $vgpr6
	s_and_saveexec_b32 s46, s51
	s_cbranch_execz .LBB175_1267
; %bb.1100:
	v_cmp_gt_i32_e32 vcc_lo, s36, v7
	s_mov_b32 s52, s47
	s_mov_b32 s51, 0
                                        ; implicit-def: $vgpr4
                                        ; implicit-def: $vgpr2_vgpr3
                                        ; implicit-def: $vgpr0
                                        ; implicit-def: $vgpr1
                                        ; implicit-def: $vgpr6
	s_and_saveexec_b32 s36, vcc_lo
	s_cbranch_execz .LBB175_1266
; %bb.1101:
	s_and_not1_b32 vcc_lo, exec_lo, s29
	s_cbranch_vccnz .LBB175_1107
; %bb.1102:
	v_dual_mov_b32 v0, 0 :: v_dual_mov_b32 v1, 0
	v_mov_b32_e32 v2, 0
	s_and_not1_b32 vcc_lo, exec_lo, s37
	s_mov_b32 s37, 0
	s_cbranch_vccnz .LBB175_1108
; %bb.1103:
	s_add_i32 s2, s35, 1
	v_dual_mov_b32 v1, 0 :: v_dual_mov_b32 v2, 0
	s_waitcnt vmcnt(0)
	v_dual_mov_b32 v0, 0 :: v_dual_mov_b32 v3, v7
	s_and_b32 s50, s2, 30
	s_add_u32 s2, s20, 0xffffffec
	s_addc_u32 s3, s21, -1
	s_set_inst_prefetch_distance 0x1
	.p2align	6
.LBB175_1104:                           ; =>This Inner Loop Header: Depth=1
	s_clause 0x2
	s_load_b128 s[52:55], s[2:3], 0x18
	s_load_b64 s[60:61], s[2:3], 0x28
	s_load_b128 s[56:59], s[2:3], 0xd8
	s_waitcnt lgkmcnt(0)
	v_mul_hi_u32 v4, s53, v3
	s_delay_alu instid0(VALU_DEP_1) | instskip(NEXT) | instid1(VALU_DEP_1)
	v_add_nc_u32_e32 v4, v3, v4
	v_lshrrev_b32_e32 v4, s54, v4
	s_delay_alu instid0(VALU_DEP_1)
	v_mul_hi_u32 v5, s60, v4
	v_mul_lo_u32 v6, v4, s52
	s_load_b64 s[52:53], s[2:3], 0xe8
	s_add_u32 s2, s2, 24
	s_addc_u32 s3, s3, 0
	s_add_i32 s50, s50, -2
	s_delay_alu instid0(SALU_CYCLE_1) | instskip(NEXT) | instid1(VALU_DEP_2)
	s_cmp_eq_u32 s50, 0
	v_add_nc_u32_e32 v5, v4, v5
	s_delay_alu instid0(VALU_DEP_2) | instskip(NEXT) | instid1(VALU_DEP_2)
	v_sub_nc_u32_e32 v6, v3, v6
	v_lshrrev_b32_e32 v3, s61, v5
	s_delay_alu instid0(VALU_DEP_2) | instskip(NEXT) | instid1(VALU_DEP_2)
	v_mul_lo_u32 v8, v6, s56
	v_mul_lo_u32 v5, v3, s55
	s_delay_alu instid0(VALU_DEP_1) | instskip(SKIP_2) | instid1(VALU_DEP_3)
	v_sub_nc_u32_e32 v4, v4, v5
	v_mul_lo_u32 v5, v6, s57
	v_mul_lo_u32 v6, v6, s58
	;; [unrolled: 1-line block ×3, first 2 shown]
	s_waitcnt lgkmcnt(0)
	v_mul_lo_u32 v10, v4, s52
	v_mul_lo_u32 v4, v4, s53
	s_delay_alu instid0(VALU_DEP_3) | instskip(NEXT) | instid1(VALU_DEP_3)
	v_add3_u32 v0, v8, v0, v9
	v_add3_u32 v2, v5, v2, v10
	s_delay_alu instid0(VALU_DEP_3)
	v_add3_u32 v1, v6, v1, v4
	s_cbranch_scc0 .LBB175_1104
; %bb.1105:
	s_set_inst_prefetch_distance 0x2
	s_bitcmp1_b32 s35, 0
	s_cselect_b32 s35, -1, 0
	s_delay_alu instid0(SALU_CYCLE_1)
	s_and_b32 vcc_lo, exec_lo, s35
	s_cbranch_vccnz .LBB175_1108
; %bb.1106:
	s_clause 0x3
	s_load_b64 s[50:51], s[2:3], 0x18
	s_load_b32 s35, s[2:3], 0x20
	s_load_b64 s[52:53], s[2:3], 0xd8
	s_load_b32 s2, s[2:3], 0xe0
	s_waitcnt lgkmcnt(0)
	v_mul_hi_u32 v4, s51, v3
	s_delay_alu instid0(VALU_DEP_1) | instskip(NEXT) | instid1(VALU_DEP_1)
	v_add_nc_u32_e32 v4, v3, v4
	v_lshrrev_b32_e32 v4, s35, v4
	s_delay_alu instid0(VALU_DEP_1) | instskip(NEXT) | instid1(VALU_DEP_1)
	v_mul_lo_u32 v4, v4, s50
	v_sub_nc_u32_e32 v8, v3, v4
	s_delay_alu instid0(VALU_DEP_1) | instskip(NEXT) | instid1(VALU_DEP_1)
	v_mad_u64_u32 v[3:4], null, v8, s52, v[0:1]
	v_mad_u64_u32 v[4:5], null, v8, s53, v[2:3]
	;; [unrolled: 1-line block ×3, first 2 shown]
	v_mov_b32_e32 v0, v3
	s_delay_alu instid0(VALU_DEP_2)
	v_dual_mov_b32 v2, v4 :: v_dual_mov_b32 v1, v5
	s_branch .LBB175_1108
.LBB175_1107:
	s_mov_b32 s37, -1
                                        ; implicit-def: $vgpr0
                                        ; implicit-def: $vgpr2
                                        ; implicit-def: $vgpr1
.LBB175_1108:
	s_delay_alu instid0(SALU_CYCLE_1)
	s_and_not1_b32 vcc_lo, exec_lo, s37
	s_cbranch_vccnz .LBB175_1111
; %bb.1109:
	v_mul_hi_u32 v0, s17, v7
	s_and_not1_b32 vcc_lo, exec_lo, s34
	s_delay_alu instid0(VALU_DEP_1) | instskip(SKIP_1) | instid1(VALU_DEP_1)
	v_add_nc_u32_e32 v0, v7, v0
	s_waitcnt vmcnt(0)
	v_lshrrev_b32_e32 v3, s18, v0
	s_delay_alu instid0(VALU_DEP_1) | instskip(NEXT) | instid1(VALU_DEP_1)
	v_mul_lo_u32 v0, v3, s16
	v_sub_nc_u32_e32 v1, v7, v0
	s_delay_alu instid0(VALU_DEP_1)
	v_mul_lo_u32 v0, v1, s12
	v_mul_lo_u32 v2, v1, s13
	;; [unrolled: 1-line block ×3, first 2 shown]
	s_cbranch_vccnz .LBB175_1111
; %bb.1110:
	v_mul_hi_u32 v4, s24, v3
	s_delay_alu instid0(VALU_DEP_1) | instskip(NEXT) | instid1(VALU_DEP_1)
	v_add_nc_u32_e32 v4, v3, v4
	v_lshrrev_b32_e32 v4, s25, v4
	s_delay_alu instid0(VALU_DEP_1) | instskip(NEXT) | instid1(VALU_DEP_1)
	v_mul_lo_u32 v4, v4, s19
	v_sub_nc_u32_e32 v7, v3, v4
	s_delay_alu instid0(VALU_DEP_1) | instskip(NEXT) | instid1(VALU_DEP_1)
	v_mad_u64_u32 v[3:4], null, v7, s15, v[0:1]
	v_mad_u64_u32 v[4:5], null, v7, s22, v[2:3]
	;; [unrolled: 1-line block ×3, first 2 shown]
	v_mov_b32_e32 v0, v3
	s_delay_alu instid0(VALU_DEP_2)
	v_dual_mov_b32 v2, v4 :: v_dual_mov_b32 v1, v5
.LBB175_1111:
	s_waitcnt vmcnt(0)
	v_and_b32_e64 v4, 0xff, s33
	s_delay_alu instid0(VALU_DEP_2) | instskip(NEXT) | instid1(VALU_DEP_1)
	v_add_co_u32 v2, s2, s6, v2
	v_add_co_ci_u32_e64 v3, null, s7, 0, s2
	s_delay_alu instid0(VALU_DEP_3)
	v_cmp_gt_i16_e32 vcc_lo, 11, v4
	s_mov_b32 s6, 0
	s_cbranch_vccnz .LBB175_1118
; %bb.1112:
	v_cmp_lt_i16_e32 vcc_lo, 25, v4
	s_mov_b32 s3, 0
	s_cbranch_vccz .LBB175_1119
; %bb.1113:
	v_cmp_lt_i16_e32 vcc_lo, 28, v4
	s_cbranch_vccz .LBB175_1121
; %bb.1114:
	v_cmp_lt_i16_e32 vcc_lo, 43, v4
	;; [unrolled: 3-line block ×3, first 2 shown]
	s_cbranch_vccz .LBB175_1125
; %bb.1116:
	v_cmp_eq_u16_e32 vcc_lo, 46, v4
	s_mov_b32 s7, 0
	s_cbranch_vccz .LBB175_1198
; %bb.1117:
	global_load_b32 v6, v[2:3], off
	s_mov_b32 s2, 0
	s_mov_b32 s6, -1
	s_branch .LBB175_1200
.LBB175_1118:
	s_mov_b32 s7, -1
	s_mov_b32 s3, 0
	s_mov_b32 s2, s47
                                        ; implicit-def: $vgpr6
	s_branch .LBB175_1265
.LBB175_1119:
	s_mov_b32 s7, -1
	s_mov_b32 s2, s47
                                        ; implicit-def: $vgpr6
	s_branch .LBB175_1231
.LBB175_1120:
	s_mov_b32 s2, s43
	s_branch .LBB175_1154
.LBB175_1121:
	s_mov_b32 s7, -1
	s_mov_b32 s2, s47
                                        ; implicit-def: $vgpr6
	s_branch .LBB175_1212
.LBB175_1122:
	s_mov_b32 s2, s43
	s_branch .LBB175_1137
.LBB175_1123:
	s_mov_b32 s7, -1
	s_mov_b32 s2, s47
                                        ; implicit-def: $vgpr6
	s_branch .LBB175_1207
.LBB175_1124:
	s_mov_b32 s2, s43
	s_branch .LBB175_1133
.LBB175_1125:
	s_mov_b32 s7, -1
	s_mov_b32 s2, s47
	s_branch .LBB175_1199
.LBB175_1126:
	s_mov_b32 s2, s43
.LBB175_1127:
	s_and_b32 vcc_lo, exec_lo, s49
	s_cbranch_vccz .LBB175_1132
; %bb.1128:
	v_cmp_eq_u16_e32 vcc_lo, 44, v3
	s_mov_b32 s2, -1
	s_cbranch_vccz .LBB175_1132
; %bb.1129:
	v_and_b32_e32 v4, 0xffff, v2
	v_mov_b32_e32 v5, 0xff
	s_mov_b32 s48, exec_lo
	s_delay_alu instid0(VALU_DEP_2) | instskip(NEXT) | instid1(VALU_DEP_1)
	v_bfe_u32 v6, v4, 7, 8
	v_cmpx_ne_u32_e32 0xff, v6
; %bb.1130:
	v_lshlrev_b32_e32 v5, 16, v4
	v_and_b32_e32 v8, 64, v4
	v_lshrrev_b32_e32 v4, 7, v4
	s_delay_alu instid0(VALU_DEP_3) | instskip(NEXT) | instid1(VALU_DEP_3)
	v_and_or_b32 v5, 0x3f0000, v5, v6
	v_cmp_ne_u32_e32 vcc_lo, 0, v8
	s_delay_alu instid0(VALU_DEP_2) | instskip(NEXT) | instid1(VALU_DEP_1)
	v_cmp_ne_u32_e64 s2, 0, v5
	s_and_b32 s2, vcc_lo, s2
	s_delay_alu instid0(SALU_CYCLE_1) | instskip(NEXT) | instid1(VALU_DEP_1)
	v_cndmask_b32_e64 v5, 0, 1, s2
	v_add_nc_u32_e32 v5, v4, v5
; %bb.1131:
	s_or_b32 exec_lo, exec_lo, s48
	s_mov_b32 s48, -1
	s_mov_b32 s2, 0
	global_store_b8 v[0:1], v5, off
.LBB175_1132:
	s_mov_b32 s49, 0
.LBB175_1133:
	s_delay_alu instid0(SALU_CYCLE_1)
	s_and_b32 vcc_lo, exec_lo, s49
	s_cbranch_vccz .LBB175_1136
; %bb.1134:
	v_cmp_eq_u16_e32 vcc_lo, 29, v3
	s_mov_b32 s2, -1
	s_cbranch_vccz .LBB175_1136
; %bb.1135:
	v_lshlrev_b32_e32 v4, 16, v2
	s_mov_b32 s48, -1
	s_mov_b32 s2, 0
	s_mov_b32 s49, 0
	s_delay_alu instid0(VALU_DEP_1) | instskip(NEXT) | instid1(VALU_DEP_1)
	v_trunc_f32_e32 v4, v4
	v_mul_f32_e32 v5, 0x2f800000, v4
	s_delay_alu instid0(VALU_DEP_1) | instskip(NEXT) | instid1(VALU_DEP_1)
	v_floor_f32_e32 v5, v5
	v_fmamk_f32 v4, v5, 0xcf800000, v4
	v_cvt_u32_f32_e32 v5, v5
	s_delay_alu instid0(VALU_DEP_2)
	v_cvt_u32_f32_e32 v4, v4
	global_store_b64 v[0:1], v[4:5], off
	s_branch .LBB175_1137
.LBB175_1136:
	s_mov_b32 s49, 0
.LBB175_1137:
	s_delay_alu instid0(SALU_CYCLE_1)
	s_and_b32 vcc_lo, exec_lo, s49
	s_cbranch_vccz .LBB175_1153
; %bb.1138:
	v_cmp_gt_i16_e32 vcc_lo, 27, v3
	s_mov_b32 s48, -1
	s_cbranch_vccnz .LBB175_1144
; %bb.1139:
	v_cmp_lt_i16_e32 vcc_lo, 27, v3
	s_cbranch_vccz .LBB175_1141
; %bb.1140:
	v_lshlrev_b32_e32 v4, 16, v2
	s_mov_b32 s48, 0
	s_delay_alu instid0(VALU_DEP_1)
	v_cvt_u32_f32_e32 v4, v4
	global_store_b32 v[0:1], v4, off
.LBB175_1141:
	s_and_not1_b32 vcc_lo, exec_lo, s48
	s_cbranch_vccnz .LBB175_1143
; %bb.1142:
	v_lshlrev_b32_e32 v4, 16, v2
	s_delay_alu instid0(VALU_DEP_1)
	v_cvt_u32_f32_e32 v4, v4
	global_store_b16 v[0:1], v4, off
.LBB175_1143:
	s_mov_b32 s48, 0
.LBB175_1144:
	s_delay_alu instid0(SALU_CYCLE_1)
	s_and_not1_b32 vcc_lo, exec_lo, s48
	s_cbranch_vccnz .LBB175_1152
; %bb.1145:
	v_lshlrev_b32_e32 v6, 16, v2
	v_mov_b32_e32 v8, 0x80
	s_mov_b32 s48, exec_lo
	s_delay_alu instid0(VALU_DEP_2) | instskip(NEXT) | instid1(VALU_DEP_1)
	v_and_b32_e32 v5, 0x7fffffff, v6
	v_cmpx_gt_u32_e32 0x43800000, v5
	s_cbranch_execz .LBB175_1151
; %bb.1146:
	v_and_b32_e32 v4, 0xffff, v2
	v_cmp_lt_u32_e32 vcc_lo, 0x3bffffff, v5
	s_mov_b32 s49, 0
                                        ; implicit-def: $vgpr5
	s_and_saveexec_b32 s50, vcc_lo
	s_delay_alu instid0(SALU_CYCLE_1)
	s_xor_b32 s50, exec_lo, s50
	s_cbranch_execz .LBB175_1203
; %bb.1147:
	v_bfe_u32 v5, v4, 4, 1
	s_mov_b32 s49, exec_lo
	s_delay_alu instid0(VALU_DEP_1) | instskip(NEXT) | instid1(VALU_DEP_1)
	v_add3_u32 v5, v6, v5, 0x487ffff
                                        ; implicit-def: $vgpr6
	v_lshrrev_b32_e32 v5, 20, v5
	s_or_saveexec_b32 s50, s50
                                        ; implicit-def: $sgpr51
	s_delay_alu instid0(SALU_CYCLE_1)
	s_xor_b32 exec_lo, exec_lo, s50
	s_cbranch_execnz .LBB175_1204
.LBB175_1148:
	s_or_b32 exec_lo, exec_lo, s50
	v_mov_b32_e32 v8, s51
	s_and_saveexec_b32 s50, s49
.LBB175_1149:
	v_lshrrev_b32_e32 v4, 8, v4
	s_delay_alu instid0(VALU_DEP_1)
	v_and_or_b32 v8, 0x80, v4, v5
.LBB175_1150:
	s_or_b32 exec_lo, exec_lo, s50
.LBB175_1151:
	s_delay_alu instid0(SALU_CYCLE_1)
	s_or_b32 exec_lo, exec_lo, s48
	global_store_b8 v[0:1], v8, off
.LBB175_1152:
	s_mov_b32 s48, -1
.LBB175_1153:
	s_mov_b32 s49, 0
.LBB175_1154:
	s_delay_alu instid0(SALU_CYCLE_1)
	s_and_b32 vcc_lo, exec_lo, s49
	s_cbranch_vccz .LBB175_1195
; %bb.1155:
	v_cmp_lt_i16_e32 vcc_lo, 22, v3
	s_mov_b32 s49, -1
	s_cbranch_vccz .LBB175_1187
; %bb.1156:
	v_cmp_gt_i16_e32 vcc_lo, 24, v3
	s_mov_b32 s48, -1
	s_cbranch_vccnz .LBB175_1176
; %bb.1157:
	v_cmp_lt_i16_e32 vcc_lo, 24, v3
	s_cbranch_vccz .LBB175_1165
; %bb.1158:
	v_lshlrev_b32_e32 v6, 16, v2
	v_mov_b32_e32 v8, 0x80
	s_mov_b32 s48, exec_lo
	s_delay_alu instid0(VALU_DEP_2) | instskip(NEXT) | instid1(VALU_DEP_1)
	v_and_b32_e32 v5, 0x7fffffff, v6
	v_cmpx_gt_u32_e32 0x47800000, v5
	s_cbranch_execz .LBB175_1164
; %bb.1159:
	v_and_b32_e32 v4, 0xffff, v2
	v_cmp_lt_u32_e32 vcc_lo, 0x37ffffff, v5
	s_mov_b32 s49, 0
                                        ; implicit-def: $vgpr5
	s_and_saveexec_b32 s50, vcc_lo
	s_delay_alu instid0(SALU_CYCLE_1)
	s_xor_b32 s50, exec_lo, s50
	s_cbranch_execz .LBB175_2280
; %bb.1160:
	v_bfe_u32 v5, v4, 5, 1
	s_mov_b32 s49, exec_lo
	s_delay_alu instid0(VALU_DEP_1) | instskip(NEXT) | instid1(VALU_DEP_1)
	v_add3_u32 v5, v6, v5, 0x88fffff
                                        ; implicit-def: $vgpr6
	v_lshrrev_b32_e32 v5, 21, v5
	s_or_saveexec_b32 s50, s50
                                        ; implicit-def: $sgpr51
	s_delay_alu instid0(SALU_CYCLE_1)
	s_xor_b32 exec_lo, exec_lo, s50
	s_cbranch_execnz .LBB175_2281
.LBB175_1161:
	s_or_b32 exec_lo, exec_lo, s50
	v_mov_b32_e32 v8, s51
	s_and_saveexec_b32 s50, s49
.LBB175_1162:
	v_lshrrev_b32_e32 v4, 8, v4
	s_delay_alu instid0(VALU_DEP_1)
	v_and_or_b32 v8, 0x80, v4, v5
.LBB175_1163:
	s_or_b32 exec_lo, exec_lo, s50
.LBB175_1164:
	s_delay_alu instid0(SALU_CYCLE_1)
	s_or_b32 exec_lo, exec_lo, s48
	s_mov_b32 s48, 0
	global_store_b8 v[0:1], v8, off
.LBB175_1165:
	s_and_b32 vcc_lo, exec_lo, s48
	s_cbranch_vccz .LBB175_1175
; %bb.1166:
	v_lshlrev_b32_e32 v6, 16, v2
	v_and_b32_e32 v4, 0xffff, v2
	s_mov_b32 s48, exec_lo
                                        ; implicit-def: $vgpr5
	s_delay_alu instid0(VALU_DEP_2) | instskip(NEXT) | instid1(VALU_DEP_1)
	v_and_b32_e32 v8, 0x7fffffff, v6
	v_cmpx_gt_u32_e32 0x43f00000, v8
	s_xor_b32 s48, exec_lo, s48
	s_cbranch_execz .LBB175_1172
; %bb.1167:
	s_mov_b32 s49, exec_lo
                                        ; implicit-def: $vgpr5
	v_cmpx_lt_u32_e32 0x3c7fffff, v8
	s_xor_b32 s49, exec_lo, s49
; %bb.1168:
	v_bfe_u32 v5, v4, 4, 1
	s_delay_alu instid0(VALU_DEP_1) | instskip(NEXT) | instid1(VALU_DEP_1)
	v_add3_u32 v5, v6, v5, 0x407ffff
	v_and_b32_e32 v6, 0xff00000, v5
	v_lshrrev_b32_e32 v5, 20, v5
	s_delay_alu instid0(VALU_DEP_2) | instskip(NEXT) | instid1(VALU_DEP_2)
	v_cmp_ne_u32_e32 vcc_lo, 0x7f00000, v6
                                        ; implicit-def: $vgpr6
	v_cndmask_b32_e32 v5, 0x7e, v5, vcc_lo
; %bb.1169:
	s_and_not1_saveexec_b32 s49, s49
; %bb.1170:
	v_add_f32_e64 v5, 0x46800000, |v6|
; %bb.1171:
	s_or_b32 exec_lo, exec_lo, s49
                                        ; implicit-def: $vgpr8
.LBB175_1172:
	s_and_not1_saveexec_b32 s48, s48
; %bb.1173:
	v_mov_b32_e32 v5, 0x7f
	v_cmp_lt_u32_e32 vcc_lo, 0x7f800000, v8
	s_delay_alu instid0(VALU_DEP_2)
	v_cndmask_b32_e32 v5, 0x7e, v5, vcc_lo
; %bb.1174:
	s_or_b32 exec_lo, exec_lo, s48
	v_lshrrev_b32_e32 v4, 8, v4
	s_delay_alu instid0(VALU_DEP_1)
	v_and_or_b32 v4, 0x80, v4, v5
	global_store_b8 v[0:1], v4, off
.LBB175_1175:
	s_mov_b32 s48, 0
.LBB175_1176:
	s_delay_alu instid0(SALU_CYCLE_1)
	s_and_not1_b32 vcc_lo, exec_lo, s48
	s_cbranch_vccnz .LBB175_1186
; %bb.1177:
	v_lshlrev_b32_e32 v6, 16, v2
	v_and_b32_e32 v4, 0xffff, v2
	s_mov_b32 s48, exec_lo
                                        ; implicit-def: $vgpr5
	s_delay_alu instid0(VALU_DEP_2) | instskip(NEXT) | instid1(VALU_DEP_1)
	v_and_b32_e32 v8, 0x7fffffff, v6
	v_cmpx_gt_u32_e32 0x47800000, v8
	s_xor_b32 s48, exec_lo, s48
	s_cbranch_execz .LBB175_1183
; %bb.1178:
	s_mov_b32 s49, exec_lo
                                        ; implicit-def: $vgpr5
	v_cmpx_lt_u32_e32 0x387fffff, v8
	s_xor_b32 s49, exec_lo, s49
; %bb.1179:
	v_bfe_u32 v5, v4, 5, 1
	s_delay_alu instid0(VALU_DEP_1) | instskip(NEXT) | instid1(VALU_DEP_1)
	v_add3_u32 v5, v6, v5, 0x80fffff
                                        ; implicit-def: $vgpr6
	v_lshrrev_b32_e32 v5, 21, v5
; %bb.1180:
	s_and_not1_saveexec_b32 s49, s49
; %bb.1181:
	v_add_f32_e64 v5, 0x43000000, |v6|
; %bb.1182:
	s_or_b32 exec_lo, exec_lo, s49
                                        ; implicit-def: $vgpr8
.LBB175_1183:
	s_and_not1_saveexec_b32 s48, s48
; %bb.1184:
	v_mov_b32_e32 v5, 0x7f
	v_cmp_lt_u32_e32 vcc_lo, 0x7f800000, v8
	s_delay_alu instid0(VALU_DEP_2)
	v_cndmask_b32_e32 v5, 0x7c, v5, vcc_lo
; %bb.1185:
	s_or_b32 exec_lo, exec_lo, s48
	v_lshrrev_b32_e32 v4, 8, v4
	s_delay_alu instid0(VALU_DEP_1)
	v_and_or_b32 v4, 0x80, v4, v5
	global_store_b8 v[0:1], v4, off
.LBB175_1186:
	s_mov_b32 s49, 0
	s_mov_b32 s48, -1
.LBB175_1187:
	s_and_not1_b32 vcc_lo, exec_lo, s49
	s_cbranch_vccnz .LBB175_1195
; %bb.1188:
	v_cmp_lt_i16_e32 vcc_lo, 14, v3
	s_mov_b32 s49, -1
	s_cbranch_vccz .LBB175_1192
; %bb.1189:
	v_cmp_eq_u16_e32 vcc_lo, 15, v3
	s_mov_b32 s2, -1
	s_cbranch_vccz .LBB175_1191
; %bb.1190:
	s_mov_b32 s48, -1
	s_mov_b32 s2, 0
	global_store_b16 v[0:1], v2, off
.LBB175_1191:
	s_mov_b32 s49, 0
.LBB175_1192:
	s_delay_alu instid0(SALU_CYCLE_1)
	s_and_b32 vcc_lo, exec_lo, s49
	s_cbranch_vccz .LBB175_1195
; %bb.1193:
	v_cmp_eq_u16_e32 vcc_lo, 11, v3
	s_mov_b32 s2, -1
	s_cbranch_vccz .LBB175_1195
; %bb.1194:
	v_and_b32_e32 v4, 0x7fff, v2
	s_mov_b32 s2, 0
	s_mov_b32 s48, -1
	s_delay_alu instid0(VALU_DEP_1)
	v_cmp_ne_u16_e32 vcc_lo, 0, v4
	v_cndmask_b32_e64 v4, 0, 1, vcc_lo
	global_store_b8 v[0:1], v4, off
.LBB175_1195:
.LBB175_1196:
	s_and_not1_b32 vcc_lo, exec_lo, s48
	s_cbranch_vccnz .LBB175_1096
.LBB175_1197:
	v_add_nc_u32_e32 v7, 0x80, v7
	s_mov_b32 s50, -1
	s_branch .LBB175_1098
.LBB175_1198:
	s_mov_b32 s2, -1
.LBB175_1199:
                                        ; implicit-def: $vgpr6
.LBB175_1200:
	s_and_b32 vcc_lo, exec_lo, s7
	s_cbranch_vccz .LBB175_1206
; %bb.1201:
	v_cmp_eq_u16_e32 vcc_lo, 44, v4
	s_cbranch_vccz .LBB175_1205
; %bb.1202:
	global_load_u8 v5, v[2:3], off
	s_mov_b32 s2, 0
	s_mov_b32 s6, -1
	s_waitcnt vmcnt(0)
	v_lshlrev_b32_e32 v6, 23, v5
	v_cmp_ne_u32_e32 vcc_lo, 0xff, v5
	s_delay_alu instid0(VALU_DEP_2) | instskip(SKIP_1) | instid1(VALU_DEP_2)
	v_cndmask_b32_e32 v6, 0x7f800001, v6, vcc_lo
	v_cmp_ne_u32_e32 vcc_lo, 0, v5
	v_cndmask_b32_e32 v5, 0x400000, v6, vcc_lo
	s_delay_alu instid0(VALU_DEP_1) | instskip(SKIP_1) | instid1(VALU_DEP_2)
	v_add_nc_u32_e32 v6, 0x7fff, v5
	v_cmp_o_f32_e32 vcc_lo, v5, v5
	v_lshrrev_b32_e32 v6, 16, v6
	s_delay_alu instid0(VALU_DEP_1)
	v_cndmask_b32_e32 v6, 0x7fc0, v6, vcc_lo
	s_branch .LBB175_1206
.LBB175_1203:
	s_or_saveexec_b32 s50, s50
                                        ; implicit-def: $sgpr51
	s_delay_alu instid0(SALU_CYCLE_1)
	s_xor_b32 exec_lo, exec_lo, s50
	s_cbranch_execz .LBB175_1148
.LBB175_1204:
	v_add_f32_e64 v5, 0x46000000, |v6|
	s_and_not1_b32 s49, s49, exec_lo
	s_mov_b32 s51, 0
	s_delay_alu instid0(VALU_DEP_1) | instskip(NEXT) | instid1(VALU_DEP_1)
	v_and_b32_e32 v5, 0xff, v5
	v_cmp_ne_u32_e32 vcc_lo, 0, v5
	s_and_b32 s52, vcc_lo, exec_lo
	s_delay_alu instid0(SALU_CYCLE_1)
	s_or_b32 s49, s49, s52
	s_or_b32 exec_lo, exec_lo, s50
	v_mov_b32_e32 v8, s51
	s_and_saveexec_b32 s50, s49
	s_cbranch_execnz .LBB175_1149
	s_branch .LBB175_1150
.LBB175_1205:
	s_mov_b32 s2, -1
                                        ; implicit-def: $vgpr6
.LBB175_1206:
	s_mov_b32 s7, 0
.LBB175_1207:
	s_delay_alu instid0(SALU_CYCLE_1)
	s_and_b32 vcc_lo, exec_lo, s7
	s_cbranch_vccz .LBB175_1211
; %bb.1208:
	v_cmp_eq_u16_e32 vcc_lo, 29, v4
	s_cbranch_vccz .LBB175_1210
; %bb.1209:
	global_load_b64 v[5:6], v[2:3], off
	s_mov_b32 s2, 0
	s_mov_b32 s6, -1
	s_mov_b32 s7, 0
	s_waitcnt vmcnt(0)
	v_clz_i32_u32_e32 v7, v6
	s_delay_alu instid0(VALU_DEP_1) | instskip(NEXT) | instid1(VALU_DEP_1)
	v_min_u32_e32 v7, 32, v7
	v_lshlrev_b64 v[5:6], v7, v[5:6]
	s_delay_alu instid0(VALU_DEP_1) | instskip(NEXT) | instid1(VALU_DEP_1)
	v_min_u32_e32 v5, 1, v5
	v_or_b32_e32 v5, v6, v5
	v_sub_nc_u32_e32 v6, 32, v7
	s_delay_alu instid0(VALU_DEP_2) | instskip(NEXT) | instid1(VALU_DEP_1)
	v_cvt_f32_u32_e32 v5, v5
	v_ldexp_f32 v5, v5, v6
	s_delay_alu instid0(VALU_DEP_1) | instskip(NEXT) | instid1(VALU_DEP_1)
	v_bfe_u32 v6, v5, 16, 1
	v_add3_u32 v5, v5, v6, 0x7fff
	s_delay_alu instid0(VALU_DEP_1)
	v_lshrrev_b32_e32 v6, 16, v5
	s_branch .LBB175_1212
.LBB175_1210:
	s_mov_b32 s2, -1
                                        ; implicit-def: $vgpr6
.LBB175_1211:
	s_mov_b32 s7, 0
.LBB175_1212:
	s_delay_alu instid0(SALU_CYCLE_1)
	s_and_b32 vcc_lo, exec_lo, s7
	s_cbranch_vccz .LBB175_1230
; %bb.1213:
	v_cmp_gt_i16_e32 vcc_lo, 27, v4
	s_cbranch_vccnz .LBB175_1216
; %bb.1214:
	v_cmp_lt_i16_e32 vcc_lo, 27, v4
	s_cbranch_vccz .LBB175_1217
; %bb.1215:
	global_load_b32 v5, v[2:3], off
	s_mov_b32 s6, 0
	s_waitcnt vmcnt(0)
	v_cvt_f32_u32_e32 v5, v5
	s_delay_alu instid0(VALU_DEP_1) | instskip(NEXT) | instid1(VALU_DEP_1)
	v_bfe_u32 v6, v5, 16, 1
	v_add3_u32 v5, v5, v6, 0x7fff
	s_delay_alu instid0(VALU_DEP_1)
	v_lshrrev_b32_e32 v6, 16, v5
	s_branch .LBB175_1218
.LBB175_1216:
	s_mov_b32 s6, -1
                                        ; implicit-def: $vgpr6
	s_branch .LBB175_1221
.LBB175_1217:
	s_mov_b32 s6, -1
                                        ; implicit-def: $vgpr6
.LBB175_1218:
	s_delay_alu instid0(SALU_CYCLE_1)
	s_and_not1_b32 vcc_lo, exec_lo, s6
	s_cbranch_vccnz .LBB175_1220
; %bb.1219:
	global_load_u16 v5, v[2:3], off
	s_waitcnt vmcnt(0)
	v_cvt_f32_u32_e32 v5, v5
	s_delay_alu instid0(VALU_DEP_1) | instskip(NEXT) | instid1(VALU_DEP_1)
	v_bfe_u32 v6, v5, 16, 1
	v_add3_u32 v5, v5, v6, 0x7fff
	s_delay_alu instid0(VALU_DEP_1)
	v_lshrrev_b32_e32 v6, 16, v5
.LBB175_1220:
	s_mov_b32 s6, 0
.LBB175_1221:
	s_delay_alu instid0(SALU_CYCLE_1)
	s_and_not1_b32 vcc_lo, exec_lo, s6
	s_cbranch_vccnz .LBB175_1229
; %bb.1222:
	global_load_u8 v5, v[2:3], off
	s_mov_b32 s6, 0
	s_mov_b32 s12, exec_lo
                                        ; implicit-def: $sgpr7
	s_waitcnt vmcnt(0)
	v_cmpx_lt_i16_e32 0x7f, v5
	s_xor_b32 s12, exec_lo, s12
	s_cbranch_execz .LBB175_1243
; %bb.1223:
	s_mov_b32 s6, -1
	s_mov_b32 s13, exec_lo
                                        ; implicit-def: $sgpr7
	v_cmpx_eq_u16_e32 0x80, v5
; %bb.1224:
	s_mov_b32 s7, 0x7f800001
	s_xor_b32 s6, exec_lo, -1
; %bb.1225:
	s_or_b32 exec_lo, exec_lo, s13
	s_delay_alu instid0(SALU_CYCLE_1)
	s_and_b32 s6, s6, exec_lo
	s_or_saveexec_b32 s12, s12
	v_mov_b32_e32 v6, s7
	s_xor_b32 exec_lo, exec_lo, s12
	s_cbranch_execnz .LBB175_1244
.LBB175_1226:
	s_or_b32 exec_lo, exec_lo, s12
	s_and_saveexec_b32 s7, s6
	s_cbranch_execz .LBB175_1228
.LBB175_1227:
	v_and_b32_e32 v6, 0xffff, v5
	v_lshlrev_b32_e32 v5, 24, v5
	s_delay_alu instid0(VALU_DEP_2) | instskip(NEXT) | instid1(VALU_DEP_2)
	v_and_b32_e32 v7, 7, v6
	v_and_b32_e32 v5, 0x80000000, v5
	s_delay_alu instid0(VALU_DEP_2) | instskip(NEXT) | instid1(VALU_DEP_1)
	v_clz_i32_u32_e32 v8, v7
	v_min_u32_e32 v8, 32, v8
	s_delay_alu instid0(VALU_DEP_1) | instskip(SKIP_1) | instid1(VALU_DEP_2)
	v_subrev_nc_u32_e32 v9, 28, v8
	v_sub_nc_u32_e32 v8, 29, v8
	v_lshlrev_b32_e32 v9, v9, v6
	v_bfe_u32 v6, v6, 3, 4
	s_delay_alu instid0(VALU_DEP_2) | instskip(NEXT) | instid1(VALU_DEP_2)
	v_and_b32_e32 v9, 7, v9
	v_cmp_eq_u32_e32 vcc_lo, 0, v6
	s_delay_alu instid0(VALU_DEP_2) | instskip(NEXT) | instid1(VALU_DEP_1)
	v_dual_cndmask_b32 v6, v6, v8 :: v_dual_cndmask_b32 v7, v7, v9
	v_lshl_add_u32 v6, v6, 23, 0x3b800000
	s_delay_alu instid0(VALU_DEP_2) | instskip(NEXT) | instid1(VALU_DEP_1)
	v_lshlrev_b32_e32 v7, 20, v7
	v_or3_b32 v6, v5, v6, v7
.LBB175_1228:
	s_or_b32 exec_lo, exec_lo, s7
	s_delay_alu instid0(VALU_DEP_1) | instskip(SKIP_1) | instid1(VALU_DEP_2)
	v_bfe_u32 v5, v6, 16, 1
	v_cmp_o_f32_e32 vcc_lo, v6, v6
	v_add3_u32 v5, v6, v5, 0x7fff
	s_delay_alu instid0(VALU_DEP_1) | instskip(NEXT) | instid1(VALU_DEP_1)
	v_lshrrev_b32_e32 v5, 16, v5
	v_cndmask_b32_e32 v6, 0x7fc0, v5, vcc_lo
.LBB175_1229:
	s_mov_b32 s6, -1
.LBB175_1230:
	s_mov_b32 s7, 0
.LBB175_1231:
	s_delay_alu instid0(SALU_CYCLE_1)
	s_and_b32 vcc_lo, exec_lo, s7
	s_cbranch_vccz .LBB175_1264
; %bb.1232:
	v_cmp_lt_i16_e32 vcc_lo, 22, v4
	s_cbranch_vccz .LBB175_1242
; %bb.1233:
	v_cmp_gt_i16_e32 vcc_lo, 24, v4
	s_cbranch_vccnz .LBB175_1245
; %bb.1234:
	v_cmp_lt_i16_e32 vcc_lo, 24, v4
	s_cbranch_vccz .LBB175_1246
; %bb.1235:
	global_load_u8 v5, v[2:3], off
	s_mov_b32 s7, exec_lo
                                        ; implicit-def: $sgpr6
	s_waitcnt vmcnt(0)
	v_cmpx_lt_i16_e32 0x7f, v5
	s_xor_b32 s7, exec_lo, s7
	s_cbranch_execz .LBB175_1258
; %bb.1236:
	s_mov_b32 s3, -1
	s_mov_b32 s12, exec_lo
                                        ; implicit-def: $sgpr6
	v_cmpx_eq_u16_e32 0x80, v5
; %bb.1237:
	s_mov_b32 s6, 0x7f800001
	s_xor_b32 s3, exec_lo, -1
; %bb.1238:
	s_or_b32 exec_lo, exec_lo, s12
	s_delay_alu instid0(SALU_CYCLE_1)
	s_and_b32 s3, s3, exec_lo
	s_or_saveexec_b32 s7, s7
	v_mov_b32_e32 v6, s6
	s_xor_b32 exec_lo, exec_lo, s7
	s_cbranch_execnz .LBB175_1259
.LBB175_1239:
	s_or_b32 exec_lo, exec_lo, s7
	s_and_saveexec_b32 s6, s3
	s_cbranch_execz .LBB175_1241
.LBB175_1240:
	v_and_b32_e32 v6, 0xffff, v5
	v_lshlrev_b32_e32 v5, 24, v5
	s_delay_alu instid0(VALU_DEP_2) | instskip(NEXT) | instid1(VALU_DEP_2)
	v_and_b32_e32 v7, 3, v6
	v_and_b32_e32 v5, 0x80000000, v5
	s_delay_alu instid0(VALU_DEP_2) | instskip(NEXT) | instid1(VALU_DEP_1)
	v_clz_i32_u32_e32 v8, v7
	v_min_u32_e32 v8, 32, v8
	s_delay_alu instid0(VALU_DEP_1) | instskip(SKIP_1) | instid1(VALU_DEP_2)
	v_subrev_nc_u32_e32 v9, 29, v8
	v_sub_nc_u32_e32 v8, 30, v8
	v_lshlrev_b32_e32 v9, v9, v6
	v_bfe_u32 v6, v6, 2, 5
	s_delay_alu instid0(VALU_DEP_2) | instskip(NEXT) | instid1(VALU_DEP_2)
	v_and_b32_e32 v9, 3, v9
	v_cmp_eq_u32_e32 vcc_lo, 0, v6
	s_delay_alu instid0(VALU_DEP_2) | instskip(NEXT) | instid1(VALU_DEP_1)
	v_dual_cndmask_b32 v6, v6, v8 :: v_dual_cndmask_b32 v7, v7, v9
	v_lshl_add_u32 v6, v6, 23, 0x37800000
	s_delay_alu instid0(VALU_DEP_2) | instskip(NEXT) | instid1(VALU_DEP_1)
	v_lshlrev_b32_e32 v7, 21, v7
	v_or3_b32 v6, v5, v6, v7
.LBB175_1241:
	s_or_b32 exec_lo, exec_lo, s6
	s_delay_alu instid0(VALU_DEP_1) | instskip(SKIP_2) | instid1(VALU_DEP_2)
	v_bfe_u32 v5, v6, 16, 1
	v_cmp_o_f32_e32 vcc_lo, v6, v6
	s_mov_b32 s3, 0
	v_add3_u32 v5, v6, v5, 0x7fff
	s_delay_alu instid0(VALU_DEP_1) | instskip(NEXT) | instid1(VALU_DEP_1)
	v_lshrrev_b32_e32 v5, 16, v5
	v_cndmask_b32_e32 v6, 0x7fc0, v5, vcc_lo
	s_branch .LBB175_1247
.LBB175_1242:
	s_mov_b32 s3, -1
                                        ; implicit-def: $vgpr6
	s_branch .LBB175_1253
.LBB175_1243:
	s_or_saveexec_b32 s12, s12
	v_mov_b32_e32 v6, s7
	s_xor_b32 exec_lo, exec_lo, s12
	s_cbranch_execz .LBB175_1226
.LBB175_1244:
	v_cmp_ne_u16_e32 vcc_lo, 0, v5
	v_mov_b32_e32 v6, 0
	s_and_not1_b32 s6, s6, exec_lo
	s_and_b32 s7, vcc_lo, exec_lo
	s_delay_alu instid0(SALU_CYCLE_1)
	s_or_b32 s6, s6, s7
	s_or_b32 exec_lo, exec_lo, s12
	s_and_saveexec_b32 s7, s6
	s_cbranch_execnz .LBB175_1227
	s_branch .LBB175_1228
.LBB175_1245:
	s_mov_b32 s3, -1
                                        ; implicit-def: $vgpr6
	s_branch .LBB175_1250
.LBB175_1246:
	s_mov_b32 s3, -1
                                        ; implicit-def: $vgpr6
.LBB175_1247:
	s_delay_alu instid0(SALU_CYCLE_1)
	s_and_b32 vcc_lo, exec_lo, s3
	s_cbranch_vccz .LBB175_1249
; %bb.1248:
	global_load_u8 v5, v[2:3], off
	s_waitcnt vmcnt(0)
	v_lshlrev_b32_e32 v5, 24, v5
	s_delay_alu instid0(VALU_DEP_1) | instskip(NEXT) | instid1(VALU_DEP_1)
	v_and_b32_e32 v6, 0x7f000000, v5
	v_clz_i32_u32_e32 v7, v6
	v_add_nc_u32_e32 v9, 0x1000000, v6
	v_cmp_ne_u32_e32 vcc_lo, 0, v6
	s_delay_alu instid0(VALU_DEP_3) | instskip(NEXT) | instid1(VALU_DEP_1)
	v_min_u32_e32 v7, 32, v7
	v_sub_nc_u32_e64 v7, v7, 4 clamp
	s_delay_alu instid0(VALU_DEP_1) | instskip(SKIP_1) | instid1(VALU_DEP_2)
	v_lshlrev_b32_e32 v8, v7, v6
	v_lshlrev_b32_e32 v7, 23, v7
	v_lshrrev_b32_e32 v8, 4, v8
	s_delay_alu instid0(VALU_DEP_1) | instskip(SKIP_1) | instid1(VALU_DEP_2)
	v_sub_nc_u32_e32 v7, v8, v7
	v_ashrrev_i32_e32 v8, 8, v9
	v_add_nc_u32_e32 v7, 0x3c000000, v7
	s_delay_alu instid0(VALU_DEP_1) | instskip(NEXT) | instid1(VALU_DEP_1)
	v_and_or_b32 v7, 0x7f800000, v8, v7
	v_cndmask_b32_e32 v6, 0, v7, vcc_lo
	s_delay_alu instid0(VALU_DEP_1) | instskip(SKIP_1) | instid1(VALU_DEP_2)
	v_and_or_b32 v5, 0x80000000, v5, v6
	v_bfe_u32 v6, v6, 16, 1
	v_cmp_o_f32_e32 vcc_lo, v5, v5
	s_delay_alu instid0(VALU_DEP_2) | instskip(NEXT) | instid1(VALU_DEP_1)
	v_add3_u32 v6, v5, v6, 0x7fff
	v_lshrrev_b32_e32 v6, 16, v6
	s_delay_alu instid0(VALU_DEP_1)
	v_cndmask_b32_e32 v6, 0x7fc0, v6, vcc_lo
.LBB175_1249:
	s_mov_b32 s3, 0
.LBB175_1250:
	s_delay_alu instid0(SALU_CYCLE_1)
	s_and_not1_b32 vcc_lo, exec_lo, s3
	s_cbranch_vccnz .LBB175_1252
; %bb.1251:
	global_load_u8 v5, v[2:3], off
	s_waitcnt vmcnt(0)
	v_lshlrev_b32_e32 v6, 25, v5
	v_lshlrev_b16 v5, 8, v5
	s_delay_alu instid0(VALU_DEP_2) | instskip(NEXT) | instid1(VALU_DEP_2)
	v_lshrrev_b32_e32 v7, 4, v6
	v_and_or_b32 v8, 0x7f00, v5, 0.5
	v_bfe_i32 v5, v5, 0, 16
	s_delay_alu instid0(VALU_DEP_3) | instskip(NEXT) | instid1(VALU_DEP_1)
	v_or_b32_e32 v7, 0x70000000, v7
	v_dual_add_f32 v8, -0.5, v8 :: v_dual_mul_f32 v7, 0x7800000, v7
	v_cmp_gt_u32_e32 vcc_lo, 0x8000000, v6
	s_delay_alu instid0(VALU_DEP_2) | instskip(NEXT) | instid1(VALU_DEP_1)
	v_cndmask_b32_e32 v6, v7, v8, vcc_lo
	v_and_or_b32 v5, 0x80000000, v5, v6
	v_bfe_u32 v6, v6, 16, 1
	s_delay_alu instid0(VALU_DEP_2) | instskip(NEXT) | instid1(VALU_DEP_2)
	v_cmp_o_f32_e32 vcc_lo, v5, v5
	v_add3_u32 v6, v5, v6, 0x7fff
	s_delay_alu instid0(VALU_DEP_1) | instskip(NEXT) | instid1(VALU_DEP_1)
	v_lshrrev_b32_e32 v6, 16, v6
	v_cndmask_b32_e32 v6, 0x7fc0, v6, vcc_lo
.LBB175_1252:
	s_mov_b32 s3, 0
	s_mov_b32 s6, -1
.LBB175_1253:
	s_and_not1_b32 vcc_lo, exec_lo, s3
	s_mov_b32 s3, 0
	s_cbranch_vccnz .LBB175_1264
; %bb.1254:
	v_cmp_lt_i16_e32 vcc_lo, 14, v4
	s_cbranch_vccz .LBB175_1257
; %bb.1255:
	v_cmp_eq_u16_e32 vcc_lo, 15, v4
	s_cbranch_vccz .LBB175_1260
; %bb.1256:
	global_load_u16 v6, v[2:3], off
	s_mov_b32 s2, 0
	s_mov_b32 s6, -1
	s_branch .LBB175_1262
.LBB175_1257:
	s_mov_b32 s3, -1
	s_branch .LBB175_1261
.LBB175_1258:
	s_or_saveexec_b32 s7, s7
	v_mov_b32_e32 v6, s6
	s_xor_b32 exec_lo, exec_lo, s7
	s_cbranch_execz .LBB175_1239
.LBB175_1259:
	v_cmp_ne_u16_e32 vcc_lo, 0, v5
	v_mov_b32_e32 v6, 0
	s_and_not1_b32 s3, s3, exec_lo
	s_and_b32 s6, vcc_lo, exec_lo
	s_delay_alu instid0(SALU_CYCLE_1)
	s_or_b32 s3, s3, s6
	s_or_b32 exec_lo, exec_lo, s7
	s_and_saveexec_b32 s6, s3
	s_cbranch_execnz .LBB175_1240
	s_branch .LBB175_1241
.LBB175_1260:
	s_mov_b32 s2, -1
.LBB175_1261:
                                        ; implicit-def: $vgpr6
.LBB175_1262:
	s_and_b32 vcc_lo, exec_lo, s3
	s_mov_b32 s3, 0
	s_cbranch_vccz .LBB175_1264
; %bb.1263:
	v_cmp_ne_u16_e32 vcc_lo, 11, v4
	s_and_not1_b32 s2, s2, exec_lo
	s_mov_b32 s3, -1
                                        ; implicit-def: $vgpr6
	s_and_b32 s7, vcc_lo, exec_lo
	s_delay_alu instid0(SALU_CYCLE_1)
	s_or_b32 s2, s2, s7
.LBB175_1264:
	s_mov_b32 s7, 0
.LBB175_1265:
	s_and_b32 s50, s6, exec_lo
	s_and_b32 s51, s7, exec_lo
	s_and_not1_b32 s6, s47, exec_lo
	s_and_b32 s7, s2, exec_lo
	s_and_b32 s2, s3, exec_lo
	s_or_b32 s52, s6, s7
.LBB175_1266:
	s_or_b32 exec_lo, exec_lo, s36
	s_delay_alu instid0(SALU_CYCLE_1)
	s_and_not1_b32 s6, s47, exec_lo
	s_and_b32 s7, s52, exec_lo
	s_and_b32 s50, s50, exec_lo
	;; [unrolled: 1-line block ×4, first 2 shown]
	s_or_b32 s47, s6, s7
.LBB175_1267:
	s_or_b32 exec_lo, exec_lo, s46
	s_delay_alu instid0(SALU_CYCLE_1)
	s_and_not1_b32 s6, s43, exec_lo
	s_and_b32 s7, s48, exec_lo
	s_and_not1_b32 s12, s44, exec_lo
	s_and_b32 s13, s49, exec_lo
	s_or_b32 s43, s6, s7
	s_and_not1_b32 s6, s42, exec_lo
	s_and_b32 s7, s47, exec_lo
	s_or_b32 s44, s12, s13
	s_and_b32 s46, s50, exec_lo
	s_and_b32 s3, s3, exec_lo
	;; [unrolled: 1-line block ×3, first 2 shown]
	s_or_b32 s42, s6, s7
.LBB175_1268:
	s_or_b32 exec_lo, exec_lo, s45
	s_delay_alu instid0(SALU_CYCLE_1)
	s_and_not1_b32 s6, s38, exec_lo
	s_and_b32 s7, s43, exec_lo
	s_and_not1_b32 s12, s39, exec_lo
	s_and_b32 s13, s44, exec_lo
	s_or_b32 s38, s6, s7
	s_and_b32 s44, s3, exec_lo
	s_and_not1_b32 s3, s40, exec_lo
	s_and_b32 s6, s42, exec_lo
	s_or_b32 s39, s12, s13
	s_and_b32 s43, s46, exec_lo
	s_and_b32 s42, s2, exec_lo
	s_or_b32 s40, s3, s6
.LBB175_1269:
	s_or_b32 exec_lo, exec_lo, s41
	s_mov_b32 s3, 0
	s_and_saveexec_b32 s2, s40
	s_cbranch_execnz .LBB175_1281
; %bb.1270:
	s_or_b32 exec_lo, exec_lo, s2
	s_and_saveexec_b32 s2, s42
	s_delay_alu instid0(SALU_CYCLE_1)
	s_xor_b32 s2, exec_lo, s2
	s_cbranch_execz .LBB175_1272
.LBB175_1271:
	s_waitcnt vmcnt(0)
	global_load_u8 v5, v[2:3], off
	s_or_b32 s43, s43, exec_lo
	s_waitcnt vmcnt(0)
	v_cmp_ne_u16_e32 vcc_lo, 0, v5
	v_cndmask_b32_e64 v5, 0, 1.0, vcc_lo
	s_delay_alu instid0(VALU_DEP_1)
	v_lshrrev_b32_e32 v6, 16, v5
.LBB175_1272:
	s_or_b32 exec_lo, exec_lo, s2
	s_and_saveexec_b32 s2, s44
	s_cbranch_execz .LBB175_1320
; %bb.1273:
	s_waitcnt vmcnt(0)
	v_cmp_gt_i16_e32 vcc_lo, 5, v4
	s_cbranch_vccnz .LBB175_1278
; %bb.1274:
	v_cmp_gt_i16_e32 vcc_lo, 8, v4
	s_cbranch_vccnz .LBB175_1279
; %bb.1275:
	;; [unrolled: 3-line block ×3, first 2 shown]
	v_cmp_lt_i16_e32 vcc_lo, 9, v4
	s_cbranch_vccz .LBB175_1283
; %bb.1277:
	global_load_b64 v[5:6], v[2:3], off
	s_mov_b32 s6, 0
	s_waitcnt vmcnt(0)
	v_cvt_f32_f64_e32 v5, v[5:6]
	s_delay_alu instid0(VALU_DEP_1) | instskip(SKIP_1) | instid1(VALU_DEP_2)
	v_bfe_u32 v6, v5, 16, 1
	v_cmp_o_f32_e32 vcc_lo, v5, v5
	v_add3_u32 v6, v5, v6, 0x7fff
	s_delay_alu instid0(VALU_DEP_1) | instskip(NEXT) | instid1(VALU_DEP_1)
	v_lshrrev_b32_e32 v6, 16, v6
	v_cndmask_b32_e32 v6, 0x7fc0, v6, vcc_lo
	s_branch .LBB175_1284
.LBB175_1278:
                                        ; implicit-def: $vgpr6
	s_branch .LBB175_1301
.LBB175_1279:
                                        ; implicit-def: $vgpr6
	s_branch .LBB175_1290
.LBB175_1280:
	s_mov_b32 s6, -1
                                        ; implicit-def: $vgpr6
	s_branch .LBB175_1287
.LBB175_1281:
	s_cbranch_execnz .LBB175_1332
; %bb.1282:
	s_mov_b32 s3, exec_lo
	s_and_not1_b32 s42, s42, exec_lo
                                        ; implicit-def: $vgpr6
	s_or_b32 exec_lo, exec_lo, s2
	s_and_saveexec_b32 s2, s42
	s_delay_alu instid0(SALU_CYCLE_1)
	s_xor_b32 s2, exec_lo, s2
	s_cbranch_execnz .LBB175_1271
	s_branch .LBB175_1272
.LBB175_1283:
	s_mov_b32 s6, -1
                                        ; implicit-def: $vgpr6
.LBB175_1284:
	s_delay_alu instid0(SALU_CYCLE_1)
	s_and_not1_b32 vcc_lo, exec_lo, s6
	s_cbranch_vccnz .LBB175_1286
; %bb.1285:
	global_load_b32 v5, v[2:3], off
	s_waitcnt vmcnt(0)
	v_bfe_u32 v6, v5, 16, 1
	v_cmp_o_f32_e32 vcc_lo, v5, v5
	s_delay_alu instid0(VALU_DEP_2) | instskip(NEXT) | instid1(VALU_DEP_1)
	v_add3_u32 v6, v5, v6, 0x7fff
	v_lshrrev_b32_e32 v6, 16, v6
	s_delay_alu instid0(VALU_DEP_1)
	v_cndmask_b32_e32 v6, 0x7fc0, v6, vcc_lo
.LBB175_1286:
	s_mov_b32 s6, 0
.LBB175_1287:
	s_delay_alu instid0(SALU_CYCLE_1)
	s_and_not1_b32 vcc_lo, exec_lo, s6
	s_cbranch_vccnz .LBB175_1289
; %bb.1288:
	global_load_b32 v5, v[2:3], off
	s_waitcnt vmcnt(0)
	v_cvt_f32_f16_e32 v6, v5
	v_cmp_o_f16_e32 vcc_lo, v5, v5
	s_delay_alu instid0(VALU_DEP_2) | instskip(NEXT) | instid1(VALU_DEP_1)
	v_bfe_u32 v7, v6, 16, 1
	v_add3_u32 v6, v6, v7, 0x7fff
	s_delay_alu instid0(VALU_DEP_1) | instskip(NEXT) | instid1(VALU_DEP_1)
	v_lshrrev_b32_e32 v6, 16, v6
	v_cndmask_b32_e32 v6, 0x7fc0, v6, vcc_lo
.LBB175_1289:
	s_cbranch_execnz .LBB175_1300
.LBB175_1290:
	v_cmp_gt_i16_e32 vcc_lo, 6, v4
	s_cbranch_vccnz .LBB175_1293
; %bb.1291:
	v_cmp_lt_i16_e32 vcc_lo, 6, v4
	s_cbranch_vccz .LBB175_1294
; %bb.1292:
	global_load_b64 v[5:6], v[2:3], off
	s_mov_b32 s6, 0
	s_waitcnt vmcnt(0)
	v_cvt_f32_f64_e32 v5, v[5:6]
	s_delay_alu instid0(VALU_DEP_1) | instskip(SKIP_1) | instid1(VALU_DEP_2)
	v_bfe_u32 v6, v5, 16, 1
	v_cmp_o_f32_e32 vcc_lo, v5, v5
	v_add3_u32 v6, v5, v6, 0x7fff
	s_delay_alu instid0(VALU_DEP_1) | instskip(NEXT) | instid1(VALU_DEP_1)
	v_lshrrev_b32_e32 v6, 16, v6
	v_cndmask_b32_e32 v6, 0x7fc0, v6, vcc_lo
	s_branch .LBB175_1295
.LBB175_1293:
	s_mov_b32 s6, -1
                                        ; implicit-def: $vgpr6
	s_branch .LBB175_1298
.LBB175_1294:
	s_mov_b32 s6, -1
                                        ; implicit-def: $vgpr6
.LBB175_1295:
	s_delay_alu instid0(SALU_CYCLE_1)
	s_and_not1_b32 vcc_lo, exec_lo, s6
	s_cbranch_vccnz .LBB175_1297
; %bb.1296:
	global_load_b32 v5, v[2:3], off
	s_waitcnt vmcnt(0)
	v_bfe_u32 v6, v5, 16, 1
	v_cmp_o_f32_e32 vcc_lo, v5, v5
	s_delay_alu instid0(VALU_DEP_2) | instskip(NEXT) | instid1(VALU_DEP_1)
	v_add3_u32 v6, v5, v6, 0x7fff
	v_lshrrev_b32_e32 v6, 16, v6
	s_delay_alu instid0(VALU_DEP_1)
	v_cndmask_b32_e32 v6, 0x7fc0, v6, vcc_lo
.LBB175_1297:
	s_mov_b32 s6, 0
.LBB175_1298:
	s_delay_alu instid0(SALU_CYCLE_1)
	s_and_not1_b32 vcc_lo, exec_lo, s6
	s_cbranch_vccnz .LBB175_1300
; %bb.1299:
	global_load_u16 v5, v[2:3], off
	s_waitcnt vmcnt(0)
	v_cvt_f32_f16_e32 v6, v5
	v_cmp_o_f16_e32 vcc_lo, v5, v5
	s_delay_alu instid0(VALU_DEP_2) | instskip(NEXT) | instid1(VALU_DEP_1)
	v_bfe_u32 v7, v6, 16, 1
	v_add3_u32 v6, v6, v7, 0x7fff
	s_delay_alu instid0(VALU_DEP_1) | instskip(NEXT) | instid1(VALU_DEP_1)
	v_lshrrev_b32_e32 v6, 16, v6
	v_cndmask_b32_e32 v6, 0x7fc0, v6, vcc_lo
.LBB175_1300:
	s_cbranch_execnz .LBB175_1319
.LBB175_1301:
	v_cmp_gt_i16_e32 vcc_lo, 2, v4
	s_cbranch_vccnz .LBB175_1305
; %bb.1302:
	v_cmp_gt_i16_e32 vcc_lo, 3, v4
	s_cbranch_vccnz .LBB175_1306
; %bb.1303:
	v_cmp_lt_i16_e32 vcc_lo, 3, v4
	s_cbranch_vccz .LBB175_1307
; %bb.1304:
	global_load_b64 v[5:6], v[2:3], off
	s_mov_b32 s6, 0
	s_waitcnt vmcnt(0)
	v_xor_b32_e32 v7, v5, v6
	v_cls_i32_e32 v8, v6
	s_delay_alu instid0(VALU_DEP_2) | instskip(NEXT) | instid1(VALU_DEP_2)
	v_ashrrev_i32_e32 v7, 31, v7
	v_add_nc_u32_e32 v8, -1, v8
	s_delay_alu instid0(VALU_DEP_2) | instskip(NEXT) | instid1(VALU_DEP_1)
	v_add_nc_u32_e32 v7, 32, v7
	v_min_u32_e32 v7, v8, v7
	s_delay_alu instid0(VALU_DEP_1) | instskip(NEXT) | instid1(VALU_DEP_1)
	v_lshlrev_b64 v[5:6], v7, v[5:6]
	v_min_u32_e32 v5, 1, v5
	s_delay_alu instid0(VALU_DEP_1) | instskip(SKIP_1) | instid1(VALU_DEP_2)
	v_or_b32_e32 v5, v6, v5
	v_sub_nc_u32_e32 v6, 32, v7
	v_cvt_f32_i32_e32 v5, v5
	s_delay_alu instid0(VALU_DEP_1) | instskip(NEXT) | instid1(VALU_DEP_1)
	v_ldexp_f32 v5, v5, v6
	v_bfe_u32 v6, v5, 16, 1
	s_delay_alu instid0(VALU_DEP_1) | instskip(NEXT) | instid1(VALU_DEP_1)
	v_add3_u32 v5, v5, v6, 0x7fff
	v_lshrrev_b32_e32 v6, 16, v5
	s_branch .LBB175_1308
.LBB175_1305:
                                        ; implicit-def: $vgpr6
	s_branch .LBB175_1314
.LBB175_1306:
	s_mov_b32 s6, -1
                                        ; implicit-def: $vgpr6
	s_branch .LBB175_1311
.LBB175_1307:
	s_mov_b32 s6, -1
                                        ; implicit-def: $vgpr6
.LBB175_1308:
	s_delay_alu instid0(SALU_CYCLE_1)
	s_and_not1_b32 vcc_lo, exec_lo, s6
	s_cbranch_vccnz .LBB175_1310
; %bb.1309:
	global_load_b32 v5, v[2:3], off
	s_waitcnt vmcnt(0)
	v_cvt_f32_i32_e32 v5, v5
	s_delay_alu instid0(VALU_DEP_1) | instskip(NEXT) | instid1(VALU_DEP_1)
	v_bfe_u32 v6, v5, 16, 1
	v_add3_u32 v5, v5, v6, 0x7fff
	s_delay_alu instid0(VALU_DEP_1)
	v_lshrrev_b32_e32 v6, 16, v5
.LBB175_1310:
	s_mov_b32 s6, 0
.LBB175_1311:
	s_delay_alu instid0(SALU_CYCLE_1)
	s_and_not1_b32 vcc_lo, exec_lo, s6
	s_cbranch_vccnz .LBB175_1313
; %bb.1312:
	global_load_i16 v5, v[2:3], off
	s_waitcnt vmcnt(0)
	v_cvt_f32_i32_e32 v5, v5
	s_delay_alu instid0(VALU_DEP_1) | instskip(NEXT) | instid1(VALU_DEP_1)
	v_bfe_u32 v6, v5, 16, 1
	v_add3_u32 v5, v5, v6, 0x7fff
	s_delay_alu instid0(VALU_DEP_1)
	v_lshrrev_b32_e32 v6, 16, v5
.LBB175_1313:
	s_cbranch_execnz .LBB175_1319
.LBB175_1314:
	v_cmp_lt_i16_e32 vcc_lo, 0, v4
	s_mov_b32 s6, 0
	s_cbranch_vccz .LBB175_1316
; %bb.1315:
	global_load_i8 v4, v[2:3], off
	s_waitcnt vmcnt(0)
	v_cvt_f32_i32_e32 v4, v4
	s_delay_alu instid0(VALU_DEP_1) | instskip(NEXT) | instid1(VALU_DEP_1)
	v_bfe_u32 v5, v4, 16, 1
	v_add3_u32 v4, v4, v5, 0x7fff
	s_delay_alu instid0(VALU_DEP_1)
	v_lshrrev_b32_e32 v6, 16, v4
	s_branch .LBB175_1317
.LBB175_1316:
	s_mov_b32 s6, -1
                                        ; implicit-def: $vgpr6
.LBB175_1317:
	s_delay_alu instid0(SALU_CYCLE_1)
	s_and_not1_b32 vcc_lo, exec_lo, s6
	s_cbranch_vccnz .LBB175_1319
; %bb.1318:
	global_load_u8 v2, v[2:3], off
	s_waitcnt vmcnt(0)
	v_cvt_f32_ubyte0_e32 v2, v2
	s_delay_alu instid0(VALU_DEP_1) | instskip(NEXT) | instid1(VALU_DEP_1)
	v_bfe_u32 v3, v2, 16, 1
	v_add3_u32 v2, v2, v3, 0x7fff
	s_delay_alu instid0(VALU_DEP_1)
	v_lshrrev_b32_e32 v6, 16, v2
.LBB175_1319:
	s_or_b32 s43, s43, exec_lo
.LBB175_1320:
	s_or_b32 exec_lo, exec_lo, s2
	s_mov_b32 s6, 0
	s_mov_b32 s12, 0
	;; [unrolled: 1-line block ×3, first 2 shown]
                                        ; implicit-def: $vgpr7
                                        ; implicit-def: $vgpr2_vgpr3
                                        ; implicit-def: $vgpr4
	s_and_saveexec_b32 s2, s43
	s_cbranch_execz .LBB175_1396
; %bb.1321:
	v_and_b32_e64 v7, 0xff, s31
	v_add_co_u32 v2, s6, s8, v1
	s_waitcnt vmcnt(0)
	v_add_co_ci_u32_e64 v3, null, s9, 0, s6
	s_delay_alu instid0(VALU_DEP_3)
	v_cmp_gt_i16_e32 vcc_lo, 11, v7
	s_cbranch_vccnz .LBB175_1328
; %bb.1322:
	v_cmp_lt_i16_e32 vcc_lo, 25, v7
	s_mov_b32 s8, 0
	s_cbranch_vccz .LBB175_1329
; %bb.1323:
	v_cmp_lt_i16_e32 vcc_lo, 28, v7
	s_cbranch_vccz .LBB175_1330
; %bb.1324:
	v_cmp_lt_i16_e32 vcc_lo, 43, v7
	;; [unrolled: 3-line block ×3, first 2 shown]
	s_cbranch_vccz .LBB175_1334
; %bb.1326:
	v_cmp_eq_u16_e32 vcc_lo, 46, v7
	s_mov_b32 s9, 0
	s_cbranch_vccz .LBB175_1335
; %bb.1327:
	global_load_b32 v1, v[2:3], off
	s_mov_b32 s6, 0
	s_mov_b32 s7, -1
	s_waitcnt vmcnt(0)
	v_lshlrev_b32_e32 v1, 16, v1
	s_delay_alu instid0(VALU_DEP_1) | instskip(NEXT) | instid1(VALU_DEP_1)
	v_trunc_f32_e32 v1, v1
	v_mul_f32_e64 v4, 0x2f800000, |v1|
	s_delay_alu instid0(VALU_DEP_1) | instskip(NEXT) | instid1(VALU_DEP_1)
	v_floor_f32_e32 v4, v4
	v_fma_f32 v4, 0xcf800000, v4, |v1|
	v_ashrrev_i32_e32 v1, 31, v1
	s_delay_alu instid0(VALU_DEP_2) | instskip(NEXT) | instid1(VALU_DEP_1)
	v_cvt_u32_f32_e32 v4, v4
	v_xor_b32_e32 v4, v4, v1
	s_delay_alu instid0(VALU_DEP_1)
	v_sub_nc_u32_e32 v4, v4, v1
	s_branch .LBB175_1337
.LBB175_1328:
	s_mov_b32 s9, -1
	s_mov_b32 s8, 0
	s_mov_b32 s6, s39
                                        ; implicit-def: $vgpr4
	s_branch .LBB175_1395
.LBB175_1329:
	s_mov_b32 s6, s39
                                        ; implicit-def: $vgpr4
	s_cbranch_execnz .LBB175_1364
	s_branch .LBB175_1394
.LBB175_1330:
	s_mov_b32 s9, -1
	s_mov_b32 s6, s39
                                        ; implicit-def: $vgpr4
	s_branch .LBB175_1347
.LBB175_1331:
	s_mov_b32 s9, -1
	s_mov_b32 s6, s39
                                        ; implicit-def: $vgpr4
	s_branch .LBB175_1342
.LBB175_1332:
	s_trap 2
	s_sendmsg_rtn_b32 s0, sendmsg(MSG_RTN_GET_DOORBELL)
	s_mov_b32 ttmp2, m0
	s_waitcnt lgkmcnt(0)
	s_and_b32 s0, s0, 0x3ff
	s_delay_alu instid0(SALU_CYCLE_1) | instskip(NEXT) | instid1(SALU_CYCLE_1)
	s_bitset1_b32 s0, 10
	s_mov_b32 m0, s0
	s_sendmsg sendmsg(MSG_INTERRUPT)
	s_mov_b32 m0, ttmp2
.LBB175_1333:                           ; =>This Inner Loop Header: Depth=1
	s_sethalt 5
	s_branch .LBB175_1333
.LBB175_1334:
	s_mov_b32 s9, -1
	s_mov_b32 s6, s39
	s_branch .LBB175_1336
.LBB175_1335:
	s_mov_b32 s6, -1
.LBB175_1336:
                                        ; implicit-def: $vgpr4
.LBB175_1337:
	s_and_b32 vcc_lo, exec_lo, s9
	s_cbranch_vccz .LBB175_1341
; %bb.1338:
	v_cmp_eq_u16_e32 vcc_lo, 44, v7
	s_cbranch_vccz .LBB175_1340
; %bb.1339:
	global_load_u8 v1, v[2:3], off
	s_mov_b32 s6, 0
	s_mov_b32 s7, -1
	s_waitcnt vmcnt(0)
	v_lshlrev_b32_e32 v4, 23, v1
	v_cmp_ne_u32_e32 vcc_lo, 0, v1
	s_delay_alu instid0(VALU_DEP_2) | instskip(NEXT) | instid1(VALU_DEP_1)
	v_trunc_f32_e32 v4, v4
	v_mul_f32_e64 v5, 0x2f800000, |v4|
	s_delay_alu instid0(VALU_DEP_1) | instskip(NEXT) | instid1(VALU_DEP_1)
	v_floor_f32_e32 v5, v5
	v_fma_f32 v5, 0xcf800000, v5, |v4|
	v_ashrrev_i32_e32 v4, 31, v4
	s_delay_alu instid0(VALU_DEP_2) | instskip(NEXT) | instid1(VALU_DEP_1)
	v_cvt_u32_f32_e32 v5, v5
	v_xor_b32_e32 v5, v5, v4
	s_delay_alu instid0(VALU_DEP_1) | instskip(NEXT) | instid1(VALU_DEP_1)
	v_sub_nc_u32_e32 v4, v5, v4
	v_cndmask_b32_e32 v4, 0, v4, vcc_lo
	s_branch .LBB175_1341
.LBB175_1340:
	s_mov_b32 s6, -1
                                        ; implicit-def: $vgpr4
.LBB175_1341:
	s_mov_b32 s9, 0
.LBB175_1342:
	s_delay_alu instid0(SALU_CYCLE_1)
	s_and_b32 vcc_lo, exec_lo, s9
	s_cbranch_vccz .LBB175_1346
; %bb.1343:
	v_cmp_eq_u16_e32 vcc_lo, 29, v7
	s_cbranch_vccz .LBB175_1345
; %bb.1344:
	global_load_b64 v[4:5], v[2:3], off
	s_mov_b32 s6, 0
	s_mov_b32 s7, -1
	s_branch .LBB175_1346
.LBB175_1345:
	s_mov_b32 s6, -1
                                        ; implicit-def: $vgpr4
.LBB175_1346:
	s_mov_b32 s9, 0
.LBB175_1347:
	s_delay_alu instid0(SALU_CYCLE_1)
	s_and_b32 vcc_lo, exec_lo, s9
	s_cbranch_vccz .LBB175_1363
; %bb.1348:
	v_cmp_gt_i16_e32 vcc_lo, 27, v7
	s_cbranch_vccnz .LBB175_1351
; %bb.1349:
	v_cmp_lt_i16_e32 vcc_lo, 27, v7
	s_cbranch_vccz .LBB175_1352
; %bb.1350:
	global_load_b32 v4, v[2:3], off
	s_mov_b32 s7, 0
	s_branch .LBB175_1353
.LBB175_1351:
	s_mov_b32 s7, -1
                                        ; implicit-def: $vgpr4
	s_branch .LBB175_1356
.LBB175_1352:
	s_mov_b32 s7, -1
                                        ; implicit-def: $vgpr4
.LBB175_1353:
	s_delay_alu instid0(SALU_CYCLE_1)
	s_and_not1_b32 vcc_lo, exec_lo, s7
	s_cbranch_vccnz .LBB175_1355
; %bb.1354:
	global_load_u16 v4, v[2:3], off
.LBB175_1355:
	s_mov_b32 s7, 0
.LBB175_1356:
	s_delay_alu instid0(SALU_CYCLE_1)
	s_and_not1_b32 vcc_lo, exec_lo, s7
	s_cbranch_vccnz .LBB175_1362
; %bb.1357:
	global_load_u8 v1, v[2:3], off
	s_mov_b32 s9, 0
	s_mov_b32 s7, exec_lo
                                        ; implicit-def: $sgpr12
	s_waitcnt vmcnt(0)
	v_cmpx_lt_i16_e32 0x7f, v1
	s_xor_b32 s7, exec_lo, s7
	s_cbranch_execz .LBB175_1373
; %bb.1358:
	v_cmp_ne_u16_e32 vcc_lo, 0x80, v1
	s_mov_b32 s12, 0
	s_and_b32 s9, vcc_lo, exec_lo
	s_or_saveexec_b32 s7, s7
	v_mov_b32_e32 v4, s12
	s_xor_b32 exec_lo, exec_lo, s7
	s_cbranch_execnz .LBB175_1374
.LBB175_1359:
	s_or_b32 exec_lo, exec_lo, s7
	s_and_saveexec_b32 s7, s9
	s_cbranch_execz .LBB175_1361
.LBB175_1360:
	v_and_b32_e32 v4, 0xffff, v1
	v_lshlrev_b32_e32 v1, 24, v1
	s_delay_alu instid0(VALU_DEP_2) | instskip(NEXT) | instid1(VALU_DEP_2)
	v_and_b32_e32 v5, 7, v4
	v_and_b32_e32 v1, 0x80000000, v1
	s_delay_alu instid0(VALU_DEP_2) | instskip(NEXT) | instid1(VALU_DEP_1)
	v_clz_i32_u32_e32 v8, v5
	v_min_u32_e32 v8, 32, v8
	s_delay_alu instid0(VALU_DEP_1) | instskip(SKIP_1) | instid1(VALU_DEP_2)
	v_subrev_nc_u32_e32 v9, 28, v8
	v_sub_nc_u32_e32 v8, 29, v8
	v_lshlrev_b32_e32 v9, v9, v4
	v_bfe_u32 v4, v4, 3, 4
	s_delay_alu instid0(VALU_DEP_1) | instskip(NEXT) | instid1(VALU_DEP_3)
	v_cmp_eq_u32_e32 vcc_lo, 0, v4
	v_dual_cndmask_b32 v4, v4, v8 :: v_dual_and_b32 v9, 7, v9
	s_delay_alu instid0(VALU_DEP_1) | instskip(NEXT) | instid1(VALU_DEP_2)
	v_cndmask_b32_e32 v5, v5, v9, vcc_lo
	v_lshl_add_u32 v4, v4, 23, 0x3b800000
	s_delay_alu instid0(VALU_DEP_2) | instskip(NEXT) | instid1(VALU_DEP_1)
	v_lshlrev_b32_e32 v5, 20, v5
	v_or3_b32 v1, v1, v4, v5
	s_delay_alu instid0(VALU_DEP_1) | instskip(NEXT) | instid1(VALU_DEP_1)
	v_trunc_f32_e32 v1, v1
	v_mul_f32_e64 v4, 0x2f800000, |v1|
	s_delay_alu instid0(VALU_DEP_1) | instskip(NEXT) | instid1(VALU_DEP_1)
	v_floor_f32_e32 v4, v4
	v_fma_f32 v4, 0xcf800000, v4, |v1|
	v_ashrrev_i32_e32 v1, 31, v1
	s_delay_alu instid0(VALU_DEP_2) | instskip(NEXT) | instid1(VALU_DEP_1)
	v_cvt_u32_f32_e32 v4, v4
	v_xor_b32_e32 v4, v4, v1
	s_delay_alu instid0(VALU_DEP_1)
	v_sub_nc_u32_e32 v4, v4, v1
.LBB175_1361:
	s_or_b32 exec_lo, exec_lo, s7
.LBB175_1362:
	s_mov_b32 s7, -1
.LBB175_1363:
	s_branch .LBB175_1394
.LBB175_1364:
	v_cmp_lt_i16_e32 vcc_lo, 22, v7
	s_cbranch_vccz .LBB175_1372
; %bb.1365:
	v_cmp_gt_i16_e32 vcc_lo, 24, v7
	s_cbranch_vccnz .LBB175_1375
; %bb.1366:
	v_cmp_lt_i16_e32 vcc_lo, 24, v7
	s_cbranch_vccz .LBB175_1376
; %bb.1367:
	global_load_u8 v1, v[2:3], off
	s_mov_b32 s7, exec_lo
                                        ; implicit-def: $sgpr9
	s_waitcnt vmcnt(0)
	v_cmpx_lt_i16_e32 0x7f, v1
	s_xor_b32 s7, exec_lo, s7
	s_cbranch_execz .LBB175_1388
; %bb.1368:
	v_cmp_ne_u16_e32 vcc_lo, 0x80, v1
	s_mov_b32 s9, 0
	s_and_b32 s8, vcc_lo, exec_lo
	s_or_saveexec_b32 s7, s7
	v_mov_b32_e32 v4, s9
	s_xor_b32 exec_lo, exec_lo, s7
	s_cbranch_execnz .LBB175_1389
.LBB175_1369:
	s_or_b32 exec_lo, exec_lo, s7
	s_and_saveexec_b32 s7, s8
	s_cbranch_execz .LBB175_1371
.LBB175_1370:
	v_and_b32_e32 v4, 0xffff, v1
	v_lshlrev_b32_e32 v1, 24, v1
	s_delay_alu instid0(VALU_DEP_2) | instskip(NEXT) | instid1(VALU_DEP_2)
	v_and_b32_e32 v5, 3, v4
	v_and_b32_e32 v1, 0x80000000, v1
	s_delay_alu instid0(VALU_DEP_2) | instskip(NEXT) | instid1(VALU_DEP_1)
	v_clz_i32_u32_e32 v8, v5
	v_min_u32_e32 v8, 32, v8
	s_delay_alu instid0(VALU_DEP_1) | instskip(SKIP_1) | instid1(VALU_DEP_2)
	v_subrev_nc_u32_e32 v9, 29, v8
	v_sub_nc_u32_e32 v8, 30, v8
	v_lshlrev_b32_e32 v9, v9, v4
	v_bfe_u32 v4, v4, 2, 5
	s_delay_alu instid0(VALU_DEP_1) | instskip(NEXT) | instid1(VALU_DEP_3)
	v_cmp_eq_u32_e32 vcc_lo, 0, v4
	v_dual_cndmask_b32 v4, v4, v8 :: v_dual_and_b32 v9, 3, v9
	s_delay_alu instid0(VALU_DEP_1) | instskip(NEXT) | instid1(VALU_DEP_2)
	v_cndmask_b32_e32 v5, v5, v9, vcc_lo
	v_lshl_add_u32 v4, v4, 23, 0x37800000
	s_delay_alu instid0(VALU_DEP_2) | instskip(NEXT) | instid1(VALU_DEP_1)
	v_lshlrev_b32_e32 v5, 21, v5
	v_or3_b32 v1, v1, v4, v5
	s_delay_alu instid0(VALU_DEP_1) | instskip(NEXT) | instid1(VALU_DEP_1)
	v_trunc_f32_e32 v1, v1
	v_mul_f32_e64 v4, 0x2f800000, |v1|
	s_delay_alu instid0(VALU_DEP_1) | instskip(NEXT) | instid1(VALU_DEP_1)
	v_floor_f32_e32 v4, v4
	v_fma_f32 v4, 0xcf800000, v4, |v1|
	v_ashrrev_i32_e32 v1, 31, v1
	s_delay_alu instid0(VALU_DEP_2) | instskip(NEXT) | instid1(VALU_DEP_1)
	v_cvt_u32_f32_e32 v4, v4
	v_xor_b32_e32 v4, v4, v1
	s_delay_alu instid0(VALU_DEP_1)
	v_sub_nc_u32_e32 v4, v4, v1
.LBB175_1371:
	s_or_b32 exec_lo, exec_lo, s7
	s_mov_b32 s7, 0
	s_branch .LBB175_1377
.LBB175_1372:
	s_mov_b32 s8, -1
                                        ; implicit-def: $vgpr4
	s_branch .LBB175_1383
.LBB175_1373:
	s_or_saveexec_b32 s7, s7
	v_mov_b32_e32 v4, s12
	s_xor_b32 exec_lo, exec_lo, s7
	s_cbranch_execz .LBB175_1359
.LBB175_1374:
	v_cmp_ne_u16_e32 vcc_lo, 0, v1
	v_mov_b32_e32 v4, 0
	s_and_not1_b32 s9, s9, exec_lo
	s_and_b32 s12, vcc_lo, exec_lo
	s_delay_alu instid0(SALU_CYCLE_1)
	s_or_b32 s9, s9, s12
	s_or_b32 exec_lo, exec_lo, s7
	s_and_saveexec_b32 s7, s9
	s_cbranch_execnz .LBB175_1360
	s_branch .LBB175_1361
.LBB175_1375:
	s_mov_b32 s7, -1
                                        ; implicit-def: $vgpr4
	s_branch .LBB175_1380
.LBB175_1376:
	s_mov_b32 s7, -1
                                        ; implicit-def: $vgpr4
.LBB175_1377:
	s_delay_alu instid0(SALU_CYCLE_1)
	s_and_b32 vcc_lo, exec_lo, s7
	s_cbranch_vccz .LBB175_1379
; %bb.1378:
	global_load_u8 v1, v[2:3], off
	s_waitcnt vmcnt(0)
	v_lshlrev_b32_e32 v1, 24, v1
	s_delay_alu instid0(VALU_DEP_1) | instskip(NEXT) | instid1(VALU_DEP_1)
	v_and_b32_e32 v4, 0x7f000000, v1
	v_clz_i32_u32_e32 v5, v4
	v_cmp_ne_u32_e32 vcc_lo, 0, v4
	v_add_nc_u32_e32 v9, 0x1000000, v4
	s_delay_alu instid0(VALU_DEP_3) | instskip(NEXT) | instid1(VALU_DEP_1)
	v_min_u32_e32 v5, 32, v5
	v_sub_nc_u32_e64 v5, v5, 4 clamp
	s_delay_alu instid0(VALU_DEP_1) | instskip(SKIP_1) | instid1(VALU_DEP_2)
	v_lshlrev_b32_e32 v8, v5, v4
	v_lshlrev_b32_e32 v5, 23, v5
	v_lshrrev_b32_e32 v8, 4, v8
	s_delay_alu instid0(VALU_DEP_1) | instskip(SKIP_1) | instid1(VALU_DEP_2)
	v_sub_nc_u32_e32 v5, v8, v5
	v_ashrrev_i32_e32 v8, 8, v9
	v_add_nc_u32_e32 v5, 0x3c000000, v5
	s_delay_alu instid0(VALU_DEP_1) | instskip(NEXT) | instid1(VALU_DEP_1)
	v_and_or_b32 v5, 0x7f800000, v8, v5
	v_cndmask_b32_e32 v4, 0, v5, vcc_lo
	s_delay_alu instid0(VALU_DEP_1) | instskip(NEXT) | instid1(VALU_DEP_1)
	v_and_or_b32 v1, 0x80000000, v1, v4
	v_trunc_f32_e32 v1, v1
	s_delay_alu instid0(VALU_DEP_1) | instskip(NEXT) | instid1(VALU_DEP_1)
	v_mul_f32_e64 v4, 0x2f800000, |v1|
	v_floor_f32_e32 v4, v4
	s_delay_alu instid0(VALU_DEP_1) | instskip(SKIP_1) | instid1(VALU_DEP_2)
	v_fma_f32 v4, 0xcf800000, v4, |v1|
	v_ashrrev_i32_e32 v1, 31, v1
	v_cvt_u32_f32_e32 v4, v4
	s_delay_alu instid0(VALU_DEP_1) | instskip(NEXT) | instid1(VALU_DEP_1)
	v_xor_b32_e32 v4, v4, v1
	v_sub_nc_u32_e32 v4, v4, v1
.LBB175_1379:
	s_mov_b32 s7, 0
.LBB175_1380:
	s_delay_alu instid0(SALU_CYCLE_1)
	s_and_not1_b32 vcc_lo, exec_lo, s7
	s_cbranch_vccnz .LBB175_1382
; %bb.1381:
	global_load_u8 v1, v[2:3], off
	s_waitcnt vmcnt(0)
	v_lshlrev_b32_e32 v4, 25, v1
	v_lshlrev_b16 v1, 8, v1
	s_delay_alu instid0(VALU_DEP_2) | instskip(NEXT) | instid1(VALU_DEP_2)
	v_lshrrev_b32_e32 v5, 4, v4
	v_and_or_b32 v8, 0x7f00, v1, 0.5
	v_cmp_gt_u32_e32 vcc_lo, 0x8000000, v4
	v_bfe_i32 v1, v1, 0, 16
	s_delay_alu instid0(VALU_DEP_4) | instskip(NEXT) | instid1(VALU_DEP_1)
	v_or_b32_e32 v5, 0x70000000, v5
	v_dual_add_f32 v8, -0.5, v8 :: v_dual_mul_f32 v5, 0x7800000, v5
	s_delay_alu instid0(VALU_DEP_1) | instskip(NEXT) | instid1(VALU_DEP_1)
	v_cndmask_b32_e32 v4, v5, v8, vcc_lo
	v_and_or_b32 v1, 0x80000000, v1, v4
	s_delay_alu instid0(VALU_DEP_1) | instskip(NEXT) | instid1(VALU_DEP_1)
	v_trunc_f32_e32 v1, v1
	v_mul_f32_e64 v4, 0x2f800000, |v1|
	s_delay_alu instid0(VALU_DEP_1) | instskip(NEXT) | instid1(VALU_DEP_1)
	v_floor_f32_e32 v4, v4
	v_fma_f32 v4, 0xcf800000, v4, |v1|
	v_ashrrev_i32_e32 v1, 31, v1
	s_delay_alu instid0(VALU_DEP_2) | instskip(NEXT) | instid1(VALU_DEP_1)
	v_cvt_u32_f32_e32 v4, v4
	v_xor_b32_e32 v4, v4, v1
	s_delay_alu instid0(VALU_DEP_1)
	v_sub_nc_u32_e32 v4, v4, v1
.LBB175_1382:
	s_mov_b32 s8, 0
	s_mov_b32 s7, -1
.LBB175_1383:
	s_and_not1_b32 vcc_lo, exec_lo, s8
	s_mov_b32 s8, 0
	s_cbranch_vccnz .LBB175_1394
; %bb.1384:
	v_cmp_lt_i16_e32 vcc_lo, 14, v7
	s_cbranch_vccz .LBB175_1387
; %bb.1385:
	v_cmp_eq_u16_e32 vcc_lo, 15, v7
	s_cbranch_vccz .LBB175_1390
; %bb.1386:
	global_load_u16 v1, v[2:3], off
	s_mov_b32 s6, 0
	s_mov_b32 s7, -1
	s_waitcnt vmcnt(0)
	v_lshlrev_b32_e32 v1, 16, v1
	s_delay_alu instid0(VALU_DEP_1) | instskip(NEXT) | instid1(VALU_DEP_1)
	v_trunc_f32_e32 v1, v1
	v_mul_f32_e64 v4, 0x2f800000, |v1|
	s_delay_alu instid0(VALU_DEP_1) | instskip(NEXT) | instid1(VALU_DEP_1)
	v_floor_f32_e32 v4, v4
	v_fma_f32 v4, 0xcf800000, v4, |v1|
	v_ashrrev_i32_e32 v1, 31, v1
	s_delay_alu instid0(VALU_DEP_2) | instskip(NEXT) | instid1(VALU_DEP_1)
	v_cvt_u32_f32_e32 v4, v4
	v_xor_b32_e32 v4, v4, v1
	s_delay_alu instid0(VALU_DEP_1)
	v_sub_nc_u32_e32 v4, v4, v1
	s_branch .LBB175_1392
.LBB175_1387:
	s_mov_b32 s8, -1
	s_branch .LBB175_1391
.LBB175_1388:
	s_or_saveexec_b32 s7, s7
	v_mov_b32_e32 v4, s9
	s_xor_b32 exec_lo, exec_lo, s7
	s_cbranch_execz .LBB175_1369
.LBB175_1389:
	v_cmp_ne_u16_e32 vcc_lo, 0, v1
	v_mov_b32_e32 v4, 0
	s_and_not1_b32 s8, s8, exec_lo
	s_and_b32 s9, vcc_lo, exec_lo
	s_delay_alu instid0(SALU_CYCLE_1)
	s_or_b32 s8, s8, s9
	s_or_b32 exec_lo, exec_lo, s7
	s_and_saveexec_b32 s7, s8
	s_cbranch_execnz .LBB175_1370
	s_branch .LBB175_1371
.LBB175_1390:
	s_mov_b32 s6, -1
.LBB175_1391:
                                        ; implicit-def: $vgpr4
.LBB175_1392:
	s_and_b32 vcc_lo, exec_lo, s8
	s_mov_b32 s8, 0
	s_cbranch_vccz .LBB175_1394
; %bb.1393:
	v_cmp_ne_u16_e32 vcc_lo, 11, v7
	s_and_not1_b32 s6, s6, exec_lo
	s_mov_b32 s8, -1
                                        ; implicit-def: $vgpr4
	s_and_b32 s9, vcc_lo, exec_lo
	s_delay_alu instid0(SALU_CYCLE_1)
	s_or_b32 s6, s6, s9
.LBB175_1394:
	s_mov_b32 s9, 0
.LBB175_1395:
	s_delay_alu instid0(SALU_CYCLE_1)
	s_and_b32 s12, s9, exec_lo
	s_and_not1_b32 s9, s39, exec_lo
	s_and_b32 s13, s6, exec_lo
	s_and_b32 s7, s7, exec_lo
	;; [unrolled: 1-line block ×3, first 2 shown]
	s_or_b32 s39, s9, s13
.LBB175_1396:
	s_or_b32 exec_lo, exec_lo, s2
	s_and_saveexec_b32 s2, s39
	s_cbranch_execnz .LBB175_1408
; %bb.1397:
	s_or_b32 exec_lo, exec_lo, s2
	s_and_saveexec_b32 s2, s6
	s_delay_alu instid0(SALU_CYCLE_1)
	s_xor_b32 s2, exec_lo, s2
	s_cbranch_execz .LBB175_1399
.LBB175_1398:
	s_waitcnt vmcnt(0)
	global_load_u8 v1, v[2:3], off
	s_or_b32 s7, s7, exec_lo
	s_waitcnt vmcnt(0)
	v_cmp_ne_u16_e32 vcc_lo, 0, v1
	v_cndmask_b32_e64 v4, 0, 1, vcc_lo
.LBB175_1399:
	s_or_b32 exec_lo, exec_lo, s2
	s_and_saveexec_b32 s2, s12
	s_cbranch_execz .LBB175_1447
; %bb.1400:
	v_cmp_gt_i16_e32 vcc_lo, 5, v7
	s_cbranch_vccnz .LBB175_1405
; %bb.1401:
	v_cmp_gt_i16_e32 vcc_lo, 8, v7
	s_cbranch_vccnz .LBB175_1406
	;; [unrolled: 3-line block ×3, first 2 shown]
; %bb.1403:
	v_cmp_lt_i16_e32 vcc_lo, 9, v7
	s_cbranch_vccz .LBB175_1410
; %bb.1404:
	s_waitcnt vmcnt(0)
	global_load_b64 v[4:5], v[2:3], off
	s_mov_b32 s6, 0
	s_waitcnt vmcnt(0)
	v_trunc_f64_e32 v[4:5], v[4:5]
	s_delay_alu instid0(VALU_DEP_1) | instskip(NEXT) | instid1(VALU_DEP_1)
	v_ldexp_f64 v[8:9], v[4:5], 0xffffffe0
	v_floor_f64_e32 v[8:9], v[8:9]
	s_delay_alu instid0(VALU_DEP_1) | instskip(NEXT) | instid1(VALU_DEP_1)
	v_fma_f64 v[4:5], 0xc1f00000, v[8:9], v[4:5]
	v_cvt_u32_f64_e32 v4, v[4:5]
	s_branch .LBB175_1411
.LBB175_1405:
                                        ; implicit-def: $vgpr4
	s_branch .LBB175_1428
.LBB175_1406:
                                        ; implicit-def: $vgpr4
	s_branch .LBB175_1417
.LBB175_1407:
	s_mov_b32 s6, -1
                                        ; implicit-def: $vgpr4
	s_branch .LBB175_1414
.LBB175_1408:
	s_cbranch_execnz .LBB175_1666
; %bb.1409:
	s_or_b32 s3, s3, exec_lo
	s_and_not1_b32 s6, s6, exec_lo
                                        ; implicit-def: $vgpr4
	s_or_b32 exec_lo, exec_lo, s2
	s_and_saveexec_b32 s2, s6
	s_delay_alu instid0(SALU_CYCLE_1)
	s_xor_b32 s2, exec_lo, s2
	s_cbranch_execnz .LBB175_1398
	s_branch .LBB175_1399
.LBB175_1410:
	s_mov_b32 s6, -1
                                        ; implicit-def: $vgpr4
.LBB175_1411:
	s_delay_alu instid0(SALU_CYCLE_1)
	s_and_not1_b32 vcc_lo, exec_lo, s6
	s_cbranch_vccnz .LBB175_1413
; %bb.1412:
	s_waitcnt vmcnt(0)
	global_load_b32 v1, v[2:3], off
	s_waitcnt vmcnt(0)
	v_trunc_f32_e32 v1, v1
	s_delay_alu instid0(VALU_DEP_1) | instskip(NEXT) | instid1(VALU_DEP_1)
	v_mul_f32_e64 v4, 0x2f800000, |v1|
	v_floor_f32_e32 v4, v4
	s_delay_alu instid0(VALU_DEP_1) | instskip(SKIP_1) | instid1(VALU_DEP_2)
	v_fma_f32 v4, 0xcf800000, v4, |v1|
	v_ashrrev_i32_e32 v1, 31, v1
	v_cvt_u32_f32_e32 v4, v4
	s_delay_alu instid0(VALU_DEP_1) | instskip(NEXT) | instid1(VALU_DEP_1)
	v_xor_b32_e32 v4, v4, v1
	v_sub_nc_u32_e32 v4, v4, v1
.LBB175_1413:
	s_mov_b32 s6, 0
.LBB175_1414:
	s_delay_alu instid0(SALU_CYCLE_1)
	s_and_not1_b32 vcc_lo, exec_lo, s6
	s_cbranch_vccnz .LBB175_1416
; %bb.1415:
	s_waitcnt vmcnt(0)
	global_load_b32 v1, v[2:3], off
	s_waitcnt vmcnt(0)
	v_cvt_f32_f16_e32 v1, v1
	s_delay_alu instid0(VALU_DEP_1)
	v_cvt_i32_f32_e32 v4, v1
.LBB175_1416:
	s_cbranch_execnz .LBB175_1427
.LBB175_1417:
	v_cmp_gt_i16_e32 vcc_lo, 6, v7
	s_cbranch_vccnz .LBB175_1420
; %bb.1418:
	v_cmp_lt_i16_e32 vcc_lo, 6, v7
	s_cbranch_vccz .LBB175_1421
; %bb.1419:
	s_waitcnt vmcnt(0)
	global_load_b64 v[4:5], v[2:3], off
	s_mov_b32 s6, 0
	s_waitcnt vmcnt(0)
	v_trunc_f64_e32 v[4:5], v[4:5]
	s_delay_alu instid0(VALU_DEP_1) | instskip(NEXT) | instid1(VALU_DEP_1)
	v_ldexp_f64 v[8:9], v[4:5], 0xffffffe0
	v_floor_f64_e32 v[8:9], v[8:9]
	s_delay_alu instid0(VALU_DEP_1) | instskip(NEXT) | instid1(VALU_DEP_1)
	v_fma_f64 v[4:5], 0xc1f00000, v[8:9], v[4:5]
	v_cvt_u32_f64_e32 v4, v[4:5]
	s_branch .LBB175_1422
.LBB175_1420:
	s_mov_b32 s6, -1
                                        ; implicit-def: $vgpr4
	s_branch .LBB175_1425
.LBB175_1421:
	s_mov_b32 s6, -1
                                        ; implicit-def: $vgpr4
.LBB175_1422:
	s_delay_alu instid0(SALU_CYCLE_1)
	s_and_not1_b32 vcc_lo, exec_lo, s6
	s_cbranch_vccnz .LBB175_1424
; %bb.1423:
	s_waitcnt vmcnt(0)
	global_load_b32 v1, v[2:3], off
	s_waitcnt vmcnt(0)
	v_trunc_f32_e32 v1, v1
	s_delay_alu instid0(VALU_DEP_1) | instskip(NEXT) | instid1(VALU_DEP_1)
	v_mul_f32_e64 v4, 0x2f800000, |v1|
	v_floor_f32_e32 v4, v4
	s_delay_alu instid0(VALU_DEP_1) | instskip(SKIP_1) | instid1(VALU_DEP_2)
	v_fma_f32 v4, 0xcf800000, v4, |v1|
	v_ashrrev_i32_e32 v1, 31, v1
	v_cvt_u32_f32_e32 v4, v4
	s_delay_alu instid0(VALU_DEP_1) | instskip(NEXT) | instid1(VALU_DEP_1)
	v_xor_b32_e32 v4, v4, v1
	v_sub_nc_u32_e32 v4, v4, v1
.LBB175_1424:
	s_mov_b32 s6, 0
.LBB175_1425:
	s_delay_alu instid0(SALU_CYCLE_1)
	s_and_not1_b32 vcc_lo, exec_lo, s6
	s_cbranch_vccnz .LBB175_1427
; %bb.1426:
	s_waitcnt vmcnt(0)
	global_load_u16 v1, v[2:3], off
	s_waitcnt vmcnt(0)
	v_cvt_f32_f16_e32 v1, v1
	s_delay_alu instid0(VALU_DEP_1)
	v_cvt_i32_f32_e32 v4, v1
.LBB175_1427:
	s_cbranch_execnz .LBB175_1446
.LBB175_1428:
	v_cmp_gt_i16_e32 vcc_lo, 2, v7
	s_cbranch_vccnz .LBB175_1432
; %bb.1429:
	v_cmp_gt_i16_e32 vcc_lo, 3, v7
	s_cbranch_vccnz .LBB175_1433
; %bb.1430:
	v_cmp_lt_i16_e32 vcc_lo, 3, v7
	s_cbranch_vccz .LBB175_1434
; %bb.1431:
	s_waitcnt vmcnt(0)
	global_load_b64 v[4:5], v[2:3], off
	s_mov_b32 s6, 0
	s_branch .LBB175_1435
.LBB175_1432:
                                        ; implicit-def: $vgpr4
	s_branch .LBB175_1441
.LBB175_1433:
	s_mov_b32 s6, -1
                                        ; implicit-def: $vgpr4
	s_branch .LBB175_1438
.LBB175_1434:
	s_mov_b32 s6, -1
                                        ; implicit-def: $vgpr4
.LBB175_1435:
	s_delay_alu instid0(SALU_CYCLE_1)
	s_and_not1_b32 vcc_lo, exec_lo, s6
	s_cbranch_vccnz .LBB175_1437
; %bb.1436:
	s_waitcnt vmcnt(0)
	global_load_b32 v4, v[2:3], off
.LBB175_1437:
	s_mov_b32 s6, 0
.LBB175_1438:
	s_delay_alu instid0(SALU_CYCLE_1)
	s_and_not1_b32 vcc_lo, exec_lo, s6
	s_cbranch_vccnz .LBB175_1440
; %bb.1439:
	s_waitcnt vmcnt(0)
	global_load_u16 v4, v[2:3], off
.LBB175_1440:
	s_cbranch_execnz .LBB175_1446
.LBB175_1441:
	v_cmp_lt_i16_e32 vcc_lo, 0, v7
	s_mov_b32 s6, 0
	s_cbranch_vccz .LBB175_1443
; %bb.1442:
	s_waitcnt vmcnt(0)
	global_load_u8 v4, v[2:3], off
	s_branch .LBB175_1444
.LBB175_1443:
	s_mov_b32 s6, -1
                                        ; implicit-def: $vgpr4
.LBB175_1444:
	s_delay_alu instid0(SALU_CYCLE_1)
	s_and_not1_b32 vcc_lo, exec_lo, s6
	s_cbranch_vccnz .LBB175_1446
; %bb.1445:
	s_waitcnt vmcnt(0)
	global_load_u8 v4, v[2:3], off
.LBB175_1446:
	s_or_b32 s7, s7, exec_lo
.LBB175_1447:
	s_or_b32 exec_lo, exec_lo, s2
	s_mov_b32 s2, 0
	s_mov_b32 s8, 0
                                        ; implicit-def: $vgpr3
                                        ; implicit-def: $vgpr1_vgpr2
                                        ; implicit-def: $vgpr5
	s_and_saveexec_b32 s6, s7
	s_cbranch_execz .LBB175_1524
; %bb.1448:
	s_waitcnt vmcnt(0)
	s_delay_alu instid0(VALU_DEP_1) | instskip(SKIP_3) | instid1(VALU_DEP_2)
	v_cvt_f32_ubyte0_e32 v1, v4
	v_lshlrev_b32_e32 v2, 16, v6
	v_and_b32_e64 v3, 0xff, s11
	s_mov_b32 s7, 0
	v_mul_f32_e32 v1, v2, v1
	s_delay_alu instid0(VALU_DEP_2) | instskip(NEXT) | instid1(VALU_DEP_2)
	v_cmp_gt_i16_e32 vcc_lo, 11, v3
	v_mul_f32_e32 v4, s10, v1
	s_and_b32 vcc_lo, exec_lo, vcc_lo
	s_delay_alu instid0(VALU_DEP_1) | instskip(NEXT) | instid1(VALU_DEP_1)
	v_bfe_u32 v1, v4, 16, 1
	v_add3_u32 v1, v4, v1, 0x7fff
	s_delay_alu instid0(VALU_DEP_1) | instskip(SKIP_1) | instid1(VALU_DEP_1)
	v_lshrrev_b32_e32 v5, 16, v1
	v_add_co_u32 v1, s2, s4, v0
	v_add_co_ci_u32_e64 v2, null, s5, 0, s2
	v_cmp_o_f32_e64 s2, v4, v4
	s_mov_b32 s4, -1
	s_delay_alu instid0(VALU_DEP_1)
	v_cndmask_b32_e64 v5, 0x7fc0, v5, s2
	s_mov_b32 s2, s38
	s_cbranch_vccnz .LBB175_1523
; %bb.1449:
	v_cmp_lt_i16_e32 vcc_lo, 25, v3
	s_mov_b32 s2, s38
	s_cbranch_vccz .LBB175_1482
; %bb.1450:
	v_cmp_lt_i16_e32 vcc_lo, 28, v3
	s_mov_b32 s2, s38
	s_cbranch_vccz .LBB175_1466
	;; [unrolled: 4-line block ×4, first 2 shown]
; %bb.1453:
	v_cmp_eq_u16_e32 vcc_lo, 46, v3
	s_mov_b32 s2, -1
	s_cbranch_vccz .LBB175_1455
; %bb.1454:
	v_and_b32_e32 v0, 0xffff, v5
	s_mov_b32 s2, 0
	global_store_b32 v[1:2], v0, off
.LBB175_1455:
	s_mov_b32 s4, 0
.LBB175_1456:
	s_delay_alu instid0(SALU_CYCLE_1)
	s_and_b32 vcc_lo, exec_lo, s4
	s_cbranch_vccz .LBB175_1461
; %bb.1457:
	v_cmp_eq_u16_e32 vcc_lo, 44, v3
	s_mov_b32 s2, -1
	s_cbranch_vccz .LBB175_1461
; %bb.1458:
	v_and_b32_e32 v0, 0xffff, v5
	v_mov_b32_e32 v4, 0xff
	s_mov_b32 s4, exec_lo
	s_delay_alu instid0(VALU_DEP_2) | instskip(NEXT) | instid1(VALU_DEP_1)
	v_bfe_u32 v6, v0, 7, 8
	v_cmpx_ne_u32_e32 0xff, v6
; %bb.1459:
	v_lshlrev_b32_e32 v4, 16, v0
	v_and_b32_e32 v7, 64, v0
	v_lshrrev_b32_e32 v0, 7, v0
	s_delay_alu instid0(VALU_DEP_3) | instskip(NEXT) | instid1(VALU_DEP_3)
	v_and_or_b32 v4, 0x3f0000, v4, v6
	v_cmp_ne_u32_e32 vcc_lo, 0, v7
	s_delay_alu instid0(VALU_DEP_2) | instskip(NEXT) | instid1(VALU_DEP_1)
	v_cmp_ne_u32_e64 s2, 0, v4
	s_and_b32 s2, vcc_lo, s2
	s_delay_alu instid0(SALU_CYCLE_1) | instskip(NEXT) | instid1(VALU_DEP_1)
	v_cndmask_b32_e64 v4, 0, 1, s2
	v_add_nc_u32_e32 v4, v0, v4
; %bb.1460:
	s_or_b32 exec_lo, exec_lo, s4
	s_mov_b32 s2, 0
	global_store_b8 v[1:2], v4, off
.LBB175_1461:
	s_mov_b32 s4, 0
.LBB175_1462:
	s_delay_alu instid0(SALU_CYCLE_1)
	s_and_b32 vcc_lo, exec_lo, s4
	s_cbranch_vccz .LBB175_1465
; %bb.1463:
	v_cmp_eq_u16_e32 vcc_lo, 29, v3
	s_mov_b32 s2, -1
	s_cbranch_vccz .LBB175_1465
; %bb.1464:
	v_lshlrev_b32_e32 v0, 16, v5
	s_mov_b32 s2, 0
	s_delay_alu instid0(VALU_DEP_1) | instskip(NEXT) | instid1(VALU_DEP_1)
	v_trunc_f32_e32 v0, v0
	v_mul_f32_e32 v4, 0x2f800000, v0
	s_delay_alu instid0(VALU_DEP_1) | instskip(NEXT) | instid1(VALU_DEP_1)
	v_floor_f32_e32 v4, v4
	v_fmamk_f32 v0, v4, 0xcf800000, v0
	v_cvt_u32_f32_e32 v7, v4
	s_delay_alu instid0(VALU_DEP_2)
	v_cvt_u32_f32_e32 v6, v0
	global_store_b64 v[1:2], v[6:7], off
.LBB175_1465:
	s_mov_b32 s4, 0
.LBB175_1466:
	s_delay_alu instid0(SALU_CYCLE_1)
	s_and_b32 vcc_lo, exec_lo, s4
	s_cbranch_vccz .LBB175_1481
; %bb.1467:
	v_cmp_gt_i16_e32 vcc_lo, 27, v3
	s_mov_b32 s4, -1
	s_cbranch_vccnz .LBB175_1473
; %bb.1468:
	v_cmp_lt_i16_e32 vcc_lo, 27, v3
	s_cbranch_vccz .LBB175_1470
; %bb.1469:
	v_lshlrev_b32_e32 v0, 16, v5
	s_mov_b32 s4, 0
	s_delay_alu instid0(VALU_DEP_1)
	v_cvt_u32_f32_e32 v0, v0
	global_store_b32 v[1:2], v0, off
.LBB175_1470:
	s_and_not1_b32 vcc_lo, exec_lo, s4
	s_cbranch_vccnz .LBB175_1472
; %bb.1471:
	v_lshlrev_b32_e32 v0, 16, v5
	s_delay_alu instid0(VALU_DEP_1)
	v_cvt_u32_f32_e32 v0, v0
	global_store_b16 v[1:2], v0, off
.LBB175_1472:
	s_mov_b32 s4, 0
.LBB175_1473:
	s_delay_alu instid0(SALU_CYCLE_1)
	s_and_not1_b32 vcc_lo, exec_lo, s4
	s_cbranch_vccnz .LBB175_1481
; %bb.1474:
	v_dual_mov_b32 v7, 0x80 :: v_dual_lshlrev_b32 v6, 16, v5
	s_mov_b32 s4, exec_lo
	s_delay_alu instid0(VALU_DEP_1) | instskip(NEXT) | instid1(VALU_DEP_1)
	v_and_b32_e32 v4, 0x7fffffff, v6
	v_cmpx_gt_u32_e32 0x43800000, v4
	s_cbranch_execz .LBB175_1480
; %bb.1475:
	v_and_b32_e32 v0, 0xffff, v5
	v_cmp_lt_u32_e32 vcc_lo, 0x3bffffff, v4
	s_mov_b32 s5, 0
                                        ; implicit-def: $vgpr4
	s_and_saveexec_b32 s7, vcc_lo
	s_delay_alu instid0(SALU_CYCLE_1)
	s_xor_b32 s7, exec_lo, s7
	s_cbranch_execz .LBB175_1758
; %bb.1476:
	v_bfe_u32 v4, v0, 4, 1
	s_mov_b32 s5, exec_lo
	s_delay_alu instid0(VALU_DEP_1) | instskip(NEXT) | instid1(VALU_DEP_1)
	v_add3_u32 v4, v6, v4, 0x487ffff
                                        ; implicit-def: $vgpr6
	v_lshrrev_b32_e32 v4, 20, v4
	s_or_saveexec_b32 s7, s7
                                        ; implicit-def: $sgpr8
	s_delay_alu instid0(SALU_CYCLE_1)
	s_xor_b32 exec_lo, exec_lo, s7
	s_cbranch_execnz .LBB175_1759
.LBB175_1477:
	s_or_b32 exec_lo, exec_lo, s7
	v_mov_b32_e32 v7, s8
	s_and_saveexec_b32 s7, s5
.LBB175_1478:
	v_lshrrev_b32_e32 v0, 8, v0
	s_delay_alu instid0(VALU_DEP_1)
	v_and_or_b32 v7, 0x80, v0, v4
.LBB175_1479:
	s_or_b32 exec_lo, exec_lo, s7
.LBB175_1480:
	s_delay_alu instid0(SALU_CYCLE_1)
	s_or_b32 exec_lo, exec_lo, s4
	global_store_b8 v[1:2], v7, off
.LBB175_1481:
	s_mov_b32 s4, 0
.LBB175_1482:
	s_delay_alu instid0(SALU_CYCLE_1)
	s_and_b32 vcc_lo, exec_lo, s4
	s_mov_b32 s4, 0
	s_cbranch_vccz .LBB175_1522
; %bb.1483:
	v_cmp_lt_i16_e32 vcc_lo, 22, v3
	s_mov_b32 s5, -1
	s_cbranch_vccz .LBB175_1515
; %bb.1484:
	v_cmp_gt_i16_e32 vcc_lo, 24, v3
	s_cbranch_vccnz .LBB175_1504
; %bb.1485:
	v_cmp_lt_i16_e32 vcc_lo, 24, v3
	s_cbranch_vccz .LBB175_1493
; %bb.1486:
	v_dual_mov_b32 v7, 0x80 :: v_dual_lshlrev_b32 v6, 16, v5
	s_mov_b32 s5, exec_lo
	s_delay_alu instid0(VALU_DEP_1) | instskip(NEXT) | instid1(VALU_DEP_1)
	v_and_b32_e32 v4, 0x7fffffff, v6
	v_cmpx_gt_u32_e32 0x47800000, v4
	s_cbranch_execz .LBB175_1492
; %bb.1487:
	v_and_b32_e32 v0, 0xffff, v5
	v_cmp_lt_u32_e32 vcc_lo, 0x37ffffff, v4
	s_mov_b32 s7, 0
                                        ; implicit-def: $vgpr4
	s_and_saveexec_b32 s8, vcc_lo
	s_delay_alu instid0(SALU_CYCLE_1)
	s_xor_b32 s8, exec_lo, s8
	s_cbranch_execz .LBB175_1886
; %bb.1488:
	v_bfe_u32 v4, v0, 5, 1
	s_mov_b32 s7, exec_lo
	s_delay_alu instid0(VALU_DEP_1) | instskip(NEXT) | instid1(VALU_DEP_1)
	v_add3_u32 v4, v6, v4, 0x88fffff
                                        ; implicit-def: $vgpr6
	v_lshrrev_b32_e32 v4, 21, v4
	s_or_saveexec_b32 s8, s8
                                        ; implicit-def: $sgpr9
	s_delay_alu instid0(SALU_CYCLE_1)
	s_xor_b32 exec_lo, exec_lo, s8
	s_cbranch_execnz .LBB175_1887
.LBB175_1489:
	s_or_b32 exec_lo, exec_lo, s8
	v_mov_b32_e32 v7, s9
	s_and_saveexec_b32 s8, s7
.LBB175_1490:
	v_lshrrev_b32_e32 v0, 8, v0
	s_delay_alu instid0(VALU_DEP_1)
	v_and_or_b32 v7, 0x80, v0, v4
.LBB175_1491:
	s_or_b32 exec_lo, exec_lo, s8
.LBB175_1492:
	s_delay_alu instid0(SALU_CYCLE_1)
	s_or_b32 exec_lo, exec_lo, s5
	s_mov_b32 s5, 0
	global_store_b8 v[1:2], v7, off
.LBB175_1493:
	s_and_b32 vcc_lo, exec_lo, s5
	s_cbranch_vccz .LBB175_1503
; %bb.1494:
	v_lshlrev_b32_e32 v6, 16, v5
	v_and_b32_e32 v0, 0xffff, v5
	s_mov_b32 s5, exec_lo
                                        ; implicit-def: $vgpr4
	s_delay_alu instid0(VALU_DEP_2) | instskip(NEXT) | instid1(VALU_DEP_1)
	v_and_b32_e32 v7, 0x7fffffff, v6
	v_cmpx_gt_u32_e32 0x43f00000, v7
	s_xor_b32 s5, exec_lo, s5
	s_cbranch_execz .LBB175_1500
; %bb.1495:
	s_mov_b32 s7, exec_lo
                                        ; implicit-def: $vgpr4
	v_cmpx_lt_u32_e32 0x3c7fffff, v7
	s_xor_b32 s7, exec_lo, s7
; %bb.1496:
	v_bfe_u32 v4, v0, 4, 1
	s_delay_alu instid0(VALU_DEP_1) | instskip(NEXT) | instid1(VALU_DEP_1)
	v_add3_u32 v4, v6, v4, 0x407ffff
	v_and_b32_e32 v6, 0xff00000, v4
	v_lshrrev_b32_e32 v4, 20, v4
	s_delay_alu instid0(VALU_DEP_2) | instskip(NEXT) | instid1(VALU_DEP_2)
	v_cmp_ne_u32_e32 vcc_lo, 0x7f00000, v6
                                        ; implicit-def: $vgpr6
	v_cndmask_b32_e32 v4, 0x7e, v4, vcc_lo
; %bb.1497:
	s_and_not1_saveexec_b32 s7, s7
; %bb.1498:
	v_add_f32_e64 v4, 0x46800000, |v6|
; %bb.1499:
	s_or_b32 exec_lo, exec_lo, s7
                                        ; implicit-def: $vgpr7
.LBB175_1500:
	s_and_not1_saveexec_b32 s5, s5
; %bb.1501:
	v_mov_b32_e32 v4, 0x7f
	v_cmp_lt_u32_e32 vcc_lo, 0x7f800000, v7
	s_delay_alu instid0(VALU_DEP_2)
	v_cndmask_b32_e32 v4, 0x7e, v4, vcc_lo
; %bb.1502:
	s_or_b32 exec_lo, exec_lo, s5
	v_lshrrev_b32_e32 v0, 8, v0
	s_delay_alu instid0(VALU_DEP_1)
	v_and_or_b32 v0, 0x80, v0, v4
	global_store_b8 v[1:2], v0, off
.LBB175_1503:
	s_mov_b32 s5, 0
.LBB175_1504:
	s_delay_alu instid0(SALU_CYCLE_1)
	s_and_not1_b32 vcc_lo, exec_lo, s5
	s_cbranch_vccnz .LBB175_1514
; %bb.1505:
	v_lshlrev_b32_e32 v6, 16, v5
	v_and_b32_e32 v0, 0xffff, v5
	s_mov_b32 s5, exec_lo
                                        ; implicit-def: $vgpr4
	s_delay_alu instid0(VALU_DEP_2) | instskip(NEXT) | instid1(VALU_DEP_1)
	v_and_b32_e32 v7, 0x7fffffff, v6
	v_cmpx_gt_u32_e32 0x47800000, v7
	s_xor_b32 s5, exec_lo, s5
	s_cbranch_execz .LBB175_1511
; %bb.1506:
	s_mov_b32 s7, exec_lo
                                        ; implicit-def: $vgpr4
	v_cmpx_lt_u32_e32 0x387fffff, v7
	s_xor_b32 s7, exec_lo, s7
; %bb.1507:
	v_bfe_u32 v4, v0, 5, 1
	s_delay_alu instid0(VALU_DEP_1) | instskip(NEXT) | instid1(VALU_DEP_1)
	v_add3_u32 v4, v6, v4, 0x80fffff
                                        ; implicit-def: $vgpr6
	v_lshrrev_b32_e32 v4, 21, v4
; %bb.1508:
	s_and_not1_saveexec_b32 s7, s7
; %bb.1509:
	v_add_f32_e64 v4, 0x43000000, |v6|
; %bb.1510:
	s_or_b32 exec_lo, exec_lo, s7
                                        ; implicit-def: $vgpr7
.LBB175_1511:
	s_and_not1_saveexec_b32 s5, s5
; %bb.1512:
	v_mov_b32_e32 v4, 0x7f
	v_cmp_lt_u32_e32 vcc_lo, 0x7f800000, v7
	s_delay_alu instid0(VALU_DEP_2)
	v_cndmask_b32_e32 v4, 0x7c, v4, vcc_lo
; %bb.1513:
	s_or_b32 exec_lo, exec_lo, s5
	v_lshrrev_b32_e32 v0, 8, v0
	s_delay_alu instid0(VALU_DEP_1)
	v_and_or_b32 v0, 0x80, v0, v4
	global_store_b8 v[1:2], v0, off
.LBB175_1514:
	s_mov_b32 s5, 0
.LBB175_1515:
	s_delay_alu instid0(SALU_CYCLE_1)
	s_and_not1_b32 vcc_lo, exec_lo, s5
	s_mov_b32 s7, 0
	s_cbranch_vccnz .LBB175_1523
; %bb.1516:
	v_cmp_lt_i16_e32 vcc_lo, 14, v3
	s_mov_b32 s5, -1
	s_cbranch_vccz .LBB175_1520
; %bb.1517:
	v_cmp_eq_u16_e32 vcc_lo, 15, v3
	s_mov_b32 s2, -1
	s_cbranch_vccz .LBB175_1519
; %bb.1518:
	s_mov_b32 s2, 0
	global_store_b16 v[1:2], v5, off
.LBB175_1519:
	s_mov_b32 s5, 0
.LBB175_1520:
	s_delay_alu instid0(SALU_CYCLE_1)
	s_and_b32 vcc_lo, exec_lo, s5
	s_cbranch_vccz .LBB175_1523
; %bb.1521:
	v_cmp_ne_u16_e32 vcc_lo, 11, v3
	s_and_not1_b32 s2, s2, exec_lo
	s_mov_b32 s7, -1
	s_and_b32 s5, vcc_lo, exec_lo
	s_delay_alu instid0(SALU_CYCLE_1)
	s_or_b32 s2, s2, s5
	s_branch .LBB175_1523
.LBB175_1522:
	s_mov_b32 s7, 0
.LBB175_1523:
	s_and_b32 s8, s4, exec_lo
	s_and_not1_b32 s4, s38, exec_lo
	s_and_b32 s5, s2, exec_lo
	s_and_b32 s2, s7, exec_lo
	s_or_b32 s38, s4, s5
.LBB175_1524:
	s_or_b32 exec_lo, exec_lo, s6
	s_and_saveexec_b32 s4, s38
	s_cbranch_execnz .LBB175_1626
; %bb.1525:
	s_or_b32 exec_lo, exec_lo, s4
	s_and_saveexec_b32 s4, s2
	s_delay_alu instid0(SALU_CYCLE_1)
	s_xor_b32 s2, exec_lo, s4
	s_cbranch_execz .LBB175_1527
.LBB175_1526:
	s_waitcnt vmcnt(0)
	v_and_b32_e32 v0, 0x7fff, v5
	s_delay_alu instid0(VALU_DEP_1)
	v_cmp_ne_u16_e32 vcc_lo, 0, v0
	v_cndmask_b32_e64 v0, 0, 1, vcc_lo
	global_store_b8 v[1:2], v0, off
.LBB175_1527:
	s_or_b32 exec_lo, exec_lo, s2
	s_and_saveexec_b32 s2, s8
	s_delay_alu instid0(SALU_CYCLE_1)
	s_xor_b32 s2, exec_lo, s2
	s_cbranch_execz .LBB175_1565
; %bb.1528:
	s_waitcnt vmcnt(0)
	v_cmp_gt_i16_e32 vcc_lo, 5, v3
	s_mov_b32 s4, -1
	s_cbranch_vccnz .LBB175_1549
; %bb.1529:
	v_cmp_gt_i16_e32 vcc_lo, 8, v3
	s_cbranch_vccnz .LBB175_1539
; %bb.1530:
	v_cmp_gt_i16_e32 vcc_lo, 9, v3
	s_cbranch_vccnz .LBB175_1536
; %bb.1531:
	v_cmp_lt_i16_e32 vcc_lo, 9, v3
	s_cbranch_vccz .LBB175_1533
; %bb.1532:
	v_mov_b32_e32 v8, 0
	v_lshlrev_b32_e32 v0, 16, v5
	s_mov_b32 s4, 0
	s_delay_alu instid0(VALU_DEP_2) | instskip(NEXT) | instid1(VALU_DEP_2)
	v_mov_b32_e32 v9, v8
	v_cvt_f64_f32_e32 v[6:7], v0
	global_store_b128 v[1:2], v[6:9], off
.LBB175_1533:
	s_and_not1_b32 vcc_lo, exec_lo, s4
	s_cbranch_vccnz .LBB175_1535
; %bb.1534:
	v_dual_mov_b32 v7, 0 :: v_dual_lshlrev_b32 v6, 16, v5
	global_store_b64 v[1:2], v[6:7], off
.LBB175_1535:
	s_mov_b32 s4, 0
.LBB175_1536:
	s_delay_alu instid0(SALU_CYCLE_1)
	s_and_not1_b32 vcc_lo, exec_lo, s4
	s_cbranch_vccnz .LBB175_1538
; %bb.1537:
	v_lshlrev_b32_e32 v0, 16, v5
	s_delay_alu instid0(VALU_DEP_1) | instskip(NEXT) | instid1(VALU_DEP_1)
	v_cvt_f16_f32_e32 v0, v0
	v_and_b32_e32 v0, 0xffff, v0
	global_store_b32 v[1:2], v0, off
.LBB175_1538:
	s_mov_b32 s4, 0
.LBB175_1539:
	s_delay_alu instid0(SALU_CYCLE_1)
	s_and_not1_b32 vcc_lo, exec_lo, s4
	s_cbranch_vccnz .LBB175_1548
; %bb.1540:
	v_cmp_gt_i16_e32 vcc_lo, 6, v3
	s_mov_b32 s4, -1
	s_cbranch_vccnz .LBB175_1546
; %bb.1541:
	v_cmp_lt_i16_e32 vcc_lo, 6, v3
	s_cbranch_vccz .LBB175_1543
; %bb.1542:
	v_lshlrev_b32_e32 v0, 16, v5
	s_mov_b32 s4, 0
	s_delay_alu instid0(VALU_DEP_1)
	v_cvt_f64_f32_e32 v[6:7], v0
	global_store_b64 v[1:2], v[6:7], off
.LBB175_1543:
	s_and_not1_b32 vcc_lo, exec_lo, s4
	s_cbranch_vccnz .LBB175_1545
; %bb.1544:
	v_lshlrev_b32_e32 v0, 16, v5
	global_store_b32 v[1:2], v0, off
.LBB175_1545:
	s_mov_b32 s4, 0
.LBB175_1546:
	s_delay_alu instid0(SALU_CYCLE_1)
	s_and_not1_b32 vcc_lo, exec_lo, s4
	s_cbranch_vccnz .LBB175_1548
; %bb.1547:
	v_lshlrev_b32_e32 v0, 16, v5
	s_delay_alu instid0(VALU_DEP_1)
	v_cvt_f16_f32_e32 v0, v0
	global_store_b16 v[1:2], v0, off
.LBB175_1548:
	s_mov_b32 s4, 0
.LBB175_1549:
	s_delay_alu instid0(SALU_CYCLE_1)
	s_and_not1_b32 vcc_lo, exec_lo, s4
	s_cbranch_vccnz .LBB175_1565
; %bb.1550:
	v_cmp_gt_i16_e32 vcc_lo, 2, v3
	s_mov_b32 s4, -1
	s_cbranch_vccnz .LBB175_1560
; %bb.1551:
	v_cmp_gt_i16_e32 vcc_lo, 3, v3
	s_cbranch_vccnz .LBB175_1557
; %bb.1552:
	v_cmp_lt_i16_e32 vcc_lo, 3, v3
	s_cbranch_vccz .LBB175_1554
; %bb.1553:
	v_lshlrev_b32_e32 v0, 16, v5
	s_mov_b32 s4, 0
	s_delay_alu instid0(VALU_DEP_1) | instskip(NEXT) | instid1(VALU_DEP_1)
	v_trunc_f32_e32 v0, v0
	v_mul_f32_e64 v4, 0x2f800000, |v0|
	s_delay_alu instid0(VALU_DEP_1) | instskip(NEXT) | instid1(VALU_DEP_1)
	v_floor_f32_e32 v4, v4
	v_fma_f32 v6, 0xcf800000, v4, |v0|
	v_ashrrev_i32_e32 v0, 31, v0
	v_cvt_u32_f32_e32 v4, v4
	s_delay_alu instid0(VALU_DEP_3) | instskip(NEXT) | instid1(VALU_DEP_2)
	v_cvt_u32_f32_e32 v6, v6
	v_xor_b32_e32 v4, v4, v0
	s_delay_alu instid0(VALU_DEP_2) | instskip(NEXT) | instid1(VALU_DEP_1)
	v_xor_b32_e32 v6, v6, v0
	v_sub_co_u32 v6, vcc_lo, v6, v0
	s_delay_alu instid0(VALU_DEP_3)
	v_sub_co_ci_u32_e32 v7, vcc_lo, v4, v0, vcc_lo
	global_store_b64 v[1:2], v[6:7], off
.LBB175_1554:
	s_and_not1_b32 vcc_lo, exec_lo, s4
	s_cbranch_vccnz .LBB175_1556
; %bb.1555:
	v_lshlrev_b32_e32 v0, 16, v5
	s_delay_alu instid0(VALU_DEP_1)
	v_cvt_i32_f32_e32 v0, v0
	global_store_b32 v[1:2], v0, off
.LBB175_1556:
	s_mov_b32 s4, 0
.LBB175_1557:
	s_delay_alu instid0(SALU_CYCLE_1)
	s_and_not1_b32 vcc_lo, exec_lo, s4
	s_cbranch_vccnz .LBB175_1559
; %bb.1558:
	v_lshlrev_b32_e32 v0, 16, v5
	s_delay_alu instid0(VALU_DEP_1)
	v_cvt_i32_f32_e32 v0, v0
	global_store_b16 v[1:2], v0, off
.LBB175_1559:
	s_mov_b32 s4, 0
.LBB175_1560:
	s_delay_alu instid0(SALU_CYCLE_1)
	s_and_not1_b32 vcc_lo, exec_lo, s4
	s_cbranch_vccnz .LBB175_1565
; %bb.1561:
	v_cmp_lt_i16_e32 vcc_lo, 0, v3
	v_lshlrev_b32_e32 v0, 16, v5
	s_mov_b32 s4, -1
	s_cbranch_vccz .LBB175_1563
; %bb.1562:
	s_delay_alu instid0(VALU_DEP_1)
	v_cvt_i32_f32_e32 v3, v0
	s_mov_b32 s4, 0
	global_store_b8 v[1:2], v3, off
.LBB175_1563:
	s_and_not1_b32 vcc_lo, exec_lo, s4
	s_cbranch_vccnz .LBB175_1565
; %bb.1564:
	v_trunc_f32_e32 v0, v0
	s_delay_alu instid0(VALU_DEP_1) | instskip(NEXT) | instid1(VALU_DEP_1)
	v_mul_f32_e64 v3, 0x2f800000, |v0|
	v_floor_f32_e32 v3, v3
	s_delay_alu instid0(VALU_DEP_1) | instskip(SKIP_1) | instid1(VALU_DEP_2)
	v_fma_f32 v3, 0xcf800000, v3, |v0|
	v_ashrrev_i32_e32 v0, 31, v0
	v_cvt_u32_f32_e32 v3, v3
	s_delay_alu instid0(VALU_DEP_1) | instskip(NEXT) | instid1(VALU_DEP_1)
	v_xor_b32_e32 v3, v3, v0
	v_sub_nc_u32_e32 v0, v3, v0
	global_store_b8 v[1:2], v0, off
.LBB175_1565:
	s_or_b32 exec_lo, exec_lo, s2
	s_delay_alu instid0(SALU_CYCLE_1)
	s_and_b32 s8, s3, exec_lo
                                        ; implicit-def: $vgpr12
                                        ; implicit-def: $vgpr7
.LBB175_1566:
	s_or_saveexec_b32 s9, s30
	s_mov_b32 s2, 0
                                        ; implicit-def: $vgpr0_vgpr1
                                        ; implicit-def: $sgpr3
                                        ; implicit-def: $vgpr2
	s_xor_b32 exec_lo, exec_lo, s9
	s_cbranch_execz .LBB175_3051
; %bb.1567:
	v_cndmask_b32_e64 v0, 0, 1, s29
	s_and_not1_b32 vcc_lo, exec_lo, s29
	s_cbranch_vccnz .LBB175_1573
; %bb.1568:
	s_waitcnt vmcnt(0)
	v_dual_mov_b32 v3, 0 :: v_dual_mov_b32 v6, 0
	v_mov_b32_e32 v5, 0
	s_cmp_lg_u32 s26, 0
	s_mov_b32 s4, 0
	s_cbranch_scc0 .LBB175_1574
; %bb.1569:
	s_min_u32 s5, s27, 15
	v_dual_mov_b32 v5, 0 :: v_dual_mov_b32 v6, 0
	s_add_i32 s2, s5, 1
	v_mov_b32_e32 v3, 0
	v_mov_b32_e32 v1, v7
	s_and_b32 s6, s2, 30
	s_add_u32 s2, s20, 0xffffffec
	s_addc_u32 s3, s21, -1
	s_set_inst_prefetch_distance 0x1
	.p2align	6
.LBB175_1570:                           ; =>This Inner Loop Header: Depth=1
	s_clause 0x2
	s_load_b128 s[12:15], s[2:3], 0x18
	s_load_b64 s[10:11], s[2:3], 0x28
	s_load_b128 s[16:19], s[2:3], 0xd8
	s_waitcnt lgkmcnt(0)
	v_mul_hi_u32 v2, s13, v1
	s_delay_alu instid0(VALU_DEP_1) | instskip(NEXT) | instid1(VALU_DEP_1)
	v_add_nc_u32_e32 v2, v1, v2
	v_lshrrev_b32_e32 v2, s14, v2
	s_delay_alu instid0(VALU_DEP_1)
	v_mul_hi_u32 v4, s10, v2
	v_mul_lo_u32 v8, v2, s12
	s_load_b64 s[12:13], s[2:3], 0xe8
	s_add_u32 s2, s2, 24
	s_addc_u32 s3, s3, 0
	s_add_i32 s6, s6, -2
	s_delay_alu instid0(SALU_CYCLE_1) | instskip(NEXT) | instid1(VALU_DEP_2)
	s_cmp_lg_u32 s6, 0
	v_add_nc_u32_e32 v4, v2, v4
	s_delay_alu instid0(VALU_DEP_2) | instskip(NEXT) | instid1(VALU_DEP_2)
	v_sub_nc_u32_e32 v8, v1, v8
	v_lshrrev_b32_e32 v1, s11, v4
	s_delay_alu instid0(VALU_DEP_2) | instskip(NEXT) | instid1(VALU_DEP_2)
	v_mul_lo_u32 v9, v8, s16
	v_mul_lo_u32 v4, v1, s15
	s_delay_alu instid0(VALU_DEP_1) | instskip(SKIP_2) | instid1(VALU_DEP_3)
	v_sub_nc_u32_e32 v2, v2, v4
	v_mul_lo_u32 v4, v8, s17
	v_mul_lo_u32 v8, v8, s18
	;; [unrolled: 1-line block ×3, first 2 shown]
	s_waitcnt lgkmcnt(0)
	v_mul_lo_u32 v11, v2, s12
	v_mul_lo_u32 v2, v2, s13
	s_delay_alu instid0(VALU_DEP_3) | instskip(NEXT) | instid1(VALU_DEP_3)
	v_add3_u32 v3, v9, v3, v10
	v_add3_u32 v6, v4, v6, v11
	s_delay_alu instid0(VALU_DEP_3)
	v_add3_u32 v5, v8, v5, v2
	s_cbranch_scc1 .LBB175_1570
; %bb.1571:
	s_set_inst_prefetch_distance 0x2
	s_bitcmp1_b32 s5, 0
	s_cselect_b32 s5, -1, 0
	s_delay_alu instid0(SALU_CYCLE_1)
	s_and_b32 vcc_lo, exec_lo, s5
	s_cbranch_vccnz .LBB175_1574
; %bb.1572:
	s_clause 0x3
	s_load_b64 s[6:7], s[2:3], 0x18
	s_load_b32 s5, s[2:3], 0x20
	s_load_b64 s[10:11], s[2:3], 0xd8
	s_load_b32 s2, s[2:3], 0xe0
	s_waitcnt lgkmcnt(0)
	v_mul_hi_u32 v2, s7, v1
	s_delay_alu instid0(VALU_DEP_1) | instskip(NEXT) | instid1(VALU_DEP_1)
	v_add_nc_u32_e32 v2, v1, v2
	v_lshrrev_b32_e32 v2, s5, v2
	s_delay_alu instid0(VALU_DEP_1) | instskip(NEXT) | instid1(VALU_DEP_1)
	v_mul_lo_u32 v2, v2, s6
	v_sub_nc_u32_e32 v4, v1, v2
	s_delay_alu instid0(VALU_DEP_1) | instskip(SKIP_2) | instid1(VALU_DEP_2)
	v_mad_u64_u32 v[1:2], null, v4, s10, v[3:4]
	v_mad_u64_u32 v[2:3], null, v4, s11, v[6:7]
	;; [unrolled: 1-line block ×3, first 2 shown]
	v_dual_mov_b32 v3, v1 :: v_dual_mov_b32 v6, v2
	s_delay_alu instid0(VALU_DEP_2)
	v_mov_b32_e32 v5, v8
	s_branch .LBB175_1574
.LBB175_1573:
	s_mov_b32 s4, -1
                                        ; implicit-def: $vgpr3
                                        ; implicit-def: $vgpr6
                                        ; implicit-def: $vgpr5
.LBB175_1574:
	s_delay_alu instid0(SALU_CYCLE_1)
	s_and_not1_b32 vcc_lo, exec_lo, s4
	s_cbranch_vccnz .LBB175_1577
; %bb.1575:
	s_clause 0x1
	s_load_b128 s[4:7], s[20:21], 0x4
	s_load_b128 s[12:15], s[20:21], 0xc4
	s_cmp_lt_u32 s26, 2
	s_waitcnt lgkmcnt(0)
	v_mul_hi_u32 v1, s5, v7
	s_delay_alu instid0(VALU_DEP_1) | instskip(NEXT) | instid1(VALU_DEP_1)
	v_add_nc_u32_e32 v1, v7, v1
	v_lshrrev_b32_e32 v1, s6, v1
	s_delay_alu instid0(VALU_DEP_1) | instskip(NEXT) | instid1(VALU_DEP_1)
	v_mul_lo_u32 v2, v1, s4
	v_sub_nc_u32_e32 v2, v7, v2
	s_waitcnt vmcnt(0)
	s_delay_alu instid0(VALU_DEP_1)
	v_mul_lo_u32 v3, v2, s12
	v_mul_lo_u32 v6, v2, s13
	;; [unrolled: 1-line block ×3, first 2 shown]
	s_cbranch_scc1 .LBB175_1577
; %bb.1576:
	s_clause 0x1
	s_load_b128 s[4:7], s[20:21], 0x10
	s_load_b128 s[12:15], s[20:21], 0xd0
	s_waitcnt lgkmcnt(0)
	v_mul_hi_u32 v2, s5, v1
	s_delay_alu instid0(VALU_DEP_1) | instskip(NEXT) | instid1(VALU_DEP_1)
	v_add_nc_u32_e32 v2, v1, v2
	v_lshrrev_b32_e32 v2, s6, v2
	s_delay_alu instid0(VALU_DEP_1) | instskip(NEXT) | instid1(VALU_DEP_1)
	v_mul_lo_u32 v2, v2, s4
	v_sub_nc_u32_e32 v4, v1, v2
	s_delay_alu instid0(VALU_DEP_1) | instskip(SKIP_2) | instid1(VALU_DEP_2)
	v_mad_u64_u32 v[1:2], null, v4, s12, v[3:4]
	v_mad_u64_u32 v[2:3], null, v4, s13, v[6:7]
	;; [unrolled: 1-line block ×3, first 2 shown]
	v_dual_mov_b32 v3, v1 :: v_dual_mov_b32 v6, v2
	s_delay_alu instid0(VALU_DEP_2)
	v_mov_b32_e32 v5, v8
.LBB175_1577:
	v_cmp_ne_u32_e32 vcc_lo, 1, v0
	v_add_nc_u32_e32 v1, 0x80, v7
	s_cbranch_vccnz .LBB175_1583
; %bb.1578:
	v_dual_mov_b32 v2, 0 :: v_dual_mov_b32 v9, 0
	v_mov_b32_e32 v8, 0
	s_cmp_lg_u32 s26, 0
	s_mov_b32 s4, 0
	s_cbranch_scc0 .LBB175_1584
; %bb.1579:
	s_min_u32 s5, s27, 15
	v_dual_mov_b32 v8, 0 :: v_dual_mov_b32 v9, 0
	s_add_i32 s2, s5, 1
	v_mov_b32_e32 v2, 0
	s_waitcnt vmcnt(0)
	v_mov_b32_e32 v4, v1
	s_and_b32 s6, s2, 30
	s_add_u32 s2, s20, 0xffffffec
	s_addc_u32 s3, s21, -1
	s_set_inst_prefetch_distance 0x1
	.p2align	6
.LBB175_1580:                           ; =>This Inner Loop Header: Depth=1
	s_clause 0x2
	s_load_b128 s[12:15], s[2:3], 0x18
	s_load_b64 s[10:11], s[2:3], 0x28
	s_load_b128 s[16:19], s[2:3], 0xd8
	s_waitcnt lgkmcnt(0)
	v_mul_hi_u32 v10, s13, v4
	s_delay_alu instid0(VALU_DEP_1) | instskip(NEXT) | instid1(VALU_DEP_1)
	v_add_nc_u32_e32 v10, v4, v10
	v_lshrrev_b32_e32 v10, s14, v10
	s_delay_alu instid0(VALU_DEP_1)
	v_mul_hi_u32 v11, s10, v10
	v_mul_lo_u32 v13, v10, s12
	s_load_b64 s[12:13], s[2:3], 0xe8
	s_add_u32 s2, s2, 24
	s_addc_u32 s3, s3, 0
	s_add_i32 s6, s6, -2
	s_delay_alu instid0(SALU_CYCLE_1) | instskip(NEXT) | instid1(VALU_DEP_2)
	s_cmp_lg_u32 s6, 0
	v_add_nc_u32_e32 v11, v10, v11
	s_delay_alu instid0(VALU_DEP_2) | instskip(NEXT) | instid1(VALU_DEP_2)
	v_sub_nc_u32_e32 v13, v4, v13
	v_lshrrev_b32_e32 v4, s11, v11
	s_delay_alu instid0(VALU_DEP_2) | instskip(NEXT) | instid1(VALU_DEP_2)
	v_mul_lo_u32 v14, v13, s16
	v_mul_lo_u32 v11, v4, s15
	s_delay_alu instid0(VALU_DEP_1) | instskip(SKIP_2) | instid1(VALU_DEP_3)
	v_sub_nc_u32_e32 v10, v10, v11
	v_mul_lo_u32 v11, v13, s17
	v_mul_lo_u32 v13, v13, s18
	;; [unrolled: 1-line block ×3, first 2 shown]
	s_waitcnt lgkmcnt(0)
	v_mul_lo_u32 v16, v10, s12
	v_mul_lo_u32 v10, v10, s13
	s_delay_alu instid0(VALU_DEP_3) | instskip(NEXT) | instid1(VALU_DEP_3)
	v_add3_u32 v2, v14, v2, v15
	v_add3_u32 v9, v11, v9, v16
	s_delay_alu instid0(VALU_DEP_3)
	v_add3_u32 v8, v13, v8, v10
	s_cbranch_scc1 .LBB175_1580
; %bb.1581:
	s_set_inst_prefetch_distance 0x2
	s_bitcmp1_b32 s5, 0
	s_cselect_b32 s5, -1, 0
	s_delay_alu instid0(SALU_CYCLE_1)
	s_and_b32 vcc_lo, exec_lo, s5
	s_cbranch_vccnz .LBB175_1584
; %bb.1582:
	s_clause 0x3
	s_load_b64 s[6:7], s[2:3], 0x18
	s_load_b32 s5, s[2:3], 0x20
	s_load_b64 s[10:11], s[2:3], 0xd8
	s_load_b32 s2, s[2:3], 0xe0
	s_waitcnt lgkmcnt(0)
	v_mul_hi_u32 v10, s7, v4
	s_delay_alu instid0(VALU_DEP_1) | instskip(NEXT) | instid1(VALU_DEP_1)
	v_add_nc_u32_e32 v10, v4, v10
	v_lshrrev_b32_e32 v10, s5, v10
	s_delay_alu instid0(VALU_DEP_1) | instskip(NEXT) | instid1(VALU_DEP_1)
	v_mul_lo_u32 v10, v10, s6
	v_sub_nc_u32_e32 v4, v4, v10
	s_delay_alu instid0(VALU_DEP_1) | instskip(NEXT) | instid1(VALU_DEP_1)
	v_mad_u64_u32 v[10:11], null, v4, s10, v[2:3]
	v_mad_u64_u32 v[13:14], null, v4, s11, v[9:10]
	;; [unrolled: 1-line block ×3, first 2 shown]
	s_delay_alu instid0(VALU_DEP_2) | instskip(NEXT) | instid1(VALU_DEP_2)
	v_dual_mov_b32 v2, v10 :: v_dual_mov_b32 v9, v13
	v_mov_b32_e32 v8, v14
	s_branch .LBB175_1584
.LBB175_1583:
	s_mov_b32 s4, -1
                                        ; implicit-def: $vgpr2
                                        ; implicit-def: $vgpr9
                                        ; implicit-def: $vgpr8
.LBB175_1584:
	s_delay_alu instid0(SALU_CYCLE_1)
	s_and_not1_b32 vcc_lo, exec_lo, s4
	s_cbranch_vccnz .LBB175_1587
; %bb.1585:
	s_clause 0x1
	s_load_b128 s[4:7], s[20:21], 0x4
	s_load_b128 s[12:15], s[20:21], 0xc4
	s_cmp_lt_u32 s26, 2
	s_waitcnt lgkmcnt(0)
	v_mul_hi_u32 v2, s5, v1
	s_delay_alu instid0(VALU_DEP_1) | instskip(SKIP_1) | instid1(VALU_DEP_1)
	v_add_nc_u32_e32 v2, v1, v2
	s_waitcnt vmcnt(0)
	v_lshrrev_b32_e32 v4, s6, v2
	s_delay_alu instid0(VALU_DEP_1) | instskip(NEXT) | instid1(VALU_DEP_1)
	v_mul_lo_u32 v2, v4, s4
	v_sub_nc_u32_e32 v1, v1, v2
	s_delay_alu instid0(VALU_DEP_1)
	v_mul_lo_u32 v2, v1, s12
	v_mul_lo_u32 v9, v1, s13
	;; [unrolled: 1-line block ×3, first 2 shown]
	s_cbranch_scc1 .LBB175_1587
; %bb.1586:
	s_clause 0x1
	s_load_b128 s[4:7], s[20:21], 0x10
	s_load_b128 s[12:15], s[20:21], 0xd0
	s_waitcnt lgkmcnt(0)
	v_mul_hi_u32 v1, s5, v4
	s_delay_alu instid0(VALU_DEP_1) | instskip(NEXT) | instid1(VALU_DEP_1)
	v_add_nc_u32_e32 v1, v4, v1
	v_lshrrev_b32_e32 v1, s6, v1
	s_delay_alu instid0(VALU_DEP_1) | instskip(NEXT) | instid1(VALU_DEP_1)
	v_mul_lo_u32 v1, v1, s4
	v_sub_nc_u32_e32 v4, v4, v1
	s_delay_alu instid0(VALU_DEP_1) | instskip(SKIP_1) | instid1(VALU_DEP_2)
	v_mad_u64_u32 v[10:11], null, v4, s12, v[2:3]
	v_mad_u64_u32 v[13:14], null, v4, s14, v[8:9]
	;; [unrolled: 1-line block ×3, first 2 shown]
	v_mov_b32_e32 v2, v10
	s_delay_alu instid0(VALU_DEP_3) | instskip(NEXT) | instid1(VALU_DEP_3)
	v_mov_b32_e32 v8, v13
	v_mov_b32_e32 v9, v1
.LBB175_1587:
	v_cmp_ne_u32_e32 vcc_lo, 1, v0
	s_waitcnt vmcnt(0)
	v_add_nc_u32_e32 v4, 0x100, v7
	s_cbranch_vccnz .LBB175_1593
; %bb.1588:
	v_dual_mov_b32 v1, 0 :: v_dual_mov_b32 v10, 0
	v_mov_b32_e32 v11, 0
	s_cmp_lg_u32 s26, 0
	s_mov_b32 s4, 0
	s_cbranch_scc0 .LBB175_1594
; %bb.1589:
	s_min_u32 s5, s27, 15
	v_dual_mov_b32 v10, 0 :: v_dual_mov_b32 v11, 0
	s_add_i32 s2, s5, 1
	v_mov_b32_e32 v1, 0
	v_mov_b32_e32 v7, v4
	s_and_b32 s6, s2, 30
	s_add_u32 s2, s20, 0xffffffec
	s_addc_u32 s3, s21, -1
	s_set_inst_prefetch_distance 0x1
	.p2align	6
.LBB175_1590:                           ; =>This Inner Loop Header: Depth=1
	s_clause 0x2
	s_load_b128 s[12:15], s[2:3], 0x18
	s_load_b64 s[10:11], s[2:3], 0x28
	s_load_b128 s[16:19], s[2:3], 0xd8
	s_waitcnt lgkmcnt(0)
	v_mul_hi_u32 v13, s13, v7
	s_delay_alu instid0(VALU_DEP_1) | instskip(NEXT) | instid1(VALU_DEP_1)
	v_add_nc_u32_e32 v13, v7, v13
	v_lshrrev_b32_e32 v13, s14, v13
	s_delay_alu instid0(VALU_DEP_1)
	v_mul_hi_u32 v14, s10, v13
	v_mul_lo_u32 v15, v13, s12
	s_load_b64 s[12:13], s[2:3], 0xe8
	s_add_u32 s2, s2, 24
	s_addc_u32 s3, s3, 0
	s_add_i32 s6, s6, -2
	s_delay_alu instid0(SALU_CYCLE_1) | instskip(NEXT) | instid1(VALU_DEP_2)
	s_cmp_lg_u32 s6, 0
	v_add_nc_u32_e32 v14, v13, v14
	s_delay_alu instid0(VALU_DEP_2) | instskip(NEXT) | instid1(VALU_DEP_2)
	v_sub_nc_u32_e32 v15, v7, v15
	v_lshrrev_b32_e32 v7, s11, v14
	s_delay_alu instid0(VALU_DEP_2) | instskip(NEXT) | instid1(VALU_DEP_2)
	v_mul_lo_u32 v16, v15, s16
	v_mul_lo_u32 v14, v7, s15
	s_delay_alu instid0(VALU_DEP_1) | instskip(SKIP_2) | instid1(VALU_DEP_3)
	v_sub_nc_u32_e32 v13, v13, v14
	v_mul_lo_u32 v14, v15, s17
	v_mul_lo_u32 v15, v15, s18
	;; [unrolled: 1-line block ×3, first 2 shown]
	s_waitcnt lgkmcnt(0)
	v_mul_lo_u32 v18, v13, s12
	v_mul_lo_u32 v13, v13, s13
	s_delay_alu instid0(VALU_DEP_3) | instskip(NEXT) | instid1(VALU_DEP_3)
	v_add3_u32 v1, v16, v1, v17
	v_add3_u32 v11, v14, v11, v18
	s_delay_alu instid0(VALU_DEP_3)
	v_add3_u32 v10, v15, v10, v13
	s_cbranch_scc1 .LBB175_1590
; %bb.1591:
	s_set_inst_prefetch_distance 0x2
	s_bitcmp1_b32 s5, 0
	s_cselect_b32 s5, -1, 0
	s_delay_alu instid0(SALU_CYCLE_1)
	s_and_b32 vcc_lo, exec_lo, s5
	s_cbranch_vccnz .LBB175_1594
; %bb.1592:
	s_clause 0x3
	s_load_b64 s[6:7], s[2:3], 0x18
	s_load_b32 s5, s[2:3], 0x20
	s_load_b64 s[10:11], s[2:3], 0xd8
	s_load_b32 s2, s[2:3], 0xe0
	s_waitcnt lgkmcnt(0)
	v_mul_hi_u32 v13, s7, v7
	s_delay_alu instid0(VALU_DEP_1) | instskip(NEXT) | instid1(VALU_DEP_1)
	v_add_nc_u32_e32 v13, v7, v13
	v_lshrrev_b32_e32 v13, s5, v13
	s_delay_alu instid0(VALU_DEP_1) | instskip(NEXT) | instid1(VALU_DEP_1)
	v_mul_lo_u32 v13, v13, s6
	v_sub_nc_u32_e32 v7, v7, v13
	s_delay_alu instid0(VALU_DEP_1) | instskip(SKIP_2) | instid1(VALU_DEP_3)
	v_mad_u64_u32 v[13:14], null, v7, s10, v[1:2]
	v_mad_u64_u32 v[14:15], null, v7, s11, v[11:12]
	;; [unrolled: 1-line block ×3, first 2 shown]
	v_mov_b32_e32 v1, v13
	s_delay_alu instid0(VALU_DEP_2)
	v_dual_mov_b32 v11, v14 :: v_dual_mov_b32 v10, v15
	s_branch .LBB175_1594
.LBB175_1593:
	s_mov_b32 s4, -1
                                        ; implicit-def: $vgpr1
                                        ; implicit-def: $vgpr11
                                        ; implicit-def: $vgpr10
.LBB175_1594:
	s_delay_alu instid0(SALU_CYCLE_1)
	s_and_not1_b32 vcc_lo, exec_lo, s4
	s_cbranch_vccnz .LBB175_1597
; %bb.1595:
	s_clause 0x1
	s_load_b128 s[4:7], s[20:21], 0x4
	s_load_b128 s[12:15], s[20:21], 0xc4
	s_cmp_lt_u32 s26, 2
	s_waitcnt lgkmcnt(0)
	v_mul_hi_u32 v1, s5, v4
	s_delay_alu instid0(VALU_DEP_1) | instskip(NEXT) | instid1(VALU_DEP_1)
	v_add_nc_u32_e32 v1, v4, v1
	v_lshrrev_b32_e32 v7, s6, v1
	s_delay_alu instid0(VALU_DEP_1) | instskip(NEXT) | instid1(VALU_DEP_1)
	v_mul_lo_u32 v1, v7, s4
	v_sub_nc_u32_e32 v4, v4, v1
	s_delay_alu instid0(VALU_DEP_1)
	v_mul_lo_u32 v1, v4, s12
	v_mul_lo_u32 v11, v4, s13
	;; [unrolled: 1-line block ×3, first 2 shown]
	s_cbranch_scc1 .LBB175_1597
; %bb.1596:
	s_clause 0x1
	s_load_b128 s[4:7], s[20:21], 0x10
	s_load_b128 s[12:15], s[20:21], 0xd0
	s_waitcnt lgkmcnt(0)
	v_mul_hi_u32 v4, s5, v7
	s_delay_alu instid0(VALU_DEP_1) | instskip(NEXT) | instid1(VALU_DEP_1)
	v_add_nc_u32_e32 v4, v7, v4
	v_lshrrev_b32_e32 v4, s6, v4
	s_delay_alu instid0(VALU_DEP_1) | instskip(NEXT) | instid1(VALU_DEP_1)
	v_mul_lo_u32 v4, v4, s4
	v_sub_nc_u32_e32 v4, v7, v4
	s_delay_alu instid0(VALU_DEP_1) | instskip(SKIP_2) | instid1(VALU_DEP_3)
	v_mad_u64_u32 v[13:14], null, v4, s12, v[1:2]
	v_mad_u64_u32 v[14:15], null, v4, s13, v[11:12]
	;; [unrolled: 1-line block ×3, first 2 shown]
	v_mov_b32_e32 v1, v13
	s_delay_alu instid0(VALU_DEP_2)
	v_dual_mov_b32 v11, v14 :: v_dual_mov_b32 v10, v15
.LBB175_1597:
	v_cmp_ne_u32_e32 vcc_lo, 1, v0
	s_cbranch_vccnz .LBB175_1603
; %bb.1598:
	v_dual_mov_b32 v0, 0 :: v_dual_mov_b32 v7, 0
	v_mov_b32_e32 v4, 0
	s_cmp_lg_u32 s26, 0
	s_mov_b32 s4, 0
	s_cbranch_scc0 .LBB175_1604
; %bb.1599:
	s_min_u32 s5, s27, 15
	v_dual_mov_b32 v4, 0 :: v_dual_mov_b32 v7, 0
	s_add_i32 s2, s5, 1
	v_dual_mov_b32 v0, 0 :: v_dual_mov_b32 v13, v12
	s_and_b32 s6, s2, 30
	s_add_u32 s2, s20, 0xffffffec
	s_addc_u32 s3, s21, -1
	s_set_inst_prefetch_distance 0x1
	.p2align	6
.LBB175_1600:                           ; =>This Inner Loop Header: Depth=1
	s_clause 0x2
	s_load_b128 s[12:15], s[2:3], 0x18
	s_load_b64 s[10:11], s[2:3], 0x28
	s_load_b128 s[16:19], s[2:3], 0xd8
	s_waitcnt lgkmcnt(0)
	v_mul_hi_u32 v14, s13, v13
	s_delay_alu instid0(VALU_DEP_1) | instskip(NEXT) | instid1(VALU_DEP_1)
	v_add_nc_u32_e32 v14, v13, v14
	v_lshrrev_b32_e32 v14, s14, v14
	s_delay_alu instid0(VALU_DEP_1)
	v_mul_hi_u32 v15, s10, v14
	v_mul_lo_u32 v16, v14, s12
	s_load_b64 s[12:13], s[2:3], 0xe8
	s_add_u32 s2, s2, 24
	s_addc_u32 s3, s3, 0
	s_add_i32 s6, s6, -2
	s_delay_alu instid0(SALU_CYCLE_1) | instskip(NEXT) | instid1(VALU_DEP_2)
	s_cmp_lg_u32 s6, 0
	v_add_nc_u32_e32 v15, v14, v15
	s_delay_alu instid0(VALU_DEP_2) | instskip(NEXT) | instid1(VALU_DEP_2)
	v_sub_nc_u32_e32 v16, v13, v16
	v_lshrrev_b32_e32 v13, s11, v15
	s_delay_alu instid0(VALU_DEP_2) | instskip(NEXT) | instid1(VALU_DEP_2)
	v_mul_lo_u32 v17, v16, s16
	v_mul_lo_u32 v15, v13, s15
	s_delay_alu instid0(VALU_DEP_1) | instskip(SKIP_2) | instid1(VALU_DEP_3)
	v_sub_nc_u32_e32 v14, v14, v15
	v_mul_lo_u32 v15, v16, s17
	v_mul_lo_u32 v16, v16, s18
	;; [unrolled: 1-line block ×3, first 2 shown]
	s_waitcnt lgkmcnt(0)
	v_mul_lo_u32 v19, v14, s12
	v_mul_lo_u32 v14, v14, s13
	s_delay_alu instid0(VALU_DEP_3) | instskip(NEXT) | instid1(VALU_DEP_3)
	v_add3_u32 v0, v17, v0, v18
	v_add3_u32 v7, v15, v7, v19
	s_delay_alu instid0(VALU_DEP_3)
	v_add3_u32 v4, v16, v4, v14
	s_cbranch_scc1 .LBB175_1600
; %bb.1601:
	s_set_inst_prefetch_distance 0x2
	s_bitcmp1_b32 s5, 0
	s_cselect_b32 s5, -1, 0
	s_delay_alu instid0(SALU_CYCLE_1)
	s_and_b32 vcc_lo, exec_lo, s5
	s_cbranch_vccnz .LBB175_1604
; %bb.1602:
	s_clause 0x3
	s_load_b64 s[6:7], s[2:3], 0x18
	s_load_b32 s5, s[2:3], 0x20
	s_load_b64 s[10:11], s[2:3], 0xd8
	s_load_b32 s2, s[2:3], 0xe0
	s_waitcnt lgkmcnt(0)
	v_mul_hi_u32 v14, s7, v13
	s_delay_alu instid0(VALU_DEP_1) | instskip(NEXT) | instid1(VALU_DEP_1)
	v_add_nc_u32_e32 v14, v13, v14
	v_lshrrev_b32_e32 v14, s5, v14
	s_delay_alu instid0(VALU_DEP_1) | instskip(NEXT) | instid1(VALU_DEP_1)
	v_mul_lo_u32 v14, v14, s6
	v_sub_nc_u32_e32 v17, v13, v14
	s_delay_alu instid0(VALU_DEP_1) | instskip(SKIP_2) | instid1(VALU_DEP_2)
	v_mad_u64_u32 v[13:14], null, v17, s10, v[0:1]
	v_mad_u64_u32 v[14:15], null, v17, s11, v[7:8]
	;; [unrolled: 1-line block ×3, first 2 shown]
	v_dual_mov_b32 v0, v13 :: v_dual_mov_b32 v7, v14
	s_delay_alu instid0(VALU_DEP_2)
	v_mov_b32_e32 v4, v15
	s_branch .LBB175_1604
.LBB175_1603:
	s_mov_b32 s4, -1
                                        ; implicit-def: $vgpr0
                                        ; implicit-def: $vgpr7
                                        ; implicit-def: $vgpr4
.LBB175_1604:
	s_delay_alu instid0(SALU_CYCLE_1)
	s_and_not1_b32 vcc_lo, exec_lo, s4
	s_cbranch_vccnz .LBB175_1607
; %bb.1605:
	s_clause 0x1
	s_load_b128 s[4:7], s[20:21], 0x4
	s_load_b128 s[12:15], s[20:21], 0xc4
	s_cmp_lt_u32 s26, 2
	s_waitcnt lgkmcnt(0)
	v_mul_hi_u32 v0, s5, v12
	s_delay_alu instid0(VALU_DEP_1) | instskip(NEXT) | instid1(VALU_DEP_1)
	v_add_nc_u32_e32 v0, v12, v0
	v_lshrrev_b32_e32 v13, s6, v0
	s_delay_alu instid0(VALU_DEP_1) | instskip(NEXT) | instid1(VALU_DEP_1)
	v_mul_lo_u32 v0, v13, s4
	v_sub_nc_u32_e32 v4, v12, v0
	s_delay_alu instid0(VALU_DEP_1)
	v_mul_lo_u32 v0, v4, s12
	v_mul_lo_u32 v7, v4, s13
	;; [unrolled: 1-line block ×3, first 2 shown]
	s_cbranch_scc1 .LBB175_1607
; %bb.1606:
	s_clause 0x1
	s_load_b128 s[4:7], s[20:21], 0x10
	s_load_b128 s[12:15], s[20:21], 0xd0
	s_waitcnt lgkmcnt(0)
	v_mul_hi_u32 v12, s5, v13
	s_delay_alu instid0(VALU_DEP_1) | instskip(NEXT) | instid1(VALU_DEP_1)
	v_add_nc_u32_e32 v12, v13, v12
	v_lshrrev_b32_e32 v12, s6, v12
	s_delay_alu instid0(VALU_DEP_1) | instskip(NEXT) | instid1(VALU_DEP_1)
	v_mul_lo_u32 v12, v12, s4
	v_sub_nc_u32_e32 v16, v13, v12
	s_delay_alu instid0(VALU_DEP_1) | instskip(SKIP_2) | instid1(VALU_DEP_2)
	v_mad_u64_u32 v[12:13], null, v16, s12, v[0:1]
	v_mad_u64_u32 v[13:14], null, v16, s13, v[7:8]
	;; [unrolled: 1-line block ×3, first 2 shown]
	v_dual_mov_b32 v0, v12 :: v_dual_mov_b32 v7, v13
	s_delay_alu instid0(VALU_DEP_2)
	v_mov_b32_e32 v4, v14
.LBB175_1607:
	s_clause 0x1
	s_load_b32 s2, s[0:1], 0x1ac
	s_load_b128 s[4:7], s[20:21], 0x188
	s_mov_b32 s3, 0
	s_waitcnt lgkmcnt(0)
	s_lshr_b32 s0, s2, 8
	s_delay_alu instid0(SALU_CYCLE_1) | instskip(SKIP_1) | instid1(VALU_DEP_1)
	v_and_b32_e64 v15, 0xff, s0
	v_add_co_u32 v12, s0, s6, v6
	v_add_co_ci_u32_e64 v13, null, s7, 0, s0
	s_delay_alu instid0(VALU_DEP_3)
	v_cmp_gt_i16_e32 vcc_lo, 11, v15
	s_cbranch_vccnz .LBB175_1614
; %bb.1608:
	v_cmp_lt_i16_e32 vcc_lo, 25, v15
	s_mov_b32 s1, 0
	s_cbranch_vccz .LBB175_1620
; %bb.1609:
	v_cmp_lt_i16_e32 vcc_lo, 28, v15
	s_cbranch_vccz .LBB175_1622
; %bb.1610:
	v_cmp_lt_i16_e32 vcc_lo, 43, v15
	;; [unrolled: 3-line block ×3, first 2 shown]
	s_cbranch_vccz .LBB175_1628
; %bb.1612:
	v_cmp_eq_u16_e32 vcc_lo, 46, v15
	s_mov_b32 s10, 0
	s_cbranch_vccz .LBB175_1670
; %bb.1613:
	global_load_b32 v14, v[12:13], off
	s_mov_b32 s0, 0
	s_mov_b32 s3, -1
	s_branch .LBB175_1672
.LBB175_1614:
	s_mov_b32 s10, s8
                                        ; implicit-def: $vgpr14
	s_cbranch_execz .LBB175_1735
; %bb.1615:
	v_cmp_gt_i16_e32 vcc_lo, 5, v15
	s_cbranch_vccnz .LBB175_1621
; %bb.1616:
	v_cmp_gt_i16_e32 vcc_lo, 8, v15
	s_cbranch_vccnz .LBB175_1623
	;; [unrolled: 3-line block ×3, first 2 shown]
; %bb.1618:
	v_cmp_lt_i16_e32 vcc_lo, 9, v15
	s_cbranch_vccz .LBB175_1629
; %bb.1619:
	global_load_b64 v[16:17], v[12:13], off
	s_mov_b32 s0, 0
	s_waitcnt vmcnt(0)
	v_cvt_f32_f64_e32 v6, v[16:17]
	s_delay_alu instid0(VALU_DEP_1) | instskip(SKIP_1) | instid1(VALU_DEP_2)
	v_bfe_u32 v14, v6, 16, 1
	v_cmp_o_f32_e32 vcc_lo, v6, v6
	v_add3_u32 v14, v6, v14, 0x7fff
	s_delay_alu instid0(VALU_DEP_1) | instskip(NEXT) | instid1(VALU_DEP_1)
	v_lshrrev_b32_e32 v14, 16, v14
	v_cndmask_b32_e32 v14, 0x7fc0, v14, vcc_lo
	s_branch .LBB175_1630
.LBB175_1620:
	s_mov_b32 s0, 0
                                        ; implicit-def: $vgpr14
	s_cbranch_execnz .LBB175_1700
	s_branch .LBB175_1731
.LBB175_1621:
                                        ; implicit-def: $vgpr14
	s_branch .LBB175_1647
.LBB175_1622:
	s_mov_b32 s10, -1
	s_mov_b32 s0, 0
                                        ; implicit-def: $vgpr14
	s_branch .LBB175_1681
.LBB175_1623:
                                        ; implicit-def: $vgpr14
	s_branch .LBB175_1636
.LBB175_1624:
	s_mov_b32 s0, 0
                                        ; implicit-def: $vgpr14
	s_cbranch_execnz .LBB175_1677
	s_branch .LBB175_1680
.LBB175_1625:
	s_mov_b32 s0, -1
                                        ; implicit-def: $vgpr14
	s_branch .LBB175_1633
.LBB175_1626:
	s_cbranch_execnz .LBB175_1668
; %bb.1627:
	s_or_b32 s3, s3, exec_lo
	s_and_not1_b32 s2, s2, exec_lo
	s_or_b32 exec_lo, exec_lo, s4
	s_and_saveexec_b32 s4, s2
	s_delay_alu instid0(SALU_CYCLE_1)
	s_xor_b32 s2, exec_lo, s4
	s_cbranch_execnz .LBB175_1526
	s_branch .LBB175_1527
.LBB175_1628:
	s_mov_b32 s10, -1
	s_mov_b32 s0, 0
	s_branch .LBB175_1671
.LBB175_1629:
	s_mov_b32 s0, -1
                                        ; implicit-def: $vgpr14
.LBB175_1630:
	s_delay_alu instid0(SALU_CYCLE_1)
	s_and_not1_b32 vcc_lo, exec_lo, s0
	s_cbranch_vccnz .LBB175_1632
; %bb.1631:
	global_load_b32 v6, v[12:13], off
	s_waitcnt vmcnt(0)
	v_bfe_u32 v14, v6, 16, 1
	v_cmp_o_f32_e32 vcc_lo, v6, v6
	s_delay_alu instid0(VALU_DEP_2) | instskip(NEXT) | instid1(VALU_DEP_1)
	v_add3_u32 v14, v6, v14, 0x7fff
	v_lshrrev_b32_e32 v14, 16, v14
	s_delay_alu instid0(VALU_DEP_1)
	v_cndmask_b32_e32 v14, 0x7fc0, v14, vcc_lo
.LBB175_1632:
	s_mov_b32 s0, 0
.LBB175_1633:
	s_delay_alu instid0(SALU_CYCLE_1)
	s_and_not1_b32 vcc_lo, exec_lo, s0
	s_cbranch_vccnz .LBB175_1635
; %bb.1634:
	global_load_b32 v6, v[12:13], off
	s_waitcnt vmcnt(0)
	v_cvt_f32_f16_e32 v14, v6
	v_cmp_o_f16_e32 vcc_lo, v6, v6
	s_delay_alu instid0(VALU_DEP_2) | instskip(NEXT) | instid1(VALU_DEP_1)
	v_bfe_u32 v16, v14, 16, 1
	v_add3_u32 v14, v14, v16, 0x7fff
	s_delay_alu instid0(VALU_DEP_1) | instskip(NEXT) | instid1(VALU_DEP_1)
	v_lshrrev_b32_e32 v14, 16, v14
	v_cndmask_b32_e32 v14, 0x7fc0, v14, vcc_lo
.LBB175_1635:
	s_cbranch_execnz .LBB175_1646
.LBB175_1636:
	v_cmp_gt_i16_e32 vcc_lo, 6, v15
	s_cbranch_vccnz .LBB175_1639
; %bb.1637:
	v_cmp_lt_i16_e32 vcc_lo, 6, v15
	s_cbranch_vccz .LBB175_1640
; %bb.1638:
	global_load_b64 v[16:17], v[12:13], off
	s_mov_b32 s0, 0
	s_waitcnt vmcnt(0)
	v_cvt_f32_f64_e32 v6, v[16:17]
	s_delay_alu instid0(VALU_DEP_1) | instskip(SKIP_1) | instid1(VALU_DEP_2)
	v_bfe_u32 v14, v6, 16, 1
	v_cmp_o_f32_e32 vcc_lo, v6, v6
	v_add3_u32 v14, v6, v14, 0x7fff
	s_delay_alu instid0(VALU_DEP_1) | instskip(NEXT) | instid1(VALU_DEP_1)
	v_lshrrev_b32_e32 v14, 16, v14
	v_cndmask_b32_e32 v14, 0x7fc0, v14, vcc_lo
	s_branch .LBB175_1641
.LBB175_1639:
	s_mov_b32 s0, -1
                                        ; implicit-def: $vgpr14
	s_branch .LBB175_1644
.LBB175_1640:
	s_mov_b32 s0, -1
                                        ; implicit-def: $vgpr14
.LBB175_1641:
	s_delay_alu instid0(SALU_CYCLE_1)
	s_and_not1_b32 vcc_lo, exec_lo, s0
	s_cbranch_vccnz .LBB175_1643
; %bb.1642:
	global_load_b32 v6, v[12:13], off
	s_waitcnt vmcnt(0)
	v_bfe_u32 v14, v6, 16, 1
	v_cmp_o_f32_e32 vcc_lo, v6, v6
	s_delay_alu instid0(VALU_DEP_2) | instskip(NEXT) | instid1(VALU_DEP_1)
	v_add3_u32 v14, v6, v14, 0x7fff
	v_lshrrev_b32_e32 v14, 16, v14
	s_delay_alu instid0(VALU_DEP_1)
	v_cndmask_b32_e32 v14, 0x7fc0, v14, vcc_lo
.LBB175_1643:
	s_mov_b32 s0, 0
.LBB175_1644:
	s_delay_alu instid0(SALU_CYCLE_1)
	s_and_not1_b32 vcc_lo, exec_lo, s0
	s_cbranch_vccnz .LBB175_1646
; %bb.1645:
	global_load_u16 v6, v[12:13], off
	s_waitcnt vmcnt(0)
	v_cvt_f32_f16_e32 v14, v6
	v_cmp_o_f16_e32 vcc_lo, v6, v6
	s_delay_alu instid0(VALU_DEP_2) | instskip(NEXT) | instid1(VALU_DEP_1)
	v_bfe_u32 v16, v14, 16, 1
	v_add3_u32 v14, v14, v16, 0x7fff
	s_delay_alu instid0(VALU_DEP_1) | instskip(NEXT) | instid1(VALU_DEP_1)
	v_lshrrev_b32_e32 v14, 16, v14
	v_cndmask_b32_e32 v14, 0x7fc0, v14, vcc_lo
.LBB175_1646:
	s_cbranch_execnz .LBB175_1665
.LBB175_1647:
	v_cmp_gt_i16_e32 vcc_lo, 2, v15
	s_cbranch_vccnz .LBB175_1651
; %bb.1648:
	v_cmp_gt_i16_e32 vcc_lo, 3, v15
	s_cbranch_vccnz .LBB175_1652
; %bb.1649:
	v_cmp_lt_i16_e32 vcc_lo, 3, v15
	s_cbranch_vccz .LBB175_1653
; %bb.1650:
	global_load_b64 v[16:17], v[12:13], off
	s_mov_b32 s0, 0
	s_waitcnt vmcnt(0)
	v_xor_b32_e32 v6, v16, v17
	v_cls_i32_e32 v14, v17
	s_delay_alu instid0(VALU_DEP_2) | instskip(NEXT) | instid1(VALU_DEP_2)
	v_ashrrev_i32_e32 v6, 31, v6
	v_add_nc_u32_e32 v14, -1, v14
	s_delay_alu instid0(VALU_DEP_2) | instskip(NEXT) | instid1(VALU_DEP_1)
	v_add_nc_u32_e32 v6, 32, v6
	v_min_u32_e32 v6, v14, v6
	s_delay_alu instid0(VALU_DEP_1) | instskip(SKIP_1) | instid1(VALU_DEP_2)
	v_lshlrev_b64 v[16:17], v6, v[16:17]
	v_sub_nc_u32_e32 v6, 32, v6
	v_min_u32_e32 v14, 1, v16
	s_delay_alu instid0(VALU_DEP_1) | instskip(NEXT) | instid1(VALU_DEP_1)
	v_or_b32_e32 v14, v17, v14
	v_cvt_f32_i32_e32 v14, v14
	s_delay_alu instid0(VALU_DEP_1) | instskip(NEXT) | instid1(VALU_DEP_1)
	v_ldexp_f32 v6, v14, v6
	v_bfe_u32 v14, v6, 16, 1
	s_delay_alu instid0(VALU_DEP_1) | instskip(NEXT) | instid1(VALU_DEP_1)
	v_add3_u32 v6, v6, v14, 0x7fff
	v_lshrrev_b32_e32 v14, 16, v6
	s_branch .LBB175_1654
.LBB175_1651:
                                        ; implicit-def: $vgpr14
	s_branch .LBB175_1660
.LBB175_1652:
	s_mov_b32 s0, -1
                                        ; implicit-def: $vgpr14
	s_branch .LBB175_1657
.LBB175_1653:
	s_mov_b32 s0, -1
                                        ; implicit-def: $vgpr14
.LBB175_1654:
	s_delay_alu instid0(SALU_CYCLE_1)
	s_and_not1_b32 vcc_lo, exec_lo, s0
	s_cbranch_vccnz .LBB175_1656
; %bb.1655:
	global_load_b32 v6, v[12:13], off
	s_waitcnt vmcnt(0)
	v_cvt_f32_i32_e32 v6, v6
	s_delay_alu instid0(VALU_DEP_1) | instskip(NEXT) | instid1(VALU_DEP_1)
	v_bfe_u32 v14, v6, 16, 1
	v_add3_u32 v6, v6, v14, 0x7fff
	s_delay_alu instid0(VALU_DEP_1)
	v_lshrrev_b32_e32 v14, 16, v6
.LBB175_1656:
	s_mov_b32 s0, 0
.LBB175_1657:
	s_delay_alu instid0(SALU_CYCLE_1)
	s_and_not1_b32 vcc_lo, exec_lo, s0
	s_cbranch_vccnz .LBB175_1659
; %bb.1658:
	global_load_i16 v6, v[12:13], off
	s_waitcnt vmcnt(0)
	v_cvt_f32_i32_e32 v6, v6
	s_delay_alu instid0(VALU_DEP_1) | instskip(NEXT) | instid1(VALU_DEP_1)
	v_bfe_u32 v14, v6, 16, 1
	v_add3_u32 v6, v6, v14, 0x7fff
	s_delay_alu instid0(VALU_DEP_1)
	v_lshrrev_b32_e32 v14, 16, v6
.LBB175_1659:
	s_cbranch_execnz .LBB175_1665
.LBB175_1660:
	v_cmp_lt_i16_e32 vcc_lo, 0, v15
	s_mov_b32 s0, 0
	s_cbranch_vccz .LBB175_1662
; %bb.1661:
	global_load_i8 v6, v[12:13], off
	s_waitcnt vmcnt(0)
	v_cvt_f32_i32_e32 v6, v6
	s_delay_alu instid0(VALU_DEP_1) | instskip(NEXT) | instid1(VALU_DEP_1)
	v_bfe_u32 v14, v6, 16, 1
	v_add3_u32 v6, v6, v14, 0x7fff
	s_delay_alu instid0(VALU_DEP_1)
	v_lshrrev_b32_e32 v14, 16, v6
	s_branch .LBB175_1663
.LBB175_1662:
	s_mov_b32 s0, -1
                                        ; implicit-def: $vgpr14
.LBB175_1663:
	s_delay_alu instid0(SALU_CYCLE_1)
	s_and_not1_b32 vcc_lo, exec_lo, s0
	s_cbranch_vccnz .LBB175_1665
; %bb.1664:
	global_load_u8 v6, v[12:13], off
	s_waitcnt vmcnt(0)
	v_cvt_f32_ubyte0_e32 v6, v6
	s_delay_alu instid0(VALU_DEP_1) | instskip(NEXT) | instid1(VALU_DEP_1)
	v_bfe_u32 v12, v6, 16, 1
	v_add3_u32 v6, v6, v12, 0x7fff
	s_delay_alu instid0(VALU_DEP_1)
	v_lshrrev_b32_e32 v14, 16, v6
.LBB175_1665:
	s_branch .LBB175_1736
.LBB175_1666:
	s_trap 2
	s_sendmsg_rtn_b32 s0, sendmsg(MSG_RTN_GET_DOORBELL)
	s_mov_b32 ttmp2, m0
	s_waitcnt lgkmcnt(0)
	s_and_b32 s0, s0, 0x3ff
	s_delay_alu instid0(SALU_CYCLE_1) | instskip(NEXT) | instid1(SALU_CYCLE_1)
	s_bitset1_b32 s0, 10
	s_mov_b32 m0, s0
	s_sendmsg sendmsg(MSG_INTERRUPT)
	s_mov_b32 m0, ttmp2
.LBB175_1667:                           ; =>This Inner Loop Header: Depth=1
	s_sethalt 5
	s_branch .LBB175_1667
.LBB175_1668:
	s_trap 2
	s_sendmsg_rtn_b32 s0, sendmsg(MSG_RTN_GET_DOORBELL)
	s_mov_b32 ttmp2, m0
	s_waitcnt lgkmcnt(0)
	s_and_b32 s0, s0, 0x3ff
	s_delay_alu instid0(SALU_CYCLE_1) | instskip(NEXT) | instid1(SALU_CYCLE_1)
	s_bitset1_b32 s0, 10
	s_mov_b32 m0, s0
	s_sendmsg sendmsg(MSG_INTERRUPT)
	s_mov_b32 m0, ttmp2
.LBB175_1669:                           ; =>This Inner Loop Header: Depth=1
	s_sethalt 5
	s_branch .LBB175_1669
.LBB175_1670:
	s_mov_b32 s0, -1
.LBB175_1671:
                                        ; implicit-def: $vgpr14
.LBB175_1672:
	s_and_b32 vcc_lo, exec_lo, s10
	s_cbranch_vccz .LBB175_1675
; %bb.1673:
	v_cmp_eq_u16_e32 vcc_lo, 44, v15
	s_cbranch_vccz .LBB175_1676
; %bb.1674:
	global_load_u8 v6, v[12:13], off
	s_mov_b32 s0, 0
	s_mov_b32 s3, -1
	s_waitcnt vmcnt(0)
	v_lshlrev_b32_e32 v14, 23, v6
	v_cmp_ne_u32_e32 vcc_lo, 0xff, v6
	s_delay_alu instid0(VALU_DEP_2) | instskip(SKIP_1) | instid1(VALU_DEP_2)
	v_cndmask_b32_e32 v14, 0x7f800001, v14, vcc_lo
	v_cmp_ne_u32_e32 vcc_lo, 0, v6
	v_cndmask_b32_e32 v6, 0x400000, v14, vcc_lo
	s_delay_alu instid0(VALU_DEP_1) | instskip(SKIP_1) | instid1(VALU_DEP_2)
	v_add_nc_u32_e32 v14, 0x7fff, v6
	v_cmp_o_f32_e32 vcc_lo, v6, v6
	v_lshrrev_b32_e32 v14, 16, v14
	s_delay_alu instid0(VALU_DEP_1)
	v_cndmask_b32_e32 v14, 0x7fc0, v14, vcc_lo
.LBB175_1675:
	s_branch .LBB175_1680
.LBB175_1676:
	s_mov_b32 s0, -1
                                        ; implicit-def: $vgpr14
	s_branch .LBB175_1680
.LBB175_1677:
	v_cmp_eq_u16_e32 vcc_lo, 29, v15
	s_cbranch_vccz .LBB175_1679
; %bb.1678:
	global_load_b64 v[16:17], v[12:13], off
	s_mov_b32 s0, 0
	s_mov_b32 s3, -1
	s_mov_b32 s10, 0
	s_waitcnt vmcnt(0)
	v_clz_i32_u32_e32 v6, v17
	s_delay_alu instid0(VALU_DEP_1) | instskip(NEXT) | instid1(VALU_DEP_1)
	v_min_u32_e32 v6, 32, v6
	v_lshlrev_b64 v[16:17], v6, v[16:17]
	v_sub_nc_u32_e32 v6, 32, v6
	s_delay_alu instid0(VALU_DEP_2) | instskip(NEXT) | instid1(VALU_DEP_1)
	v_min_u32_e32 v14, 1, v16
	v_or_b32_e32 v14, v17, v14
	s_delay_alu instid0(VALU_DEP_1) | instskip(NEXT) | instid1(VALU_DEP_1)
	v_cvt_f32_u32_e32 v14, v14
	v_ldexp_f32 v6, v14, v6
	s_delay_alu instid0(VALU_DEP_1) | instskip(NEXT) | instid1(VALU_DEP_1)
	v_bfe_u32 v14, v6, 16, 1
	v_add3_u32 v6, v6, v14, 0x7fff
	s_delay_alu instid0(VALU_DEP_1)
	v_lshrrev_b32_e32 v14, 16, v6
	s_branch .LBB175_1681
.LBB175_1679:
	s_mov_b32 s0, -1
                                        ; implicit-def: $vgpr14
.LBB175_1680:
	s_mov_b32 s10, 0
.LBB175_1681:
	s_delay_alu instid0(SALU_CYCLE_1)
	s_and_b32 vcc_lo, exec_lo, s10
	s_cbranch_vccz .LBB175_1699
; %bb.1682:
	v_cmp_gt_i16_e32 vcc_lo, 27, v15
	s_cbranch_vccnz .LBB175_1685
; %bb.1683:
	v_cmp_lt_i16_e32 vcc_lo, 27, v15
	s_cbranch_vccz .LBB175_1686
; %bb.1684:
	global_load_b32 v6, v[12:13], off
	s_mov_b32 s3, 0
	s_waitcnt vmcnt(0)
	v_cvt_f32_u32_e32 v6, v6
	s_delay_alu instid0(VALU_DEP_1) | instskip(NEXT) | instid1(VALU_DEP_1)
	v_bfe_u32 v14, v6, 16, 1
	v_add3_u32 v6, v6, v14, 0x7fff
	s_delay_alu instid0(VALU_DEP_1)
	v_lshrrev_b32_e32 v14, 16, v6
	s_branch .LBB175_1687
.LBB175_1685:
	s_mov_b32 s3, -1
                                        ; implicit-def: $vgpr14
	s_branch .LBB175_1690
.LBB175_1686:
	s_mov_b32 s3, -1
                                        ; implicit-def: $vgpr14
.LBB175_1687:
	s_delay_alu instid0(SALU_CYCLE_1)
	s_and_not1_b32 vcc_lo, exec_lo, s3
	s_cbranch_vccnz .LBB175_1689
; %bb.1688:
	global_load_u16 v6, v[12:13], off
	s_waitcnt vmcnt(0)
	v_cvt_f32_u32_e32 v6, v6
	s_delay_alu instid0(VALU_DEP_1) | instskip(NEXT) | instid1(VALU_DEP_1)
	v_bfe_u32 v14, v6, 16, 1
	v_add3_u32 v6, v6, v14, 0x7fff
	s_delay_alu instid0(VALU_DEP_1)
	v_lshrrev_b32_e32 v14, 16, v6
.LBB175_1689:
	s_mov_b32 s3, 0
.LBB175_1690:
	s_delay_alu instid0(SALU_CYCLE_1)
	s_and_not1_b32 vcc_lo, exec_lo, s3
	s_cbranch_vccnz .LBB175_1698
; %bb.1691:
	global_load_u8 v6, v[12:13], off
	s_mov_b32 s3, 0
	s_mov_b32 s11, exec_lo
                                        ; implicit-def: $sgpr10
	s_waitcnt vmcnt(0)
	v_cmpx_lt_i16_e32 0x7f, v6
	s_xor_b32 s11, exec_lo, s11
	s_cbranch_execz .LBB175_1711
; %bb.1692:
	s_mov_b32 s3, -1
	s_mov_b32 s12, exec_lo
                                        ; implicit-def: $sgpr10
	v_cmpx_eq_u16_e32 0x80, v6
; %bb.1693:
	s_mov_b32 s10, 0x7f800001
	s_xor_b32 s3, exec_lo, -1
; %bb.1694:
	s_or_b32 exec_lo, exec_lo, s12
	s_delay_alu instid0(SALU_CYCLE_1)
	s_and_b32 s3, s3, exec_lo
	s_or_saveexec_b32 s11, s11
	v_mov_b32_e32 v14, s10
	s_xor_b32 exec_lo, exec_lo, s11
	s_cbranch_execnz .LBB175_1712
.LBB175_1695:
	s_or_b32 exec_lo, exec_lo, s11
	s_and_saveexec_b32 s10, s3
	s_cbranch_execz .LBB175_1697
.LBB175_1696:
	v_and_b32_e32 v14, 0xffff, v6
	v_lshlrev_b32_e32 v6, 24, v6
	s_delay_alu instid0(VALU_DEP_2) | instskip(NEXT) | instid1(VALU_DEP_2)
	v_and_b32_e32 v16, 7, v14
	v_and_b32_e32 v6, 0x80000000, v6
	s_delay_alu instid0(VALU_DEP_2) | instskip(NEXT) | instid1(VALU_DEP_1)
	v_clz_i32_u32_e32 v17, v16
	v_min_u32_e32 v17, 32, v17
	s_delay_alu instid0(VALU_DEP_1) | instskip(SKIP_1) | instid1(VALU_DEP_2)
	v_subrev_nc_u32_e32 v18, 28, v17
	v_sub_nc_u32_e32 v17, 29, v17
	v_lshlrev_b32_e32 v18, v18, v14
	v_bfe_u32 v14, v14, 3, 4
	s_delay_alu instid0(VALU_DEP_2) | instskip(NEXT) | instid1(VALU_DEP_2)
	v_and_b32_e32 v18, 7, v18
	v_cmp_eq_u32_e32 vcc_lo, 0, v14
	v_cndmask_b32_e32 v14, v14, v17, vcc_lo
	s_delay_alu instid0(VALU_DEP_3) | instskip(NEXT) | instid1(VALU_DEP_2)
	v_cndmask_b32_e32 v16, v16, v18, vcc_lo
	v_lshl_add_u32 v14, v14, 23, 0x3b800000
	s_delay_alu instid0(VALU_DEP_2) | instskip(NEXT) | instid1(VALU_DEP_1)
	v_lshlrev_b32_e32 v16, 20, v16
	v_or3_b32 v14, v6, v14, v16
.LBB175_1697:
	s_or_b32 exec_lo, exec_lo, s10
	s_delay_alu instid0(VALU_DEP_1) | instskip(SKIP_1) | instid1(VALU_DEP_2)
	v_bfe_u32 v6, v14, 16, 1
	v_cmp_o_f32_e32 vcc_lo, v14, v14
	v_add3_u32 v6, v14, v6, 0x7fff
	s_delay_alu instid0(VALU_DEP_1) | instskip(NEXT) | instid1(VALU_DEP_1)
	v_lshrrev_b32_e32 v6, 16, v6
	v_cndmask_b32_e32 v14, 0x7fc0, v6, vcc_lo
.LBB175_1698:
	s_mov_b32 s3, -1
.LBB175_1699:
	s_branch .LBB175_1731
.LBB175_1700:
	v_cmp_lt_i16_e32 vcc_lo, 22, v15
	s_cbranch_vccz .LBB175_1710
; %bb.1701:
	v_cmp_gt_i16_e32 vcc_lo, 24, v15
	s_cbranch_vccnz .LBB175_1713
; %bb.1702:
	v_cmp_lt_i16_e32 vcc_lo, 24, v15
	s_cbranch_vccz .LBB175_1714
; %bb.1703:
	global_load_u8 v6, v[12:13], off
	s_mov_b32 s10, exec_lo
                                        ; implicit-def: $sgpr3
	s_waitcnt vmcnt(0)
	v_cmpx_lt_i16_e32 0x7f, v6
	s_xor_b32 s10, exec_lo, s10
	s_cbranch_execz .LBB175_1725
; %bb.1704:
	s_mov_b32 s1, -1
	s_mov_b32 s11, exec_lo
                                        ; implicit-def: $sgpr3
	v_cmpx_eq_u16_e32 0x80, v6
; %bb.1705:
	s_mov_b32 s3, 0x7f800001
	s_xor_b32 s1, exec_lo, -1
; %bb.1706:
	s_or_b32 exec_lo, exec_lo, s11
	s_delay_alu instid0(SALU_CYCLE_1)
	s_and_b32 s1, s1, exec_lo
	s_or_saveexec_b32 s10, s10
	v_mov_b32_e32 v14, s3
	s_xor_b32 exec_lo, exec_lo, s10
	s_cbranch_execnz .LBB175_1726
.LBB175_1707:
	s_or_b32 exec_lo, exec_lo, s10
	s_and_saveexec_b32 s3, s1
	s_cbranch_execz .LBB175_1709
.LBB175_1708:
	v_and_b32_e32 v14, 0xffff, v6
	v_lshlrev_b32_e32 v6, 24, v6
	s_delay_alu instid0(VALU_DEP_2) | instskip(NEXT) | instid1(VALU_DEP_2)
	v_and_b32_e32 v16, 3, v14
	v_and_b32_e32 v6, 0x80000000, v6
	s_delay_alu instid0(VALU_DEP_2) | instskip(NEXT) | instid1(VALU_DEP_1)
	v_clz_i32_u32_e32 v17, v16
	v_min_u32_e32 v17, 32, v17
	s_delay_alu instid0(VALU_DEP_1) | instskip(SKIP_1) | instid1(VALU_DEP_2)
	v_subrev_nc_u32_e32 v18, 29, v17
	v_sub_nc_u32_e32 v17, 30, v17
	v_lshlrev_b32_e32 v18, v18, v14
	v_bfe_u32 v14, v14, 2, 5
	s_delay_alu instid0(VALU_DEP_2) | instskip(NEXT) | instid1(VALU_DEP_2)
	v_and_b32_e32 v18, 3, v18
	v_cmp_eq_u32_e32 vcc_lo, 0, v14
	v_cndmask_b32_e32 v14, v14, v17, vcc_lo
	s_delay_alu instid0(VALU_DEP_3) | instskip(NEXT) | instid1(VALU_DEP_2)
	v_cndmask_b32_e32 v16, v16, v18, vcc_lo
	v_lshl_add_u32 v14, v14, 23, 0x37800000
	s_delay_alu instid0(VALU_DEP_2) | instskip(NEXT) | instid1(VALU_DEP_1)
	v_lshlrev_b32_e32 v16, 21, v16
	v_or3_b32 v14, v6, v14, v16
.LBB175_1709:
	s_or_b32 exec_lo, exec_lo, s3
	s_delay_alu instid0(VALU_DEP_1) | instskip(SKIP_2) | instid1(VALU_DEP_2)
	v_bfe_u32 v6, v14, 16, 1
	v_cmp_o_f32_e32 vcc_lo, v14, v14
	s_mov_b32 s1, 0
	v_add3_u32 v6, v14, v6, 0x7fff
	s_delay_alu instid0(VALU_DEP_1) | instskip(NEXT) | instid1(VALU_DEP_1)
	v_lshrrev_b32_e32 v6, 16, v6
	v_cndmask_b32_e32 v14, 0x7fc0, v6, vcc_lo
	s_branch .LBB175_1715
.LBB175_1710:
                                        ; implicit-def: $vgpr14
	s_mov_b32 s1, 0
	s_branch .LBB175_1721
.LBB175_1711:
	s_or_saveexec_b32 s11, s11
	v_mov_b32_e32 v14, s10
	s_xor_b32 exec_lo, exec_lo, s11
	s_cbranch_execz .LBB175_1695
.LBB175_1712:
	v_cmp_ne_u16_e32 vcc_lo, 0, v6
	v_mov_b32_e32 v14, 0
	s_and_not1_b32 s3, s3, exec_lo
	s_and_b32 s10, vcc_lo, exec_lo
	s_delay_alu instid0(SALU_CYCLE_1)
	s_or_b32 s3, s3, s10
	s_or_b32 exec_lo, exec_lo, s11
	s_and_saveexec_b32 s10, s3
	s_cbranch_execnz .LBB175_1696
	s_branch .LBB175_1697
.LBB175_1713:
	s_mov_b32 s1, -1
                                        ; implicit-def: $vgpr14
	s_branch .LBB175_1718
.LBB175_1714:
	s_mov_b32 s1, -1
                                        ; implicit-def: $vgpr14
.LBB175_1715:
	s_delay_alu instid0(SALU_CYCLE_1)
	s_and_b32 vcc_lo, exec_lo, s1
	s_cbranch_vccz .LBB175_1717
; %bb.1716:
	global_load_u8 v6, v[12:13], off
	s_waitcnt vmcnt(0)
	v_lshlrev_b32_e32 v6, 24, v6
	s_delay_alu instid0(VALU_DEP_1) | instskip(NEXT) | instid1(VALU_DEP_1)
	v_and_b32_e32 v14, 0x7f000000, v6
	v_clz_i32_u32_e32 v16, v14
	v_cmp_ne_u32_e32 vcc_lo, 0, v14
	v_add_nc_u32_e32 v18, 0x1000000, v14
	s_delay_alu instid0(VALU_DEP_3) | instskip(NEXT) | instid1(VALU_DEP_1)
	v_min_u32_e32 v16, 32, v16
	v_sub_nc_u32_e64 v16, v16, 4 clamp
	s_delay_alu instid0(VALU_DEP_1) | instskip(SKIP_1) | instid1(VALU_DEP_2)
	v_lshlrev_b32_e32 v17, v16, v14
	v_lshlrev_b32_e32 v16, 23, v16
	v_lshrrev_b32_e32 v17, 4, v17
	s_delay_alu instid0(VALU_DEP_1) | instskip(SKIP_1) | instid1(VALU_DEP_2)
	v_sub_nc_u32_e32 v16, v17, v16
	v_ashrrev_i32_e32 v17, 8, v18
	v_add_nc_u32_e32 v16, 0x3c000000, v16
	s_delay_alu instid0(VALU_DEP_1) | instskip(NEXT) | instid1(VALU_DEP_1)
	v_and_or_b32 v16, 0x7f800000, v17, v16
	v_cndmask_b32_e32 v14, 0, v16, vcc_lo
	s_delay_alu instid0(VALU_DEP_1) | instskip(SKIP_1) | instid1(VALU_DEP_2)
	v_and_or_b32 v6, 0x80000000, v6, v14
	v_bfe_u32 v14, v14, 16, 1
	v_cmp_o_f32_e32 vcc_lo, v6, v6
	s_delay_alu instid0(VALU_DEP_2) | instskip(NEXT) | instid1(VALU_DEP_1)
	v_add3_u32 v14, v6, v14, 0x7fff
	v_lshrrev_b32_e32 v14, 16, v14
	s_delay_alu instid0(VALU_DEP_1)
	v_cndmask_b32_e32 v14, 0x7fc0, v14, vcc_lo
.LBB175_1717:
	s_mov_b32 s1, 0
.LBB175_1718:
	s_delay_alu instid0(SALU_CYCLE_1)
	s_and_not1_b32 vcc_lo, exec_lo, s1
	s_cbranch_vccnz .LBB175_1720
; %bb.1719:
	global_load_u8 v6, v[12:13], off
	s_waitcnt vmcnt(0)
	v_lshlrev_b32_e32 v14, 25, v6
	v_lshlrev_b16 v6, 8, v6
	s_delay_alu instid0(VALU_DEP_1) | instskip(SKIP_1) | instid1(VALU_DEP_2)
	v_and_or_b32 v17, 0x7f00, v6, 0.5
	v_bfe_i32 v6, v6, 0, 16
	v_add_f32_e32 v17, -0.5, v17
	v_lshrrev_b32_e32 v16, 4, v14
	v_cmp_gt_u32_e32 vcc_lo, 0x8000000, v14
	s_delay_alu instid0(VALU_DEP_2) | instskip(NEXT) | instid1(VALU_DEP_1)
	v_or_b32_e32 v16, 0x70000000, v16
	v_mul_f32_e32 v16, 0x7800000, v16
	s_delay_alu instid0(VALU_DEP_1) | instskip(NEXT) | instid1(VALU_DEP_1)
	v_cndmask_b32_e32 v14, v16, v17, vcc_lo
	v_and_or_b32 v6, 0x80000000, v6, v14
	v_bfe_u32 v14, v14, 16, 1
	s_delay_alu instid0(VALU_DEP_2) | instskip(NEXT) | instid1(VALU_DEP_2)
	v_cmp_o_f32_e32 vcc_lo, v6, v6
	v_add3_u32 v14, v6, v14, 0x7fff
	s_delay_alu instid0(VALU_DEP_1) | instskip(NEXT) | instid1(VALU_DEP_1)
	v_lshrrev_b32_e32 v14, 16, v14
	v_cndmask_b32_e32 v14, 0x7fc0, v14, vcc_lo
.LBB175_1720:
	s_mov_b32 s3, -1
	s_mov_b32 s1, 0
	s_cbranch_execnz .LBB175_1731
.LBB175_1721:
	v_cmp_lt_i16_e32 vcc_lo, 14, v15
	s_cbranch_vccz .LBB175_1724
; %bb.1722:
	v_cmp_eq_u16_e32 vcc_lo, 15, v15
	s_cbranch_vccz .LBB175_1727
; %bb.1723:
	global_load_u16 v14, v[12:13], off
	s_mov_b32 s0, 0
	s_mov_b32 s3, -1
	s_branch .LBB175_1729
.LBB175_1724:
	s_mov_b32 s1, -1
	s_branch .LBB175_1728
.LBB175_1725:
	s_or_saveexec_b32 s10, s10
	v_mov_b32_e32 v14, s3
	s_xor_b32 exec_lo, exec_lo, s10
	s_cbranch_execz .LBB175_1707
.LBB175_1726:
	v_cmp_ne_u16_e32 vcc_lo, 0, v6
	v_mov_b32_e32 v14, 0
	s_and_not1_b32 s1, s1, exec_lo
	s_and_b32 s3, vcc_lo, exec_lo
	s_delay_alu instid0(SALU_CYCLE_1)
	s_or_b32 s1, s1, s3
	s_or_b32 exec_lo, exec_lo, s10
	s_and_saveexec_b32 s3, s1
	s_cbranch_execnz .LBB175_1708
	s_branch .LBB175_1709
.LBB175_1727:
	s_mov_b32 s0, -1
.LBB175_1728:
                                        ; implicit-def: $vgpr14
.LBB175_1729:
	s_and_b32 vcc_lo, exec_lo, s1
	s_mov_b32 s1, 0
	s_cbranch_vccz .LBB175_1731
; %bb.1730:
	v_cmp_ne_u16_e64 s0, 11, v15
	s_mov_b32 s1, -1
                                        ; implicit-def: $vgpr14
.LBB175_1731:
	s_delay_alu instid0(VALU_DEP_1)
	s_and_b32 vcc_lo, exec_lo, s0
	s_mov_b32 s10, s8
	s_cbranch_vccnz .LBB175_1755
; %bb.1732:
	s_and_not1_b32 vcc_lo, exec_lo, s1
	s_cbranch_vccnz .LBB175_1734
.LBB175_1733:
	global_load_u8 v6, v[12:13], off
	s_mov_b32 s3, -1
	s_waitcnt vmcnt(0)
	v_cmp_ne_u16_e32 vcc_lo, 0, v6
	v_cndmask_b32_e64 v6, 0, 1.0, vcc_lo
	s_delay_alu instid0(VALU_DEP_1)
	v_lshrrev_b32_e32 v14, 16, v6
.LBB175_1734:
.LBB175_1735:
	s_and_not1_b32 vcc_lo, exec_lo, s3
	s_cbranch_vccnz .LBB175_3049
.LBB175_1736:
	s_load_b64 s[0:1], s[20:21], 0x198
	s_lshr_b32 s2, s2, 16
	s_mov_b32 s11, 0
	v_and_b32_e64 v16, 0xff, s2
	s_delay_alu instid0(VALU_DEP_1) | instskip(SKIP_2) | instid1(VALU_DEP_1)
	v_cmp_gt_i16_e32 vcc_lo, 11, v16
	s_waitcnt lgkmcnt(0)
	v_add_co_u32 v12, s2, s0, v5
	v_add_co_ci_u32_e64 v13, null, s1, 0, s2
	s_cbranch_vccnz .LBB175_1743
; %bb.1737:
	v_cmp_lt_i16_e32 vcc_lo, 25, v16
	s_mov_b32 s3, 0
	s_cbranch_vccz .LBB175_1749
; %bb.1738:
	v_cmp_lt_i16_e32 vcc_lo, 28, v16
	s_cbranch_vccz .LBB175_1751
; %bb.1739:
	v_cmp_lt_i16_e32 vcc_lo, 43, v16
	s_cbranch_vccz .LBB175_1753
; %bb.1740:
	v_cmp_lt_i16_e32 vcc_lo, 45, v16
	s_cbranch_vccz .LBB175_1757
; %bb.1741:
	v_cmp_eq_u16_e32 vcc_lo, 46, v16
	s_mov_b32 s12, 0
	s_cbranch_vccz .LBB175_1801
; %bb.1742:
	global_load_b32 v5, v[12:13], off
	s_mov_b32 s2, 0
	s_mov_b32 s11, -1
	s_waitcnt vmcnt(0)
	v_lshlrev_b32_e32 v5, 16, v5
	s_delay_alu instid0(VALU_DEP_1) | instskip(NEXT) | instid1(VALU_DEP_1)
	v_trunc_f32_e32 v5, v5
	v_mul_f32_e64 v6, 0x2f800000, |v5|
	s_delay_alu instid0(VALU_DEP_1) | instskip(NEXT) | instid1(VALU_DEP_1)
	v_floor_f32_e32 v6, v6
	v_fma_f32 v6, 0xcf800000, v6, |v5|
	v_ashrrev_i32_e32 v5, 31, v5
	s_delay_alu instid0(VALU_DEP_2) | instskip(NEXT) | instid1(VALU_DEP_1)
	v_cvt_u32_f32_e32 v6, v6
	v_xor_b32_e32 v6, v6, v5
	s_delay_alu instid0(VALU_DEP_1)
	v_sub_nc_u32_e32 v5, v6, v5
	s_branch .LBB175_1803
.LBB175_1743:
                                        ; implicit-def: $vgpr5
	s_cbranch_execz .LBB175_1864
; %bb.1744:
	v_cmp_gt_i16_e32 vcc_lo, 5, v16
	s_cbranch_vccnz .LBB175_1750
; %bb.1745:
	v_cmp_gt_i16_e32 vcc_lo, 8, v16
	s_cbranch_vccnz .LBB175_1752
	;; [unrolled: 3-line block ×3, first 2 shown]
; %bb.1747:
	v_cmp_lt_i16_e32 vcc_lo, 9, v16
	s_cbranch_vccz .LBB175_1760
; %bb.1748:
	global_load_b64 v[5:6], v[12:13], off
	s_mov_b32 s2, 0
	s_waitcnt vmcnt(0)
	v_trunc_f64_e32 v[5:6], v[5:6]
	s_delay_alu instid0(VALU_DEP_1) | instskip(NEXT) | instid1(VALU_DEP_1)
	v_ldexp_f64 v[17:18], v[5:6], 0xffffffe0
	v_floor_f64_e32 v[17:18], v[17:18]
	s_delay_alu instid0(VALU_DEP_1) | instskip(NEXT) | instid1(VALU_DEP_1)
	v_fma_f64 v[5:6], 0xc1f00000, v[17:18], v[5:6]
	v_cvt_u32_f64_e32 v5, v[5:6]
	s_branch .LBB175_1761
.LBB175_1749:
	s_mov_b32 s2, 0
                                        ; implicit-def: $vgpr5
	s_cbranch_execnz .LBB175_1830
	s_branch .LBB175_1860
.LBB175_1750:
                                        ; implicit-def: $vgpr5
	s_branch .LBB175_1779
.LBB175_1751:
	s_mov_b32 s12, -1
	s_mov_b32 s2, 0
                                        ; implicit-def: $vgpr5
	s_branch .LBB175_1813
.LBB175_1752:
	s_mov_b32 s2, -1
                                        ; implicit-def: $vgpr5
	s_branch .LBB175_1767
.LBB175_1753:
	s_mov_b32 s12, -1
	s_mov_b32 s2, 0
                                        ; implicit-def: $vgpr5
	s_branch .LBB175_1808
.LBB175_1754:
	s_mov_b32 s2, -1
                                        ; implicit-def: $vgpr5
	s_branch .LBB175_1764
.LBB175_1755:
	s_cbranch_execnz .LBB175_1799
; %bb.1756:
	s_or_b32 s10, s8, exec_lo
                                        ; implicit-def: $vgpr14
	s_cbranch_execz .LBB175_1733
	s_branch .LBB175_1734
.LBB175_1757:
	s_mov_b32 s12, -1
	s_mov_b32 s2, 0
	s_branch .LBB175_1802
.LBB175_1758:
	s_or_saveexec_b32 s7, s7
                                        ; implicit-def: $sgpr8
	s_delay_alu instid0(SALU_CYCLE_1)
	s_xor_b32 exec_lo, exec_lo, s7
	s_cbranch_execz .LBB175_1477
.LBB175_1759:
	v_add_f32_e64 v4, 0x46000000, |v6|
	s_and_not1_b32 s5, s5, exec_lo
	s_mov_b32 s8, 0
	s_delay_alu instid0(VALU_DEP_1) | instskip(NEXT) | instid1(VALU_DEP_1)
	v_and_b32_e32 v4, 0xff, v4
	v_cmp_ne_u32_e32 vcc_lo, 0, v4
	s_and_b32 s9, vcc_lo, exec_lo
	s_delay_alu instid0(SALU_CYCLE_1)
	s_or_b32 s5, s5, s9
	s_or_b32 exec_lo, exec_lo, s7
	v_mov_b32_e32 v7, s8
	s_and_saveexec_b32 s7, s5
	s_cbranch_execnz .LBB175_1478
	s_branch .LBB175_1479
.LBB175_1760:
	s_mov_b32 s2, -1
                                        ; implicit-def: $vgpr5
.LBB175_1761:
	s_delay_alu instid0(SALU_CYCLE_1)
	s_and_not1_b32 vcc_lo, exec_lo, s2
	s_cbranch_vccnz .LBB175_1763
; %bb.1762:
	global_load_b32 v5, v[12:13], off
	s_waitcnt vmcnt(0)
	v_trunc_f32_e32 v5, v5
	s_delay_alu instid0(VALU_DEP_1) | instskip(NEXT) | instid1(VALU_DEP_1)
	v_mul_f32_e64 v6, 0x2f800000, |v5|
	v_floor_f32_e32 v6, v6
	s_delay_alu instid0(VALU_DEP_1) | instskip(SKIP_1) | instid1(VALU_DEP_2)
	v_fma_f32 v6, 0xcf800000, v6, |v5|
	v_ashrrev_i32_e32 v5, 31, v5
	v_cvt_u32_f32_e32 v6, v6
	s_delay_alu instid0(VALU_DEP_1) | instskip(NEXT) | instid1(VALU_DEP_1)
	v_xor_b32_e32 v6, v6, v5
	v_sub_nc_u32_e32 v5, v6, v5
.LBB175_1763:
	s_mov_b32 s2, 0
.LBB175_1764:
	s_delay_alu instid0(SALU_CYCLE_1)
	s_and_not1_b32 vcc_lo, exec_lo, s2
	s_cbranch_vccnz .LBB175_1766
; %bb.1765:
	global_load_b32 v5, v[12:13], off
	s_waitcnt vmcnt(0)
	v_cvt_f32_f16_e32 v5, v5
	s_delay_alu instid0(VALU_DEP_1)
	v_cvt_i32_f32_e32 v5, v5
.LBB175_1766:
	s_mov_b32 s2, 0
.LBB175_1767:
	s_delay_alu instid0(SALU_CYCLE_1)
	s_and_not1_b32 vcc_lo, exec_lo, s2
	s_cbranch_vccnz .LBB175_1778
; %bb.1768:
	v_cmp_gt_i16_e32 vcc_lo, 6, v16
	s_cbranch_vccnz .LBB175_1771
; %bb.1769:
	v_cmp_lt_i16_e32 vcc_lo, 6, v16
	s_cbranch_vccz .LBB175_1772
; %bb.1770:
	global_load_b64 v[5:6], v[12:13], off
	s_mov_b32 s2, 0
	s_waitcnt vmcnt(0)
	v_trunc_f64_e32 v[5:6], v[5:6]
	s_delay_alu instid0(VALU_DEP_1) | instskip(NEXT) | instid1(VALU_DEP_1)
	v_ldexp_f64 v[17:18], v[5:6], 0xffffffe0
	v_floor_f64_e32 v[17:18], v[17:18]
	s_delay_alu instid0(VALU_DEP_1) | instskip(NEXT) | instid1(VALU_DEP_1)
	v_fma_f64 v[5:6], 0xc1f00000, v[17:18], v[5:6]
	v_cvt_u32_f64_e32 v5, v[5:6]
	s_branch .LBB175_1773
.LBB175_1771:
	s_mov_b32 s2, -1
                                        ; implicit-def: $vgpr5
	s_branch .LBB175_1776
.LBB175_1772:
	s_mov_b32 s2, -1
                                        ; implicit-def: $vgpr5
.LBB175_1773:
	s_delay_alu instid0(SALU_CYCLE_1)
	s_and_not1_b32 vcc_lo, exec_lo, s2
	s_cbranch_vccnz .LBB175_1775
; %bb.1774:
	global_load_b32 v5, v[12:13], off
	s_waitcnt vmcnt(0)
	v_trunc_f32_e32 v5, v5
	s_delay_alu instid0(VALU_DEP_1) | instskip(NEXT) | instid1(VALU_DEP_1)
	v_mul_f32_e64 v6, 0x2f800000, |v5|
	v_floor_f32_e32 v6, v6
	s_delay_alu instid0(VALU_DEP_1) | instskip(SKIP_1) | instid1(VALU_DEP_2)
	v_fma_f32 v6, 0xcf800000, v6, |v5|
	v_ashrrev_i32_e32 v5, 31, v5
	v_cvt_u32_f32_e32 v6, v6
	s_delay_alu instid0(VALU_DEP_1) | instskip(NEXT) | instid1(VALU_DEP_1)
	v_xor_b32_e32 v6, v6, v5
	v_sub_nc_u32_e32 v5, v6, v5
.LBB175_1775:
	s_mov_b32 s2, 0
.LBB175_1776:
	s_delay_alu instid0(SALU_CYCLE_1)
	s_and_not1_b32 vcc_lo, exec_lo, s2
	s_cbranch_vccnz .LBB175_1778
; %bb.1777:
	global_load_u16 v5, v[12:13], off
	s_waitcnt vmcnt(0)
	v_cvt_f32_f16_e32 v5, v5
	s_delay_alu instid0(VALU_DEP_1)
	v_cvt_i32_f32_e32 v5, v5
.LBB175_1778:
	s_cbranch_execnz .LBB175_1798
.LBB175_1779:
	v_cmp_gt_i16_e32 vcc_lo, 2, v16
	s_cbranch_vccnz .LBB175_1783
; %bb.1780:
	v_cmp_gt_i16_e32 vcc_lo, 3, v16
	s_cbranch_vccnz .LBB175_1784
; %bb.1781:
	v_cmp_lt_i16_e32 vcc_lo, 3, v16
	s_cbranch_vccz .LBB175_1785
; %bb.1782:
	global_load_b64 v[5:6], v[12:13], off
	s_mov_b32 s2, 0
	s_branch .LBB175_1786
.LBB175_1783:
	s_mov_b32 s2, -1
                                        ; implicit-def: $vgpr5
	s_branch .LBB175_1792
.LBB175_1784:
	s_mov_b32 s2, -1
                                        ; implicit-def: $vgpr5
	s_branch .LBB175_1789
.LBB175_1785:
	s_mov_b32 s2, -1
                                        ; implicit-def: $vgpr5
.LBB175_1786:
	s_delay_alu instid0(SALU_CYCLE_1)
	s_and_not1_b32 vcc_lo, exec_lo, s2
	s_cbranch_vccnz .LBB175_1788
; %bb.1787:
	global_load_b32 v5, v[12:13], off
.LBB175_1788:
	s_mov_b32 s2, 0
.LBB175_1789:
	s_delay_alu instid0(SALU_CYCLE_1)
	s_and_not1_b32 vcc_lo, exec_lo, s2
	s_cbranch_vccnz .LBB175_1791
; %bb.1790:
	global_load_u16 v5, v[12:13], off
.LBB175_1791:
	s_mov_b32 s2, 0
.LBB175_1792:
	s_delay_alu instid0(SALU_CYCLE_1)
	s_and_not1_b32 vcc_lo, exec_lo, s2
	s_cbranch_vccnz .LBB175_1798
; %bb.1793:
	v_cmp_lt_i16_e32 vcc_lo, 0, v16
	s_mov_b32 s2, 0
	s_cbranch_vccz .LBB175_1795
; %bb.1794:
	global_load_u8 v5, v[12:13], off
	s_branch .LBB175_1796
.LBB175_1795:
	s_mov_b32 s2, -1
                                        ; implicit-def: $vgpr5
.LBB175_1796:
	s_delay_alu instid0(SALU_CYCLE_1)
	s_and_not1_b32 vcc_lo, exec_lo, s2
	s_cbranch_vccnz .LBB175_1798
; %bb.1797:
	global_load_u8 v5, v[12:13], off
.LBB175_1798:
	s_branch .LBB175_1865
.LBB175_1799:
	s_trap 2
	s_sendmsg_rtn_b32 s0, sendmsg(MSG_RTN_GET_DOORBELL)
	s_mov_b32 ttmp2, m0
	s_waitcnt lgkmcnt(0)
	s_and_b32 s0, s0, 0x3ff
	s_delay_alu instid0(SALU_CYCLE_1) | instskip(NEXT) | instid1(SALU_CYCLE_1)
	s_bitset1_b32 s0, 10
	s_mov_b32 m0, s0
	s_sendmsg sendmsg(MSG_INTERRUPT)
	s_mov_b32 m0, ttmp2
.LBB175_1800:                           ; =>This Inner Loop Header: Depth=1
	s_sethalt 5
	s_branch .LBB175_1800
.LBB175_1801:
	s_mov_b32 s2, -1
.LBB175_1802:
                                        ; implicit-def: $vgpr5
.LBB175_1803:
	s_and_b32 vcc_lo, exec_lo, s12
	s_cbranch_vccz .LBB175_1807
; %bb.1804:
	v_cmp_eq_u16_e32 vcc_lo, 44, v16
	s_cbranch_vccz .LBB175_1806
; %bb.1805:
	global_load_u8 v5, v[12:13], off
	s_mov_b32 s2, 0
	s_mov_b32 s11, -1
	s_waitcnt vmcnt(0)
	v_lshlrev_b32_e32 v6, 23, v5
	v_cmp_ne_u32_e32 vcc_lo, 0, v5
	s_delay_alu instid0(VALU_DEP_2) | instskip(NEXT) | instid1(VALU_DEP_1)
	v_trunc_f32_e32 v6, v6
	v_mul_f32_e64 v17, 0x2f800000, |v6|
	s_delay_alu instid0(VALU_DEP_1) | instskip(NEXT) | instid1(VALU_DEP_1)
	v_floor_f32_e32 v17, v17
	v_fma_f32 v17, 0xcf800000, v17, |v6|
	v_ashrrev_i32_e32 v6, 31, v6
	s_delay_alu instid0(VALU_DEP_2) | instskip(NEXT) | instid1(VALU_DEP_1)
	v_cvt_u32_f32_e32 v17, v17
	v_xor_b32_e32 v17, v17, v6
	s_delay_alu instid0(VALU_DEP_1) | instskip(NEXT) | instid1(VALU_DEP_1)
	v_sub_nc_u32_e32 v6, v17, v6
	v_cndmask_b32_e32 v5, 0, v6, vcc_lo
	s_branch .LBB175_1807
.LBB175_1806:
	s_mov_b32 s2, -1
                                        ; implicit-def: $vgpr5
.LBB175_1807:
	s_mov_b32 s12, 0
.LBB175_1808:
	s_delay_alu instid0(SALU_CYCLE_1)
	s_and_b32 vcc_lo, exec_lo, s12
	s_cbranch_vccz .LBB175_1812
; %bb.1809:
	v_cmp_eq_u16_e32 vcc_lo, 29, v16
	s_cbranch_vccz .LBB175_1811
; %bb.1810:
	global_load_b64 v[5:6], v[12:13], off
	s_mov_b32 s2, 0
	s_mov_b32 s11, -1
	s_branch .LBB175_1812
.LBB175_1811:
	s_mov_b32 s2, -1
                                        ; implicit-def: $vgpr5
.LBB175_1812:
	s_mov_b32 s12, 0
.LBB175_1813:
	s_delay_alu instid0(SALU_CYCLE_1)
	s_and_b32 vcc_lo, exec_lo, s12
	s_cbranch_vccz .LBB175_1829
; %bb.1814:
	v_cmp_gt_i16_e32 vcc_lo, 27, v16
	s_cbranch_vccnz .LBB175_1817
; %bb.1815:
	v_cmp_lt_i16_e32 vcc_lo, 27, v16
	s_cbranch_vccz .LBB175_1818
; %bb.1816:
	global_load_b32 v5, v[12:13], off
	s_mov_b32 s11, 0
	s_branch .LBB175_1819
.LBB175_1817:
	s_mov_b32 s11, -1
                                        ; implicit-def: $vgpr5
	s_branch .LBB175_1822
.LBB175_1818:
	s_mov_b32 s11, -1
                                        ; implicit-def: $vgpr5
.LBB175_1819:
	s_delay_alu instid0(SALU_CYCLE_1)
	s_and_not1_b32 vcc_lo, exec_lo, s11
	s_cbranch_vccnz .LBB175_1821
; %bb.1820:
	global_load_u16 v5, v[12:13], off
.LBB175_1821:
	s_mov_b32 s11, 0
.LBB175_1822:
	s_delay_alu instid0(SALU_CYCLE_1)
	s_and_not1_b32 vcc_lo, exec_lo, s11
	s_cbranch_vccnz .LBB175_1828
; %bb.1823:
	global_load_u8 v6, v[12:13], off
	s_mov_b32 s12, 0
	s_mov_b32 s11, exec_lo
                                        ; implicit-def: $sgpr13
	s_waitcnt vmcnt(0)
	v_cmpx_lt_i16_e32 0x7f, v6
	s_xor_b32 s11, exec_lo, s11
	s_cbranch_execz .LBB175_1839
; %bb.1824:
	v_cmp_ne_u16_e32 vcc_lo, 0x80, v6
	s_mov_b32 s13, 0
	s_and_b32 s12, vcc_lo, exec_lo
	s_or_saveexec_b32 s11, s11
	v_mov_b32_e32 v5, s13
	s_xor_b32 exec_lo, exec_lo, s11
	s_cbranch_execnz .LBB175_1840
.LBB175_1825:
	s_or_b32 exec_lo, exec_lo, s11
	s_and_saveexec_b32 s11, s12
	s_cbranch_execz .LBB175_1827
.LBB175_1826:
	v_and_b32_e32 v5, 0xffff, v6
	s_delay_alu instid0(VALU_DEP_1) | instskip(NEXT) | instid1(VALU_DEP_1)
	v_and_b32_e32 v17, 7, v5
	v_clz_i32_u32_e32 v18, v17
	s_delay_alu instid0(VALU_DEP_1) | instskip(NEXT) | instid1(VALU_DEP_1)
	v_min_u32_e32 v18, 32, v18
	v_subrev_nc_u32_e32 v19, 28, v18
	v_sub_nc_u32_e32 v18, 29, v18
	s_delay_alu instid0(VALU_DEP_2) | instskip(SKIP_1) | instid1(VALU_DEP_2)
	v_lshlrev_b32_e32 v19, v19, v5
	v_bfe_u32 v5, v5, 3, 4
	v_and_b32_e32 v19, 7, v19
	s_delay_alu instid0(VALU_DEP_2) | instskip(NEXT) | instid1(VALU_DEP_2)
	v_cmp_eq_u32_e32 vcc_lo, 0, v5
	v_dual_cndmask_b32 v17, v17, v19 :: v_dual_lshlrev_b32 v6, 24, v6
	v_cndmask_b32_e32 v5, v5, v18, vcc_lo
	s_delay_alu instid0(VALU_DEP_2) | instskip(NEXT) | instid1(VALU_DEP_3)
	v_and_b32_e32 v6, 0x80000000, v6
	v_lshlrev_b32_e32 v17, 20, v17
	s_delay_alu instid0(VALU_DEP_3) | instskip(NEXT) | instid1(VALU_DEP_1)
	v_lshl_add_u32 v5, v5, 23, 0x3b800000
	v_or3_b32 v5, v6, v5, v17
	s_delay_alu instid0(VALU_DEP_1) | instskip(NEXT) | instid1(VALU_DEP_1)
	v_trunc_f32_e32 v5, v5
	v_mul_f32_e64 v6, 0x2f800000, |v5|
	s_delay_alu instid0(VALU_DEP_1) | instskip(NEXT) | instid1(VALU_DEP_1)
	v_floor_f32_e32 v6, v6
	v_fma_f32 v6, 0xcf800000, v6, |v5|
	v_ashrrev_i32_e32 v5, 31, v5
	s_delay_alu instid0(VALU_DEP_2) | instskip(NEXT) | instid1(VALU_DEP_1)
	v_cvt_u32_f32_e32 v6, v6
	v_xor_b32_e32 v6, v6, v5
	s_delay_alu instid0(VALU_DEP_1)
	v_sub_nc_u32_e32 v5, v6, v5
.LBB175_1827:
	s_or_b32 exec_lo, exec_lo, s11
.LBB175_1828:
	s_mov_b32 s11, -1
.LBB175_1829:
	s_branch .LBB175_1860
.LBB175_1830:
	v_cmp_lt_i16_e32 vcc_lo, 22, v16
	s_cbranch_vccz .LBB175_1838
; %bb.1831:
	v_cmp_gt_i16_e32 vcc_lo, 24, v16
	s_cbranch_vccnz .LBB175_1841
; %bb.1832:
	v_cmp_lt_i16_e32 vcc_lo, 24, v16
	s_cbranch_vccz .LBB175_1842
; %bb.1833:
	global_load_u8 v6, v[12:13], off
	s_mov_b32 s11, 0
	s_mov_b32 s3, exec_lo
                                        ; implicit-def: $sgpr12
	s_waitcnt vmcnt(0)
	v_cmpx_lt_i16_e32 0x7f, v6
	s_xor_b32 s3, exec_lo, s3
	s_cbranch_execz .LBB175_1854
; %bb.1834:
	v_cmp_ne_u16_e32 vcc_lo, 0x80, v6
	s_mov_b32 s12, 0
	s_and_b32 s11, vcc_lo, exec_lo
	s_or_saveexec_b32 s3, s3
	v_mov_b32_e32 v5, s12
	s_xor_b32 exec_lo, exec_lo, s3
	s_cbranch_execnz .LBB175_1855
.LBB175_1835:
	s_or_b32 exec_lo, exec_lo, s3
	s_and_saveexec_b32 s3, s11
	s_cbranch_execz .LBB175_1837
.LBB175_1836:
	v_and_b32_e32 v5, 0xffff, v6
	s_delay_alu instid0(VALU_DEP_1) | instskip(NEXT) | instid1(VALU_DEP_1)
	v_and_b32_e32 v17, 3, v5
	v_clz_i32_u32_e32 v18, v17
	s_delay_alu instid0(VALU_DEP_1) | instskip(NEXT) | instid1(VALU_DEP_1)
	v_min_u32_e32 v18, 32, v18
	v_subrev_nc_u32_e32 v19, 29, v18
	v_sub_nc_u32_e32 v18, 30, v18
	s_delay_alu instid0(VALU_DEP_2) | instskip(SKIP_1) | instid1(VALU_DEP_2)
	v_lshlrev_b32_e32 v19, v19, v5
	v_bfe_u32 v5, v5, 2, 5
	v_and_b32_e32 v19, 3, v19
	s_delay_alu instid0(VALU_DEP_2) | instskip(NEXT) | instid1(VALU_DEP_2)
	v_cmp_eq_u32_e32 vcc_lo, 0, v5
	v_dual_cndmask_b32 v17, v17, v19 :: v_dual_lshlrev_b32 v6, 24, v6
	v_cndmask_b32_e32 v5, v5, v18, vcc_lo
	s_delay_alu instid0(VALU_DEP_2) | instskip(NEXT) | instid1(VALU_DEP_3)
	v_and_b32_e32 v6, 0x80000000, v6
	v_lshlrev_b32_e32 v17, 21, v17
	s_delay_alu instid0(VALU_DEP_3) | instskip(NEXT) | instid1(VALU_DEP_1)
	v_lshl_add_u32 v5, v5, 23, 0x37800000
	v_or3_b32 v5, v6, v5, v17
	s_delay_alu instid0(VALU_DEP_1) | instskip(NEXT) | instid1(VALU_DEP_1)
	v_trunc_f32_e32 v5, v5
	v_mul_f32_e64 v6, 0x2f800000, |v5|
	s_delay_alu instid0(VALU_DEP_1) | instskip(NEXT) | instid1(VALU_DEP_1)
	v_floor_f32_e32 v6, v6
	v_fma_f32 v6, 0xcf800000, v6, |v5|
	v_ashrrev_i32_e32 v5, 31, v5
	s_delay_alu instid0(VALU_DEP_2) | instskip(NEXT) | instid1(VALU_DEP_1)
	v_cvt_u32_f32_e32 v6, v6
	v_xor_b32_e32 v6, v6, v5
	s_delay_alu instid0(VALU_DEP_1)
	v_sub_nc_u32_e32 v5, v6, v5
.LBB175_1837:
	s_or_b32 exec_lo, exec_lo, s3
	s_mov_b32 s3, 0
	s_branch .LBB175_1843
.LBB175_1838:
	s_mov_b32 s3, -1
                                        ; implicit-def: $vgpr5
	s_branch .LBB175_1849
.LBB175_1839:
	s_or_saveexec_b32 s11, s11
	v_mov_b32_e32 v5, s13
	s_xor_b32 exec_lo, exec_lo, s11
	s_cbranch_execz .LBB175_1825
.LBB175_1840:
	v_cmp_ne_u16_e32 vcc_lo, 0, v6
	v_mov_b32_e32 v5, 0
	s_and_not1_b32 s12, s12, exec_lo
	s_and_b32 s13, vcc_lo, exec_lo
	s_delay_alu instid0(SALU_CYCLE_1)
	s_or_b32 s12, s12, s13
	s_or_b32 exec_lo, exec_lo, s11
	s_and_saveexec_b32 s11, s12
	s_cbranch_execnz .LBB175_1826
	s_branch .LBB175_1827
.LBB175_1841:
	s_mov_b32 s3, -1
                                        ; implicit-def: $vgpr5
	s_branch .LBB175_1846
.LBB175_1842:
	s_mov_b32 s3, -1
                                        ; implicit-def: $vgpr5
.LBB175_1843:
	s_delay_alu instid0(SALU_CYCLE_1)
	s_and_b32 vcc_lo, exec_lo, s3
	s_cbranch_vccz .LBB175_1845
; %bb.1844:
	global_load_u8 v5, v[12:13], off
	s_waitcnt vmcnt(0)
	v_lshlrev_b32_e32 v5, 24, v5
	s_delay_alu instid0(VALU_DEP_1) | instskip(NEXT) | instid1(VALU_DEP_1)
	v_and_b32_e32 v6, 0x7f000000, v5
	v_clz_i32_u32_e32 v17, v6
	v_cmp_ne_u32_e32 vcc_lo, 0, v6
	v_add_nc_u32_e32 v19, 0x1000000, v6
	s_delay_alu instid0(VALU_DEP_3) | instskip(NEXT) | instid1(VALU_DEP_1)
	v_min_u32_e32 v17, 32, v17
	v_sub_nc_u32_e64 v17, v17, 4 clamp
	s_delay_alu instid0(VALU_DEP_1) | instskip(SKIP_1) | instid1(VALU_DEP_2)
	v_lshlrev_b32_e32 v18, v17, v6
	v_lshlrev_b32_e32 v17, 23, v17
	v_lshrrev_b32_e32 v18, 4, v18
	s_delay_alu instid0(VALU_DEP_1) | instskip(SKIP_1) | instid1(VALU_DEP_2)
	v_sub_nc_u32_e32 v17, v18, v17
	v_ashrrev_i32_e32 v18, 8, v19
	v_add_nc_u32_e32 v17, 0x3c000000, v17
	s_delay_alu instid0(VALU_DEP_1) | instskip(NEXT) | instid1(VALU_DEP_1)
	v_and_or_b32 v17, 0x7f800000, v18, v17
	v_cndmask_b32_e32 v6, 0, v17, vcc_lo
	s_delay_alu instid0(VALU_DEP_1) | instskip(NEXT) | instid1(VALU_DEP_1)
	v_and_or_b32 v5, 0x80000000, v5, v6
	v_trunc_f32_e32 v5, v5
	s_delay_alu instid0(VALU_DEP_1) | instskip(NEXT) | instid1(VALU_DEP_1)
	v_mul_f32_e64 v6, 0x2f800000, |v5|
	v_floor_f32_e32 v6, v6
	s_delay_alu instid0(VALU_DEP_1) | instskip(SKIP_1) | instid1(VALU_DEP_2)
	v_fma_f32 v6, 0xcf800000, v6, |v5|
	v_ashrrev_i32_e32 v5, 31, v5
	v_cvt_u32_f32_e32 v6, v6
	s_delay_alu instid0(VALU_DEP_1) | instskip(NEXT) | instid1(VALU_DEP_1)
	v_xor_b32_e32 v6, v6, v5
	v_sub_nc_u32_e32 v5, v6, v5
.LBB175_1845:
	s_mov_b32 s3, 0
.LBB175_1846:
	s_delay_alu instid0(SALU_CYCLE_1)
	s_and_not1_b32 vcc_lo, exec_lo, s3
	s_cbranch_vccnz .LBB175_1848
; %bb.1847:
	global_load_u8 v5, v[12:13], off
	s_waitcnt vmcnt(0)
	v_lshlrev_b32_e32 v6, 25, v5
	v_lshlrev_b16 v5, 8, v5
	s_delay_alu instid0(VALU_DEP_2) | instskip(NEXT) | instid1(VALU_DEP_2)
	v_lshrrev_b32_e32 v17, 4, v6
	v_and_or_b32 v18, 0x7f00, v5, 0.5
	v_cmp_gt_u32_e32 vcc_lo, 0x8000000, v6
	v_bfe_i32 v5, v5, 0, 16
	s_delay_alu instid0(VALU_DEP_4) | instskip(NEXT) | instid1(VALU_DEP_1)
	v_or_b32_e32 v17, 0x70000000, v17
	v_dual_add_f32 v18, -0.5, v18 :: v_dual_mul_f32 v17, 0x7800000, v17
	s_delay_alu instid0(VALU_DEP_1) | instskip(NEXT) | instid1(VALU_DEP_1)
	v_cndmask_b32_e32 v6, v17, v18, vcc_lo
	v_and_or_b32 v5, 0x80000000, v5, v6
	s_delay_alu instid0(VALU_DEP_1) | instskip(NEXT) | instid1(VALU_DEP_1)
	v_trunc_f32_e32 v5, v5
	v_mul_f32_e64 v6, 0x2f800000, |v5|
	s_delay_alu instid0(VALU_DEP_1) | instskip(NEXT) | instid1(VALU_DEP_1)
	v_floor_f32_e32 v6, v6
	v_fma_f32 v6, 0xcf800000, v6, |v5|
	v_ashrrev_i32_e32 v5, 31, v5
	s_delay_alu instid0(VALU_DEP_2) | instskip(NEXT) | instid1(VALU_DEP_1)
	v_cvt_u32_f32_e32 v6, v6
	v_xor_b32_e32 v6, v6, v5
	s_delay_alu instid0(VALU_DEP_1)
	v_sub_nc_u32_e32 v5, v6, v5
.LBB175_1848:
	s_mov_b32 s3, 0
	s_mov_b32 s11, -1
.LBB175_1849:
	s_and_not1_b32 vcc_lo, exec_lo, s3
	s_mov_b32 s3, 0
	s_cbranch_vccnz .LBB175_1860
; %bb.1850:
	v_cmp_lt_i16_e32 vcc_lo, 14, v16
	s_cbranch_vccz .LBB175_1853
; %bb.1851:
	v_cmp_eq_u16_e32 vcc_lo, 15, v16
	s_cbranch_vccz .LBB175_1856
; %bb.1852:
	global_load_u16 v5, v[12:13], off
	s_mov_b32 s2, 0
	s_mov_b32 s11, -1
	s_waitcnt vmcnt(0)
	v_lshlrev_b32_e32 v5, 16, v5
	s_delay_alu instid0(VALU_DEP_1) | instskip(NEXT) | instid1(VALU_DEP_1)
	v_trunc_f32_e32 v5, v5
	v_mul_f32_e64 v6, 0x2f800000, |v5|
	s_delay_alu instid0(VALU_DEP_1) | instskip(NEXT) | instid1(VALU_DEP_1)
	v_floor_f32_e32 v6, v6
	v_fma_f32 v6, 0xcf800000, v6, |v5|
	v_ashrrev_i32_e32 v5, 31, v5
	s_delay_alu instid0(VALU_DEP_2) | instskip(NEXT) | instid1(VALU_DEP_1)
	v_cvt_u32_f32_e32 v6, v6
	v_xor_b32_e32 v6, v6, v5
	s_delay_alu instid0(VALU_DEP_1)
	v_sub_nc_u32_e32 v5, v6, v5
	s_branch .LBB175_1858
.LBB175_1853:
	s_mov_b32 s3, -1
	s_branch .LBB175_1857
.LBB175_1854:
	s_or_saveexec_b32 s3, s3
	v_mov_b32_e32 v5, s12
	s_xor_b32 exec_lo, exec_lo, s3
	s_cbranch_execz .LBB175_1835
.LBB175_1855:
	v_cmp_ne_u16_e32 vcc_lo, 0, v6
	v_mov_b32_e32 v5, 0
	s_and_not1_b32 s11, s11, exec_lo
	s_and_b32 s12, vcc_lo, exec_lo
	s_delay_alu instid0(SALU_CYCLE_1)
	s_or_b32 s11, s11, s12
	s_or_b32 exec_lo, exec_lo, s3
	s_and_saveexec_b32 s3, s11
	s_cbranch_execnz .LBB175_1836
	s_branch .LBB175_1837
.LBB175_1856:
	s_mov_b32 s2, -1
.LBB175_1857:
                                        ; implicit-def: $vgpr5
.LBB175_1858:
	s_and_b32 vcc_lo, exec_lo, s3
	s_mov_b32 s3, 0
	s_cbranch_vccz .LBB175_1860
; %bb.1859:
	v_cmp_ne_u16_e64 s2, 11, v16
	s_mov_b32 s3, -1
                                        ; implicit-def: $vgpr5
.LBB175_1860:
	s_delay_alu instid0(VALU_DEP_1)
	s_and_b32 vcc_lo, exec_lo, s2
	s_cbranch_vccnz .LBB175_1884
; %bb.1861:
	s_and_not1_b32 vcc_lo, exec_lo, s3
	s_cbranch_vccnz .LBB175_1863
.LBB175_1862:
	global_load_u8 v5, v[12:13], off
	s_mov_b32 s11, -1
	s_waitcnt vmcnt(0)
	v_cmp_ne_u16_e32 vcc_lo, 0, v5
	v_cndmask_b32_e64 v5, 0, 1, vcc_lo
.LBB175_1863:
.LBB175_1864:
	s_and_not1_b32 vcc_lo, exec_lo, s11
	s_cbranch_vccnz .LBB175_3049
.LBB175_1865:
	v_cmp_gt_i16_e32 vcc_lo, 11, v15
	v_add_co_u32 v12, s2, s6, v9
	s_delay_alu instid0(VALU_DEP_1)
	v_add_co_ci_u32_e64 v13, null, s7, 0, s2
	s_mov_b32 s11, 0
	s_cbranch_vccnz .LBB175_1872
; %bb.1866:
	v_cmp_lt_i16_e32 vcc_lo, 25, v15
	s_mov_b32 s3, 0
	s_cbranch_vccz .LBB175_1878
; %bb.1867:
	v_cmp_lt_i16_e32 vcc_lo, 28, v15
	s_cbranch_vccz .LBB175_1880
; %bb.1868:
	v_cmp_lt_i16_e32 vcc_lo, 43, v15
	;; [unrolled: 3-line block ×3, first 2 shown]
	s_cbranch_vccz .LBB175_1888
; %bb.1870:
	v_cmp_eq_u16_e32 vcc_lo, 46, v15
	s_mov_b32 s12, 0
	s_cbranch_vccz .LBB175_1931
; %bb.1871:
	global_load_b32 v17, v[12:13], off
	s_mov_b32 s2, 0
	s_mov_b32 s11, -1
	s_branch .LBB175_1933
.LBB175_1872:
                                        ; implicit-def: $vgpr17
	s_cbranch_execz .LBB175_1999
; %bb.1873:
	v_cmp_gt_i16_e32 vcc_lo, 5, v15
	s_cbranch_vccnz .LBB175_1879
; %bb.1874:
	v_cmp_gt_i16_e32 vcc_lo, 8, v15
	s_cbranch_vccnz .LBB175_1881
	;; [unrolled: 3-line block ×3, first 2 shown]
; %bb.1876:
	v_cmp_lt_i16_e32 vcc_lo, 9, v15
	s_cbranch_vccz .LBB175_1889
; %bb.1877:
	global_load_b64 v[17:18], v[12:13], off
	s_mov_b32 s2, 0
	s_waitcnt vmcnt(0)
	v_cvt_f32_f64_e32 v6, v[17:18]
	s_delay_alu instid0(VALU_DEP_1) | instskip(SKIP_1) | instid1(VALU_DEP_2)
	v_bfe_u32 v9, v6, 16, 1
	v_cmp_o_f32_e32 vcc_lo, v6, v6
	v_add3_u32 v9, v6, v9, 0x7fff
	s_delay_alu instid0(VALU_DEP_1) | instskip(NEXT) | instid1(VALU_DEP_1)
	v_lshrrev_b32_e32 v9, 16, v9
	v_cndmask_b32_e32 v17, 0x7fc0, v9, vcc_lo
	s_branch .LBB175_1890
.LBB175_1878:
	s_mov_b32 s12, -1
	s_mov_b32 s2, 0
                                        ; implicit-def: $vgpr17
	s_branch .LBB175_1962
.LBB175_1879:
	s_mov_b32 s2, -1
                                        ; implicit-def: $vgpr17
	s_branch .LBB175_1908
.LBB175_1880:
	s_mov_b32 s12, -1
	s_mov_b32 s2, 0
                                        ; implicit-def: $vgpr17
	s_branch .LBB175_1943
.LBB175_1881:
	s_mov_b32 s2, -1
                                        ; implicit-def: $vgpr17
	s_branch .LBB175_1896
.LBB175_1882:
	s_mov_b32 s12, -1
	s_mov_b32 s2, 0
                                        ; implicit-def: $vgpr17
	s_branch .LBB175_1938
.LBB175_1883:
	s_mov_b32 s2, -1
                                        ; implicit-def: $vgpr17
	s_branch .LBB175_1893
.LBB175_1884:
	s_cbranch_execnz .LBB175_1929
; %bb.1885:
	s_or_b32 s10, s10, exec_lo
                                        ; implicit-def: $vgpr5
	s_cbranch_execz .LBB175_1862
	s_branch .LBB175_1863
.LBB175_1886:
	s_or_saveexec_b32 s8, s8
                                        ; implicit-def: $sgpr9
	s_delay_alu instid0(SALU_CYCLE_1)
	s_xor_b32 exec_lo, exec_lo, s8
	s_cbranch_execz .LBB175_1489
.LBB175_1887:
	v_add_f32_e64 v4, 0x42800000, |v6|
	s_and_not1_b32 s7, s7, exec_lo
	s_mov_b32 s9, 0
	s_delay_alu instid0(VALU_DEP_1) | instskip(NEXT) | instid1(VALU_DEP_1)
	v_and_b32_e32 v4, 0xff, v4
	v_cmp_ne_u32_e32 vcc_lo, 0, v4
	s_and_b32 s10, vcc_lo, exec_lo
	s_delay_alu instid0(SALU_CYCLE_1)
	s_or_b32 s7, s7, s10
	s_or_b32 exec_lo, exec_lo, s8
	v_mov_b32_e32 v7, s9
	s_and_saveexec_b32 s8, s7
	s_cbranch_execnz .LBB175_1490
	s_branch .LBB175_1491
.LBB175_1888:
	s_mov_b32 s12, -1
	s_mov_b32 s2, 0
	s_branch .LBB175_1932
.LBB175_1889:
	s_mov_b32 s2, -1
                                        ; implicit-def: $vgpr17
.LBB175_1890:
	s_delay_alu instid0(SALU_CYCLE_1)
	s_and_not1_b32 vcc_lo, exec_lo, s2
	s_cbranch_vccnz .LBB175_1892
; %bb.1891:
	global_load_b32 v6, v[12:13], off
	s_waitcnt vmcnt(0)
	v_bfe_u32 v9, v6, 16, 1
	v_cmp_o_f32_e32 vcc_lo, v6, v6
	s_delay_alu instid0(VALU_DEP_2) | instskip(NEXT) | instid1(VALU_DEP_1)
	v_add3_u32 v9, v6, v9, 0x7fff
	v_lshrrev_b32_e32 v9, 16, v9
	s_delay_alu instid0(VALU_DEP_1)
	v_cndmask_b32_e32 v17, 0x7fc0, v9, vcc_lo
.LBB175_1892:
	s_mov_b32 s2, 0
.LBB175_1893:
	s_delay_alu instid0(SALU_CYCLE_1)
	s_and_not1_b32 vcc_lo, exec_lo, s2
	s_cbranch_vccnz .LBB175_1895
; %bb.1894:
	global_load_b32 v6, v[12:13], off
	s_waitcnt vmcnt(0)
	v_cvt_f32_f16_e32 v9, v6
	v_cmp_o_f16_e32 vcc_lo, v6, v6
	s_delay_alu instid0(VALU_DEP_2) | instskip(NEXT) | instid1(VALU_DEP_1)
	v_bfe_u32 v17, v9, 16, 1
	v_add3_u32 v9, v9, v17, 0x7fff
	s_delay_alu instid0(VALU_DEP_1) | instskip(NEXT) | instid1(VALU_DEP_1)
	v_lshrrev_b32_e32 v9, 16, v9
	v_cndmask_b32_e32 v17, 0x7fc0, v9, vcc_lo
.LBB175_1895:
	s_mov_b32 s2, 0
.LBB175_1896:
	s_delay_alu instid0(SALU_CYCLE_1)
	s_and_not1_b32 vcc_lo, exec_lo, s2
	s_cbranch_vccnz .LBB175_1907
; %bb.1897:
	v_cmp_gt_i16_e32 vcc_lo, 6, v15
	s_cbranch_vccnz .LBB175_1900
; %bb.1898:
	v_cmp_lt_i16_e32 vcc_lo, 6, v15
	s_cbranch_vccz .LBB175_1901
; %bb.1899:
	global_load_b64 v[17:18], v[12:13], off
	s_mov_b32 s2, 0
	s_waitcnt vmcnt(0)
	v_cvt_f32_f64_e32 v6, v[17:18]
	s_delay_alu instid0(VALU_DEP_1) | instskip(SKIP_1) | instid1(VALU_DEP_2)
	v_bfe_u32 v9, v6, 16, 1
	v_cmp_o_f32_e32 vcc_lo, v6, v6
	v_add3_u32 v9, v6, v9, 0x7fff
	s_delay_alu instid0(VALU_DEP_1) | instskip(NEXT) | instid1(VALU_DEP_1)
	v_lshrrev_b32_e32 v9, 16, v9
	v_cndmask_b32_e32 v17, 0x7fc0, v9, vcc_lo
	s_branch .LBB175_1902
.LBB175_1900:
	s_mov_b32 s2, -1
                                        ; implicit-def: $vgpr17
	s_branch .LBB175_1905
.LBB175_1901:
	s_mov_b32 s2, -1
                                        ; implicit-def: $vgpr17
.LBB175_1902:
	s_delay_alu instid0(SALU_CYCLE_1)
	s_and_not1_b32 vcc_lo, exec_lo, s2
	s_cbranch_vccnz .LBB175_1904
; %bb.1903:
	global_load_b32 v6, v[12:13], off
	s_waitcnt vmcnt(0)
	v_bfe_u32 v9, v6, 16, 1
	v_cmp_o_f32_e32 vcc_lo, v6, v6
	s_delay_alu instid0(VALU_DEP_2) | instskip(NEXT) | instid1(VALU_DEP_1)
	v_add3_u32 v9, v6, v9, 0x7fff
	v_lshrrev_b32_e32 v9, 16, v9
	s_delay_alu instid0(VALU_DEP_1)
	v_cndmask_b32_e32 v17, 0x7fc0, v9, vcc_lo
.LBB175_1904:
	s_mov_b32 s2, 0
.LBB175_1905:
	s_delay_alu instid0(SALU_CYCLE_1)
	s_and_not1_b32 vcc_lo, exec_lo, s2
	s_cbranch_vccnz .LBB175_1907
; %bb.1906:
	global_load_u16 v6, v[12:13], off
	s_waitcnt vmcnt(0)
	v_cvt_f32_f16_e32 v9, v6
	v_cmp_o_f16_e32 vcc_lo, v6, v6
	s_delay_alu instid0(VALU_DEP_2) | instskip(NEXT) | instid1(VALU_DEP_1)
	v_bfe_u32 v17, v9, 16, 1
	v_add3_u32 v9, v9, v17, 0x7fff
	s_delay_alu instid0(VALU_DEP_1) | instskip(NEXT) | instid1(VALU_DEP_1)
	v_lshrrev_b32_e32 v9, 16, v9
	v_cndmask_b32_e32 v17, 0x7fc0, v9, vcc_lo
.LBB175_1907:
	s_mov_b32 s2, 0
.LBB175_1908:
	s_delay_alu instid0(SALU_CYCLE_1)
	s_and_not1_b32 vcc_lo, exec_lo, s2
	s_cbranch_vccnz .LBB175_1928
; %bb.1909:
	v_cmp_gt_i16_e32 vcc_lo, 2, v15
	s_cbranch_vccnz .LBB175_1913
; %bb.1910:
	v_cmp_gt_i16_e32 vcc_lo, 3, v15
	s_cbranch_vccnz .LBB175_1914
; %bb.1911:
	v_cmp_lt_i16_e32 vcc_lo, 3, v15
	s_cbranch_vccz .LBB175_1915
; %bb.1912:
	global_load_b64 v[17:18], v[12:13], off
	s_mov_b32 s2, 0
	s_waitcnt vmcnt(0)
	v_xor_b32_e32 v6, v17, v18
	v_cls_i32_e32 v9, v18
	s_delay_alu instid0(VALU_DEP_2) | instskip(NEXT) | instid1(VALU_DEP_2)
	v_ashrrev_i32_e32 v6, 31, v6
	v_add_nc_u32_e32 v9, -1, v9
	s_delay_alu instid0(VALU_DEP_2) | instskip(NEXT) | instid1(VALU_DEP_1)
	v_add_nc_u32_e32 v6, 32, v6
	v_min_u32_e32 v6, v9, v6
	s_delay_alu instid0(VALU_DEP_1) | instskip(SKIP_1) | instid1(VALU_DEP_2)
	v_lshlrev_b64 v[17:18], v6, v[17:18]
	v_sub_nc_u32_e32 v6, 32, v6
	v_min_u32_e32 v9, 1, v17
	s_delay_alu instid0(VALU_DEP_1) | instskip(NEXT) | instid1(VALU_DEP_1)
	v_or_b32_e32 v9, v18, v9
	v_cvt_f32_i32_e32 v9, v9
	s_delay_alu instid0(VALU_DEP_1) | instskip(NEXT) | instid1(VALU_DEP_1)
	v_ldexp_f32 v6, v9, v6
	v_bfe_u32 v9, v6, 16, 1
	s_delay_alu instid0(VALU_DEP_1) | instskip(NEXT) | instid1(VALU_DEP_1)
	v_add3_u32 v6, v6, v9, 0x7fff
	v_lshrrev_b32_e32 v17, 16, v6
	s_branch .LBB175_1916
.LBB175_1913:
	s_mov_b32 s2, -1
                                        ; implicit-def: $vgpr17
	s_branch .LBB175_1922
.LBB175_1914:
	s_mov_b32 s2, -1
                                        ; implicit-def: $vgpr17
	s_branch .LBB175_1919
.LBB175_1915:
	s_mov_b32 s2, -1
                                        ; implicit-def: $vgpr17
.LBB175_1916:
	s_delay_alu instid0(SALU_CYCLE_1)
	s_and_not1_b32 vcc_lo, exec_lo, s2
	s_cbranch_vccnz .LBB175_1918
; %bb.1917:
	global_load_b32 v6, v[12:13], off
	s_waitcnt vmcnt(0)
	v_cvt_f32_i32_e32 v6, v6
	s_delay_alu instid0(VALU_DEP_1) | instskip(NEXT) | instid1(VALU_DEP_1)
	v_bfe_u32 v9, v6, 16, 1
	v_add3_u32 v6, v6, v9, 0x7fff
	s_delay_alu instid0(VALU_DEP_1)
	v_lshrrev_b32_e32 v17, 16, v6
.LBB175_1918:
	s_mov_b32 s2, 0
.LBB175_1919:
	s_delay_alu instid0(SALU_CYCLE_1)
	s_and_not1_b32 vcc_lo, exec_lo, s2
	s_cbranch_vccnz .LBB175_1921
; %bb.1920:
	global_load_i16 v6, v[12:13], off
	s_waitcnt vmcnt(0)
	v_cvt_f32_i32_e32 v6, v6
	s_delay_alu instid0(VALU_DEP_1) | instskip(NEXT) | instid1(VALU_DEP_1)
	v_bfe_u32 v9, v6, 16, 1
	v_add3_u32 v6, v6, v9, 0x7fff
	s_delay_alu instid0(VALU_DEP_1)
	v_lshrrev_b32_e32 v17, 16, v6
.LBB175_1921:
	s_mov_b32 s2, 0
.LBB175_1922:
	s_delay_alu instid0(SALU_CYCLE_1)
	s_and_not1_b32 vcc_lo, exec_lo, s2
	s_cbranch_vccnz .LBB175_1928
; %bb.1923:
	v_cmp_lt_i16_e32 vcc_lo, 0, v15
	s_mov_b32 s2, 0
	s_cbranch_vccz .LBB175_1925
; %bb.1924:
	global_load_i8 v6, v[12:13], off
	s_waitcnt vmcnt(0)
	v_cvt_f32_i32_e32 v6, v6
	s_delay_alu instid0(VALU_DEP_1) | instskip(NEXT) | instid1(VALU_DEP_1)
	v_bfe_u32 v9, v6, 16, 1
	v_add3_u32 v6, v6, v9, 0x7fff
	s_delay_alu instid0(VALU_DEP_1)
	v_lshrrev_b32_e32 v17, 16, v6
	s_branch .LBB175_1926
.LBB175_1925:
	s_mov_b32 s2, -1
                                        ; implicit-def: $vgpr17
.LBB175_1926:
	s_delay_alu instid0(SALU_CYCLE_1)
	s_and_not1_b32 vcc_lo, exec_lo, s2
	s_cbranch_vccnz .LBB175_1928
; %bb.1927:
	global_load_u8 v6, v[12:13], off
	s_waitcnt vmcnt(0)
	v_cvt_f32_ubyte0_e32 v6, v6
	s_delay_alu instid0(VALU_DEP_1) | instskip(NEXT) | instid1(VALU_DEP_1)
	v_bfe_u32 v9, v6, 16, 1
	v_add3_u32 v6, v6, v9, 0x7fff
	s_delay_alu instid0(VALU_DEP_1)
	v_lshrrev_b32_e32 v17, 16, v6
.LBB175_1928:
	s_branch .LBB175_2000
.LBB175_1929:
	s_trap 2
	s_sendmsg_rtn_b32 s0, sendmsg(MSG_RTN_GET_DOORBELL)
	s_mov_b32 ttmp2, m0
	s_waitcnt lgkmcnt(0)
	s_and_b32 s0, s0, 0x3ff
	s_delay_alu instid0(SALU_CYCLE_1) | instskip(NEXT) | instid1(SALU_CYCLE_1)
	s_bitset1_b32 s0, 10
	s_mov_b32 m0, s0
	s_sendmsg sendmsg(MSG_INTERRUPT)
	s_mov_b32 m0, ttmp2
.LBB175_1930:                           ; =>This Inner Loop Header: Depth=1
	s_sethalt 5
	s_branch .LBB175_1930
.LBB175_1931:
	s_mov_b32 s2, -1
.LBB175_1932:
                                        ; implicit-def: $vgpr17
.LBB175_1933:
	s_and_b32 vcc_lo, exec_lo, s12
	s_cbranch_vccz .LBB175_1937
; %bb.1934:
	v_cmp_eq_u16_e32 vcc_lo, 44, v15
	s_cbranch_vccz .LBB175_1936
; %bb.1935:
	global_load_u8 v6, v[12:13], off
	s_mov_b32 s2, 0
	s_mov_b32 s11, -1
	s_waitcnt vmcnt(0)
	v_lshlrev_b32_e32 v9, 23, v6
	v_cmp_ne_u32_e32 vcc_lo, 0xff, v6
	s_delay_alu instid0(VALU_DEP_2) | instskip(SKIP_1) | instid1(VALU_DEP_2)
	v_cndmask_b32_e32 v9, 0x7f800001, v9, vcc_lo
	v_cmp_ne_u32_e32 vcc_lo, 0, v6
	v_cndmask_b32_e32 v6, 0x400000, v9, vcc_lo
	s_delay_alu instid0(VALU_DEP_1) | instskip(SKIP_1) | instid1(VALU_DEP_2)
	v_add_nc_u32_e32 v9, 0x7fff, v6
	v_cmp_o_f32_e32 vcc_lo, v6, v6
	v_lshrrev_b32_e32 v9, 16, v9
	s_delay_alu instid0(VALU_DEP_1)
	v_cndmask_b32_e32 v17, 0x7fc0, v9, vcc_lo
	s_branch .LBB175_1937
.LBB175_1936:
	s_mov_b32 s2, -1
                                        ; implicit-def: $vgpr17
.LBB175_1937:
	s_mov_b32 s12, 0
.LBB175_1938:
	s_delay_alu instid0(SALU_CYCLE_1)
	s_and_b32 vcc_lo, exec_lo, s12
	s_cbranch_vccz .LBB175_1942
; %bb.1939:
	v_cmp_eq_u16_e32 vcc_lo, 29, v15
	s_cbranch_vccz .LBB175_1941
; %bb.1940:
	global_load_b64 v[17:18], v[12:13], off
	s_mov_b32 s2, 0
	s_mov_b32 s11, -1
	s_mov_b32 s12, 0
	s_waitcnt vmcnt(0)
	v_clz_i32_u32_e32 v6, v18
	s_delay_alu instid0(VALU_DEP_1) | instskip(NEXT) | instid1(VALU_DEP_1)
	v_min_u32_e32 v6, 32, v6
	v_lshlrev_b64 v[17:18], v6, v[17:18]
	v_sub_nc_u32_e32 v6, 32, v6
	s_delay_alu instid0(VALU_DEP_2) | instskip(NEXT) | instid1(VALU_DEP_1)
	v_min_u32_e32 v9, 1, v17
	v_or_b32_e32 v9, v18, v9
	s_delay_alu instid0(VALU_DEP_1) | instskip(NEXT) | instid1(VALU_DEP_1)
	v_cvt_f32_u32_e32 v9, v9
	v_ldexp_f32 v6, v9, v6
	s_delay_alu instid0(VALU_DEP_1) | instskip(NEXT) | instid1(VALU_DEP_1)
	v_bfe_u32 v9, v6, 16, 1
	v_add3_u32 v6, v6, v9, 0x7fff
	s_delay_alu instid0(VALU_DEP_1)
	v_lshrrev_b32_e32 v17, 16, v6
	s_branch .LBB175_1943
.LBB175_1941:
	s_mov_b32 s2, -1
                                        ; implicit-def: $vgpr17
.LBB175_1942:
	s_mov_b32 s12, 0
.LBB175_1943:
	s_delay_alu instid0(SALU_CYCLE_1)
	s_and_b32 vcc_lo, exec_lo, s12
	s_cbranch_vccz .LBB175_1961
; %bb.1944:
	v_cmp_gt_i16_e32 vcc_lo, 27, v15
	s_cbranch_vccnz .LBB175_1947
; %bb.1945:
	v_cmp_lt_i16_e32 vcc_lo, 27, v15
	s_cbranch_vccz .LBB175_1948
; %bb.1946:
	global_load_b32 v6, v[12:13], off
	s_mov_b32 s11, 0
	s_waitcnt vmcnt(0)
	v_cvt_f32_u32_e32 v6, v6
	s_delay_alu instid0(VALU_DEP_1) | instskip(NEXT) | instid1(VALU_DEP_1)
	v_bfe_u32 v9, v6, 16, 1
	v_add3_u32 v6, v6, v9, 0x7fff
	s_delay_alu instid0(VALU_DEP_1)
	v_lshrrev_b32_e32 v17, 16, v6
	s_branch .LBB175_1949
.LBB175_1947:
	s_mov_b32 s11, -1
                                        ; implicit-def: $vgpr17
	s_branch .LBB175_1952
.LBB175_1948:
	s_mov_b32 s11, -1
                                        ; implicit-def: $vgpr17
.LBB175_1949:
	s_delay_alu instid0(SALU_CYCLE_1)
	s_and_not1_b32 vcc_lo, exec_lo, s11
	s_cbranch_vccnz .LBB175_1951
; %bb.1950:
	global_load_u16 v6, v[12:13], off
	s_waitcnt vmcnt(0)
	v_cvt_f32_u32_e32 v6, v6
	s_delay_alu instid0(VALU_DEP_1) | instskip(NEXT) | instid1(VALU_DEP_1)
	v_bfe_u32 v9, v6, 16, 1
	v_add3_u32 v6, v6, v9, 0x7fff
	s_delay_alu instid0(VALU_DEP_1)
	v_lshrrev_b32_e32 v17, 16, v6
.LBB175_1951:
	s_mov_b32 s11, 0
.LBB175_1952:
	s_delay_alu instid0(SALU_CYCLE_1)
	s_and_not1_b32 vcc_lo, exec_lo, s11
	s_cbranch_vccnz .LBB175_1960
; %bb.1953:
	global_load_u8 v6, v[12:13], off
	s_mov_b32 s11, 0
	s_mov_b32 s13, exec_lo
                                        ; implicit-def: $sgpr12
	s_waitcnt vmcnt(0)
	v_cmpx_lt_i16_e32 0x7f, v6
	s_xor_b32 s13, exec_lo, s13
	s_cbranch_execz .LBB175_1974
; %bb.1954:
	s_mov_b32 s11, -1
	s_mov_b32 s14, exec_lo
                                        ; implicit-def: $sgpr12
	v_cmpx_eq_u16_e32 0x80, v6
; %bb.1955:
	s_mov_b32 s12, 0x7f800001
	s_xor_b32 s11, exec_lo, -1
; %bb.1956:
	s_or_b32 exec_lo, exec_lo, s14
	s_delay_alu instid0(SALU_CYCLE_1)
	s_and_b32 s11, s11, exec_lo
	s_or_saveexec_b32 s13, s13
	v_mov_b32_e32 v9, s12
	s_xor_b32 exec_lo, exec_lo, s13
	s_cbranch_execnz .LBB175_1975
.LBB175_1957:
	s_or_b32 exec_lo, exec_lo, s13
	s_and_saveexec_b32 s12, s11
	s_cbranch_execz .LBB175_1959
.LBB175_1958:
	v_and_b32_e32 v9, 0xffff, v6
	s_delay_alu instid0(VALU_DEP_1) | instskip(NEXT) | instid1(VALU_DEP_1)
	v_and_b32_e32 v17, 7, v9
	v_clz_i32_u32_e32 v18, v17
	s_delay_alu instid0(VALU_DEP_1) | instskip(NEXT) | instid1(VALU_DEP_1)
	v_min_u32_e32 v18, 32, v18
	v_subrev_nc_u32_e32 v19, 28, v18
	v_sub_nc_u32_e32 v18, 29, v18
	s_delay_alu instid0(VALU_DEP_2) | instskip(SKIP_1) | instid1(VALU_DEP_2)
	v_lshlrev_b32_e32 v19, v19, v9
	v_bfe_u32 v9, v9, 3, 4
	v_and_b32_e32 v19, 7, v19
	s_delay_alu instid0(VALU_DEP_2) | instskip(NEXT) | instid1(VALU_DEP_2)
	v_cmp_eq_u32_e32 vcc_lo, 0, v9
	v_dual_cndmask_b32 v17, v17, v19 :: v_dual_lshlrev_b32 v6, 24, v6
	v_cndmask_b32_e32 v9, v9, v18, vcc_lo
	s_delay_alu instid0(VALU_DEP_2) | instskip(NEXT) | instid1(VALU_DEP_3)
	v_and_b32_e32 v6, 0x80000000, v6
	v_lshlrev_b32_e32 v17, 20, v17
	s_delay_alu instid0(VALU_DEP_3) | instskip(NEXT) | instid1(VALU_DEP_1)
	v_lshl_add_u32 v9, v9, 23, 0x3b800000
	v_or3_b32 v9, v6, v9, v17
.LBB175_1959:
	s_or_b32 exec_lo, exec_lo, s12
	s_delay_alu instid0(VALU_DEP_1) | instskip(SKIP_1) | instid1(VALU_DEP_2)
	v_bfe_u32 v6, v9, 16, 1
	v_cmp_o_f32_e32 vcc_lo, v9, v9
	v_add3_u32 v6, v9, v6, 0x7fff
	s_delay_alu instid0(VALU_DEP_1) | instskip(NEXT) | instid1(VALU_DEP_1)
	v_lshrrev_b32_e32 v6, 16, v6
	v_cndmask_b32_e32 v17, 0x7fc0, v6, vcc_lo
.LBB175_1960:
	s_mov_b32 s11, -1
.LBB175_1961:
	s_mov_b32 s12, 0
.LBB175_1962:
	s_delay_alu instid0(SALU_CYCLE_1)
	s_and_b32 vcc_lo, exec_lo, s12
	s_cbranch_vccz .LBB175_1995
; %bb.1963:
	v_cmp_lt_i16_e32 vcc_lo, 22, v15
	s_cbranch_vccz .LBB175_1973
; %bb.1964:
	v_cmp_gt_i16_e32 vcc_lo, 24, v15
	s_cbranch_vccnz .LBB175_1976
; %bb.1965:
	v_cmp_lt_i16_e32 vcc_lo, 24, v15
	s_cbranch_vccz .LBB175_1977
; %bb.1966:
	global_load_u8 v6, v[12:13], off
	s_mov_b32 s12, exec_lo
                                        ; implicit-def: $sgpr11
	s_waitcnt vmcnt(0)
	v_cmpx_lt_i16_e32 0x7f, v6
	s_xor_b32 s12, exec_lo, s12
	s_cbranch_execz .LBB175_1989
; %bb.1967:
	s_mov_b32 s3, -1
	s_mov_b32 s13, exec_lo
                                        ; implicit-def: $sgpr11
	v_cmpx_eq_u16_e32 0x80, v6
; %bb.1968:
	s_mov_b32 s11, 0x7f800001
	s_xor_b32 s3, exec_lo, -1
; %bb.1969:
	s_or_b32 exec_lo, exec_lo, s13
	s_delay_alu instid0(SALU_CYCLE_1)
	s_and_b32 s3, s3, exec_lo
	s_or_saveexec_b32 s12, s12
	v_mov_b32_e32 v9, s11
	s_xor_b32 exec_lo, exec_lo, s12
	s_cbranch_execnz .LBB175_1990
.LBB175_1970:
	s_or_b32 exec_lo, exec_lo, s12
	s_and_saveexec_b32 s11, s3
	s_cbranch_execz .LBB175_1972
.LBB175_1971:
	v_and_b32_e32 v9, 0xffff, v6
	s_delay_alu instid0(VALU_DEP_1) | instskip(NEXT) | instid1(VALU_DEP_1)
	v_and_b32_e32 v17, 3, v9
	v_clz_i32_u32_e32 v18, v17
	s_delay_alu instid0(VALU_DEP_1) | instskip(NEXT) | instid1(VALU_DEP_1)
	v_min_u32_e32 v18, 32, v18
	v_subrev_nc_u32_e32 v19, 29, v18
	v_sub_nc_u32_e32 v18, 30, v18
	s_delay_alu instid0(VALU_DEP_2) | instskip(SKIP_1) | instid1(VALU_DEP_2)
	v_lshlrev_b32_e32 v19, v19, v9
	v_bfe_u32 v9, v9, 2, 5
	v_and_b32_e32 v19, 3, v19
	s_delay_alu instid0(VALU_DEP_2) | instskip(NEXT) | instid1(VALU_DEP_2)
	v_cmp_eq_u32_e32 vcc_lo, 0, v9
	v_dual_cndmask_b32 v17, v17, v19 :: v_dual_lshlrev_b32 v6, 24, v6
	v_cndmask_b32_e32 v9, v9, v18, vcc_lo
	s_delay_alu instid0(VALU_DEP_2) | instskip(NEXT) | instid1(VALU_DEP_3)
	v_and_b32_e32 v6, 0x80000000, v6
	v_lshlrev_b32_e32 v17, 21, v17
	s_delay_alu instid0(VALU_DEP_3) | instskip(NEXT) | instid1(VALU_DEP_1)
	v_lshl_add_u32 v9, v9, 23, 0x37800000
	v_or3_b32 v9, v6, v9, v17
.LBB175_1972:
	s_or_b32 exec_lo, exec_lo, s11
	s_delay_alu instid0(VALU_DEP_1) | instskip(SKIP_2) | instid1(VALU_DEP_2)
	v_bfe_u32 v6, v9, 16, 1
	v_cmp_o_f32_e32 vcc_lo, v9, v9
	s_mov_b32 s3, 0
	v_add3_u32 v6, v9, v6, 0x7fff
	s_delay_alu instid0(VALU_DEP_1) | instskip(NEXT) | instid1(VALU_DEP_1)
	v_lshrrev_b32_e32 v6, 16, v6
	v_cndmask_b32_e32 v17, 0x7fc0, v6, vcc_lo
	s_branch .LBB175_1978
.LBB175_1973:
	s_mov_b32 s3, -1
                                        ; implicit-def: $vgpr17
	s_branch .LBB175_1984
.LBB175_1974:
	s_or_saveexec_b32 s13, s13
	v_mov_b32_e32 v9, s12
	s_xor_b32 exec_lo, exec_lo, s13
	s_cbranch_execz .LBB175_1957
.LBB175_1975:
	v_cmp_ne_u16_e32 vcc_lo, 0, v6
	v_mov_b32_e32 v9, 0
	s_and_not1_b32 s11, s11, exec_lo
	s_and_b32 s12, vcc_lo, exec_lo
	s_delay_alu instid0(SALU_CYCLE_1)
	s_or_b32 s11, s11, s12
	s_or_b32 exec_lo, exec_lo, s13
	s_and_saveexec_b32 s12, s11
	s_cbranch_execnz .LBB175_1958
	s_branch .LBB175_1959
.LBB175_1976:
	s_mov_b32 s3, -1
                                        ; implicit-def: $vgpr17
	s_branch .LBB175_1981
.LBB175_1977:
	s_mov_b32 s3, -1
                                        ; implicit-def: $vgpr17
.LBB175_1978:
	s_delay_alu instid0(SALU_CYCLE_1)
	s_and_b32 vcc_lo, exec_lo, s3
	s_cbranch_vccz .LBB175_1980
; %bb.1979:
	global_load_u8 v6, v[12:13], off
	s_waitcnt vmcnt(0)
	v_lshlrev_b32_e32 v6, 24, v6
	s_delay_alu instid0(VALU_DEP_1) | instskip(NEXT) | instid1(VALU_DEP_1)
	v_and_b32_e32 v9, 0x7f000000, v6
	v_clz_i32_u32_e32 v17, v9
	v_add_nc_u32_e32 v19, 0x1000000, v9
	v_cmp_ne_u32_e32 vcc_lo, 0, v9
	s_delay_alu instid0(VALU_DEP_3) | instskip(NEXT) | instid1(VALU_DEP_1)
	v_min_u32_e32 v17, 32, v17
	v_sub_nc_u32_e64 v17, v17, 4 clamp
	s_delay_alu instid0(VALU_DEP_1) | instskip(SKIP_1) | instid1(VALU_DEP_2)
	v_lshlrev_b32_e32 v18, v17, v9
	v_lshlrev_b32_e32 v17, 23, v17
	v_lshrrev_b32_e32 v18, 4, v18
	s_delay_alu instid0(VALU_DEP_1) | instskip(SKIP_1) | instid1(VALU_DEP_2)
	v_sub_nc_u32_e32 v17, v18, v17
	v_ashrrev_i32_e32 v18, 8, v19
	v_add_nc_u32_e32 v17, 0x3c000000, v17
	s_delay_alu instid0(VALU_DEP_1) | instskip(NEXT) | instid1(VALU_DEP_1)
	v_and_or_b32 v17, 0x7f800000, v18, v17
	v_cndmask_b32_e32 v9, 0, v17, vcc_lo
	s_delay_alu instid0(VALU_DEP_1) | instskip(SKIP_1) | instid1(VALU_DEP_2)
	v_and_or_b32 v6, 0x80000000, v6, v9
	v_bfe_u32 v9, v9, 16, 1
	v_cmp_o_f32_e32 vcc_lo, v6, v6
	s_delay_alu instid0(VALU_DEP_2) | instskip(NEXT) | instid1(VALU_DEP_1)
	v_add3_u32 v9, v6, v9, 0x7fff
	v_lshrrev_b32_e32 v9, 16, v9
	s_delay_alu instid0(VALU_DEP_1)
	v_cndmask_b32_e32 v17, 0x7fc0, v9, vcc_lo
.LBB175_1980:
	s_mov_b32 s3, 0
.LBB175_1981:
	s_delay_alu instid0(SALU_CYCLE_1)
	s_and_not1_b32 vcc_lo, exec_lo, s3
	s_cbranch_vccnz .LBB175_1983
; %bb.1982:
	global_load_u8 v6, v[12:13], off
	s_waitcnt vmcnt(0)
	v_lshlrev_b32_e32 v9, 25, v6
	v_lshlrev_b16 v6, 8, v6
	s_delay_alu instid0(VALU_DEP_2) | instskip(NEXT) | instid1(VALU_DEP_2)
	v_lshrrev_b32_e32 v17, 4, v9
	v_and_or_b32 v18, 0x7f00, v6, 0.5
	v_cmp_gt_u32_e32 vcc_lo, 0x8000000, v9
	v_bfe_i32 v6, v6, 0, 16
	s_delay_alu instid0(VALU_DEP_4) | instskip(NEXT) | instid1(VALU_DEP_1)
	v_or_b32_e32 v17, 0x70000000, v17
	v_dual_add_f32 v18, -0.5, v18 :: v_dual_mul_f32 v17, 0x7800000, v17
	s_delay_alu instid0(VALU_DEP_1) | instskip(NEXT) | instid1(VALU_DEP_1)
	v_cndmask_b32_e32 v9, v17, v18, vcc_lo
	v_and_or_b32 v6, 0x80000000, v6, v9
	v_bfe_u32 v9, v9, 16, 1
	s_delay_alu instid0(VALU_DEP_2) | instskip(NEXT) | instid1(VALU_DEP_2)
	v_cmp_o_f32_e32 vcc_lo, v6, v6
	v_add3_u32 v9, v6, v9, 0x7fff
	s_delay_alu instid0(VALU_DEP_1) | instskip(NEXT) | instid1(VALU_DEP_1)
	v_lshrrev_b32_e32 v9, 16, v9
	v_cndmask_b32_e32 v17, 0x7fc0, v9, vcc_lo
.LBB175_1983:
	s_mov_b32 s3, 0
	s_mov_b32 s11, -1
.LBB175_1984:
	s_and_not1_b32 vcc_lo, exec_lo, s3
	s_mov_b32 s3, 0
	s_cbranch_vccnz .LBB175_1995
; %bb.1985:
	v_cmp_lt_i16_e32 vcc_lo, 14, v15
	s_cbranch_vccz .LBB175_1988
; %bb.1986:
	v_cmp_eq_u16_e32 vcc_lo, 15, v15
	s_cbranch_vccz .LBB175_1991
; %bb.1987:
	global_load_u16 v17, v[12:13], off
	s_mov_b32 s2, 0
	s_mov_b32 s11, -1
	s_branch .LBB175_1993
.LBB175_1988:
	s_mov_b32 s3, -1
	s_branch .LBB175_1992
.LBB175_1989:
	s_or_saveexec_b32 s12, s12
	v_mov_b32_e32 v9, s11
	s_xor_b32 exec_lo, exec_lo, s12
	s_cbranch_execz .LBB175_1970
.LBB175_1990:
	v_cmp_ne_u16_e32 vcc_lo, 0, v6
	v_mov_b32_e32 v9, 0
	s_and_not1_b32 s3, s3, exec_lo
	s_and_b32 s11, vcc_lo, exec_lo
	s_delay_alu instid0(SALU_CYCLE_1)
	s_or_b32 s3, s3, s11
	s_or_b32 exec_lo, exec_lo, s12
	s_and_saveexec_b32 s11, s3
	s_cbranch_execnz .LBB175_1971
	s_branch .LBB175_1972
.LBB175_1991:
	s_mov_b32 s2, -1
.LBB175_1992:
                                        ; implicit-def: $vgpr17
.LBB175_1993:
	s_and_b32 vcc_lo, exec_lo, s3
	s_mov_b32 s3, 0
	s_cbranch_vccz .LBB175_1995
; %bb.1994:
	v_cmp_ne_u16_e64 s2, 11, v15
	s_mov_b32 s3, -1
                                        ; implicit-def: $vgpr17
.LBB175_1995:
	s_delay_alu instid0(VALU_DEP_1)
	s_and_b32 vcc_lo, exec_lo, s2
	s_cbranch_vccnz .LBB175_2011
; %bb.1996:
	s_and_not1_b32 vcc_lo, exec_lo, s3
	s_cbranch_vccnz .LBB175_1998
.LBB175_1997:
	global_load_u8 v6, v[12:13], off
	s_mov_b32 s11, -1
	s_waitcnt vmcnt(0)
	v_cmp_ne_u16_e32 vcc_lo, 0, v6
	v_cndmask_b32_e64 v6, 0, 1.0, vcc_lo
	s_delay_alu instid0(VALU_DEP_1)
	v_lshrrev_b32_e32 v17, 16, v6
.LBB175_1998:
.LBB175_1999:
	s_and_not1_b32 vcc_lo, exec_lo, s11
	s_cbranch_vccnz .LBB175_3049
.LBB175_2000:
	v_cmp_gt_i16_e32 vcc_lo, 11, v16
	v_add_co_u32 v12, s2, s0, v8
	s_delay_alu instid0(VALU_DEP_1)
	v_add_co_ci_u32_e64 v13, null, s1, 0, s2
	s_mov_b32 s11, 0
	s_cbranch_vccnz .LBB175_2007
; %bb.2001:
	v_cmp_lt_i16_e32 vcc_lo, 25, v16
	s_mov_b32 s3, 0
	s_cbranch_vccz .LBB175_2008
; %bb.2002:
	v_cmp_lt_i16_e32 vcc_lo, 28, v16
	s_cbranch_vccz .LBB175_2009
; %bb.2003:
	v_cmp_lt_i16_e32 vcc_lo, 43, v16
	s_cbranch_vccz .LBB175_2010
; %bb.2004:
	v_cmp_lt_i16_e32 vcc_lo, 45, v16
	s_cbranch_vccz .LBB175_2013
; %bb.2005:
	v_cmp_eq_u16_e32 vcc_lo, 46, v16
	s_mov_b32 s12, 0
	s_cbranch_vccz .LBB175_2016
; %bb.2006:
	global_load_b32 v6, v[12:13], off
	s_mov_b32 s2, 0
	s_mov_b32 s11, -1
	s_waitcnt vmcnt(0)
	v_lshlrev_b32_e32 v6, 16, v6
	s_delay_alu instid0(VALU_DEP_1) | instskip(NEXT) | instid1(VALU_DEP_1)
	v_trunc_f32_e32 v6, v6
	v_mul_f32_e64 v8, 0x2f800000, |v6|
	s_delay_alu instid0(VALU_DEP_1) | instskip(NEXT) | instid1(VALU_DEP_1)
	v_floor_f32_e32 v8, v8
	v_fma_f32 v8, 0xcf800000, v8, |v6|
	v_ashrrev_i32_e32 v6, 31, v6
	s_delay_alu instid0(VALU_DEP_2) | instskip(NEXT) | instid1(VALU_DEP_1)
	v_cvt_u32_f32_e32 v8, v8
	v_xor_b32_e32 v8, v8, v6
	s_delay_alu instid0(VALU_DEP_1)
	v_sub_nc_u32_e32 v8, v8, v6
	s_branch .LBB175_2018
.LBB175_2007:
	s_mov_b32 s2, -1
                                        ; implicit-def: $vgpr8
	s_branch .LBB175_2080
.LBB175_2008:
	s_mov_b32 s12, -1
	s_mov_b32 s2, 0
                                        ; implicit-def: $vgpr8
	s_branch .LBB175_2045
.LBB175_2009:
	s_mov_b32 s12, -1
	s_mov_b32 s2, 0
                                        ; implicit-def: $vgpr8
	s_branch .LBB175_2028
.LBB175_2010:
	s_mov_b32 s12, -1
	s_mov_b32 s2, 0
                                        ; implicit-def: $vgpr8
	s_branch .LBB175_2023
.LBB175_2011:
	s_cbranch_execnz .LBB175_2014
; %bb.2012:
	s_or_b32 s10, s10, exec_lo
                                        ; implicit-def: $vgpr17
	s_cbranch_execz .LBB175_1997
	s_branch .LBB175_1998
.LBB175_2013:
	s_mov_b32 s12, -1
	s_mov_b32 s2, 0
	s_branch .LBB175_2017
.LBB175_2014:
	s_trap 2
	s_sendmsg_rtn_b32 s0, sendmsg(MSG_RTN_GET_DOORBELL)
	s_mov_b32 ttmp2, m0
	s_waitcnt lgkmcnt(0)
	s_and_b32 s0, s0, 0x3ff
	s_delay_alu instid0(SALU_CYCLE_1) | instskip(NEXT) | instid1(SALU_CYCLE_1)
	s_bitset1_b32 s0, 10
	s_mov_b32 m0, s0
	s_sendmsg sendmsg(MSG_INTERRUPT)
	s_mov_b32 m0, ttmp2
.LBB175_2015:                           ; =>This Inner Loop Header: Depth=1
	s_sethalt 5
	s_branch .LBB175_2015
.LBB175_2016:
	s_mov_b32 s2, -1
.LBB175_2017:
                                        ; implicit-def: $vgpr8
.LBB175_2018:
	s_and_b32 vcc_lo, exec_lo, s12
	s_cbranch_vccz .LBB175_2022
; %bb.2019:
	v_cmp_eq_u16_e32 vcc_lo, 44, v16
	s_cbranch_vccz .LBB175_2021
; %bb.2020:
	global_load_u8 v6, v[12:13], off
	s_mov_b32 s2, 0
	s_mov_b32 s11, -1
	s_waitcnt vmcnt(0)
	v_lshlrev_b32_e32 v8, 23, v6
	v_cmp_ne_u32_e32 vcc_lo, 0, v6
	s_delay_alu instid0(VALU_DEP_2) | instskip(NEXT) | instid1(VALU_DEP_1)
	v_trunc_f32_e32 v8, v8
	v_mul_f32_e64 v9, 0x2f800000, |v8|
	s_delay_alu instid0(VALU_DEP_1) | instskip(NEXT) | instid1(VALU_DEP_1)
	v_floor_f32_e32 v9, v9
	v_fma_f32 v9, 0xcf800000, v9, |v8|
	v_ashrrev_i32_e32 v8, 31, v8
	s_delay_alu instid0(VALU_DEP_2) | instskip(NEXT) | instid1(VALU_DEP_1)
	v_cvt_u32_f32_e32 v9, v9
	v_xor_b32_e32 v9, v9, v8
	s_delay_alu instid0(VALU_DEP_1) | instskip(NEXT) | instid1(VALU_DEP_1)
	v_sub_nc_u32_e32 v8, v9, v8
	v_cndmask_b32_e32 v8, 0, v8, vcc_lo
	s_branch .LBB175_2022
.LBB175_2021:
	s_mov_b32 s2, -1
                                        ; implicit-def: $vgpr8
.LBB175_2022:
	s_mov_b32 s12, 0
.LBB175_2023:
	s_delay_alu instid0(SALU_CYCLE_1)
	s_and_b32 vcc_lo, exec_lo, s12
	s_cbranch_vccz .LBB175_2027
; %bb.2024:
	v_cmp_eq_u16_e32 vcc_lo, 29, v16
	s_cbranch_vccz .LBB175_2026
; %bb.2025:
	global_load_b64 v[8:9], v[12:13], off
	s_mov_b32 s2, 0
	s_mov_b32 s11, -1
	s_branch .LBB175_2027
.LBB175_2026:
	s_mov_b32 s2, -1
                                        ; implicit-def: $vgpr8
.LBB175_2027:
	s_mov_b32 s12, 0
.LBB175_2028:
	s_delay_alu instid0(SALU_CYCLE_1)
	s_and_b32 vcc_lo, exec_lo, s12
	s_cbranch_vccz .LBB175_2044
; %bb.2029:
	v_cmp_gt_i16_e32 vcc_lo, 27, v16
	s_cbranch_vccnz .LBB175_2032
; %bb.2030:
	v_cmp_lt_i16_e32 vcc_lo, 27, v16
	s_cbranch_vccz .LBB175_2033
; %bb.2031:
	global_load_b32 v8, v[12:13], off
	s_mov_b32 s11, 0
	s_branch .LBB175_2034
.LBB175_2032:
	s_mov_b32 s11, -1
                                        ; implicit-def: $vgpr8
	s_branch .LBB175_2037
.LBB175_2033:
	s_mov_b32 s11, -1
                                        ; implicit-def: $vgpr8
.LBB175_2034:
	s_delay_alu instid0(SALU_CYCLE_1)
	s_and_not1_b32 vcc_lo, exec_lo, s11
	s_cbranch_vccnz .LBB175_2036
; %bb.2035:
	global_load_u16 v8, v[12:13], off
.LBB175_2036:
	s_mov_b32 s11, 0
.LBB175_2037:
	s_delay_alu instid0(SALU_CYCLE_1)
	s_and_not1_b32 vcc_lo, exec_lo, s11
	s_cbranch_vccnz .LBB175_2043
; %bb.2038:
	global_load_u8 v6, v[12:13], off
	s_mov_b32 s12, 0
	s_mov_b32 s11, exec_lo
                                        ; implicit-def: $sgpr13
	s_waitcnt vmcnt(0)
	v_cmpx_lt_i16_e32 0x7f, v6
	s_xor_b32 s11, exec_lo, s11
	s_cbranch_execz .LBB175_2055
; %bb.2039:
	v_cmp_ne_u16_e32 vcc_lo, 0x80, v6
	s_mov_b32 s13, 0
	s_and_b32 s12, vcc_lo, exec_lo
	s_or_saveexec_b32 s11, s11
	v_mov_b32_e32 v8, s13
	s_xor_b32 exec_lo, exec_lo, s11
	s_cbranch_execnz .LBB175_2056
.LBB175_2040:
	s_or_b32 exec_lo, exec_lo, s11
	s_and_saveexec_b32 s11, s12
	s_cbranch_execz .LBB175_2042
.LBB175_2041:
	v_and_b32_e32 v8, 0xffff, v6
	v_lshlrev_b32_e32 v6, 24, v6
	s_delay_alu instid0(VALU_DEP_2) | instskip(NEXT) | instid1(VALU_DEP_2)
	v_and_b32_e32 v9, 7, v8
	v_and_b32_e32 v6, 0x80000000, v6
	s_delay_alu instid0(VALU_DEP_2) | instskip(NEXT) | instid1(VALU_DEP_1)
	v_clz_i32_u32_e32 v18, v9
	v_min_u32_e32 v18, 32, v18
	s_delay_alu instid0(VALU_DEP_1) | instskip(SKIP_1) | instid1(VALU_DEP_2)
	v_subrev_nc_u32_e32 v19, 28, v18
	v_sub_nc_u32_e32 v18, 29, v18
	v_lshlrev_b32_e32 v19, v19, v8
	v_bfe_u32 v8, v8, 3, 4
	s_delay_alu instid0(VALU_DEP_2) | instskip(NEXT) | instid1(VALU_DEP_2)
	v_and_b32_e32 v19, 7, v19
	v_cmp_eq_u32_e32 vcc_lo, 0, v8
	s_delay_alu instid0(VALU_DEP_2) | instskip(NEXT) | instid1(VALU_DEP_1)
	v_dual_cndmask_b32 v8, v8, v18 :: v_dual_cndmask_b32 v9, v9, v19
	v_lshl_add_u32 v8, v8, 23, 0x3b800000
	s_delay_alu instid0(VALU_DEP_2) | instskip(NEXT) | instid1(VALU_DEP_1)
	v_lshlrev_b32_e32 v9, 20, v9
	v_or3_b32 v6, v6, v8, v9
	s_delay_alu instid0(VALU_DEP_1) | instskip(NEXT) | instid1(VALU_DEP_1)
	v_trunc_f32_e32 v6, v6
	v_mul_f32_e64 v8, 0x2f800000, |v6|
	s_delay_alu instid0(VALU_DEP_1) | instskip(NEXT) | instid1(VALU_DEP_1)
	v_floor_f32_e32 v8, v8
	v_fma_f32 v8, 0xcf800000, v8, |v6|
	v_ashrrev_i32_e32 v6, 31, v6
	s_delay_alu instid0(VALU_DEP_2) | instskip(NEXT) | instid1(VALU_DEP_1)
	v_cvt_u32_f32_e32 v8, v8
	v_xor_b32_e32 v8, v8, v6
	s_delay_alu instid0(VALU_DEP_1)
	v_sub_nc_u32_e32 v8, v8, v6
.LBB175_2042:
	s_or_b32 exec_lo, exec_lo, s11
.LBB175_2043:
	s_mov_b32 s11, -1
.LBB175_2044:
	s_mov_b32 s12, 0
.LBB175_2045:
	s_delay_alu instid0(SALU_CYCLE_1)
	s_and_b32 vcc_lo, exec_lo, s12
	s_cbranch_vccz .LBB175_2076
; %bb.2046:
	v_cmp_lt_i16_e32 vcc_lo, 22, v16
	s_cbranch_vccz .LBB175_2054
; %bb.2047:
	v_cmp_gt_i16_e32 vcc_lo, 24, v16
	s_cbranch_vccnz .LBB175_2057
; %bb.2048:
	v_cmp_lt_i16_e32 vcc_lo, 24, v16
	s_cbranch_vccz .LBB175_2058
; %bb.2049:
	global_load_u8 v6, v[12:13], off
	s_mov_b32 s11, 0
	s_mov_b32 s3, exec_lo
                                        ; implicit-def: $sgpr12
	s_waitcnt vmcnt(0)
	v_cmpx_lt_i16_e32 0x7f, v6
	s_xor_b32 s3, exec_lo, s3
	s_cbranch_execz .LBB175_2070
; %bb.2050:
	v_cmp_ne_u16_e32 vcc_lo, 0x80, v6
	s_mov_b32 s12, 0
	s_and_b32 s11, vcc_lo, exec_lo
	s_or_saveexec_b32 s3, s3
	v_mov_b32_e32 v8, s12
	s_xor_b32 exec_lo, exec_lo, s3
	s_cbranch_execnz .LBB175_2071
.LBB175_2051:
	s_or_b32 exec_lo, exec_lo, s3
	s_and_saveexec_b32 s3, s11
	s_cbranch_execz .LBB175_2053
.LBB175_2052:
	v_and_b32_e32 v8, 0xffff, v6
	v_lshlrev_b32_e32 v6, 24, v6
	s_delay_alu instid0(VALU_DEP_2) | instskip(NEXT) | instid1(VALU_DEP_2)
	v_and_b32_e32 v9, 3, v8
	v_and_b32_e32 v6, 0x80000000, v6
	s_delay_alu instid0(VALU_DEP_2) | instskip(NEXT) | instid1(VALU_DEP_1)
	v_clz_i32_u32_e32 v18, v9
	v_min_u32_e32 v18, 32, v18
	s_delay_alu instid0(VALU_DEP_1) | instskip(SKIP_1) | instid1(VALU_DEP_2)
	v_subrev_nc_u32_e32 v19, 29, v18
	v_sub_nc_u32_e32 v18, 30, v18
	v_lshlrev_b32_e32 v19, v19, v8
	v_bfe_u32 v8, v8, 2, 5
	s_delay_alu instid0(VALU_DEP_2) | instskip(NEXT) | instid1(VALU_DEP_2)
	v_and_b32_e32 v19, 3, v19
	v_cmp_eq_u32_e32 vcc_lo, 0, v8
	s_delay_alu instid0(VALU_DEP_2) | instskip(NEXT) | instid1(VALU_DEP_1)
	v_dual_cndmask_b32 v8, v8, v18 :: v_dual_cndmask_b32 v9, v9, v19
	v_lshl_add_u32 v8, v8, 23, 0x37800000
	s_delay_alu instid0(VALU_DEP_2) | instskip(NEXT) | instid1(VALU_DEP_1)
	v_lshlrev_b32_e32 v9, 21, v9
	v_or3_b32 v6, v6, v8, v9
	s_delay_alu instid0(VALU_DEP_1) | instskip(NEXT) | instid1(VALU_DEP_1)
	v_trunc_f32_e32 v6, v6
	v_mul_f32_e64 v8, 0x2f800000, |v6|
	s_delay_alu instid0(VALU_DEP_1) | instskip(NEXT) | instid1(VALU_DEP_1)
	v_floor_f32_e32 v8, v8
	v_fma_f32 v8, 0xcf800000, v8, |v6|
	v_ashrrev_i32_e32 v6, 31, v6
	s_delay_alu instid0(VALU_DEP_2) | instskip(NEXT) | instid1(VALU_DEP_1)
	v_cvt_u32_f32_e32 v8, v8
	v_xor_b32_e32 v8, v8, v6
	s_delay_alu instid0(VALU_DEP_1)
	v_sub_nc_u32_e32 v8, v8, v6
.LBB175_2053:
	s_or_b32 exec_lo, exec_lo, s3
	s_mov_b32 s3, 0
	s_branch .LBB175_2059
.LBB175_2054:
	s_mov_b32 s3, -1
                                        ; implicit-def: $vgpr8
	s_branch .LBB175_2065
.LBB175_2055:
	s_or_saveexec_b32 s11, s11
	v_mov_b32_e32 v8, s13
	s_xor_b32 exec_lo, exec_lo, s11
	s_cbranch_execz .LBB175_2040
.LBB175_2056:
	v_cmp_ne_u16_e32 vcc_lo, 0, v6
	v_mov_b32_e32 v8, 0
	s_and_not1_b32 s12, s12, exec_lo
	s_and_b32 s13, vcc_lo, exec_lo
	s_delay_alu instid0(SALU_CYCLE_1)
	s_or_b32 s12, s12, s13
	s_or_b32 exec_lo, exec_lo, s11
	s_and_saveexec_b32 s11, s12
	s_cbranch_execnz .LBB175_2041
	s_branch .LBB175_2042
.LBB175_2057:
	s_mov_b32 s3, -1
                                        ; implicit-def: $vgpr8
	s_branch .LBB175_2062
.LBB175_2058:
	s_mov_b32 s3, -1
                                        ; implicit-def: $vgpr8
.LBB175_2059:
	s_delay_alu instid0(SALU_CYCLE_1)
	s_and_b32 vcc_lo, exec_lo, s3
	s_cbranch_vccz .LBB175_2061
; %bb.2060:
	global_load_u8 v6, v[12:13], off
	s_waitcnt vmcnt(0)
	v_lshlrev_b32_e32 v6, 24, v6
	s_delay_alu instid0(VALU_DEP_1) | instskip(NEXT) | instid1(VALU_DEP_1)
	v_and_b32_e32 v8, 0x7f000000, v6
	v_clz_i32_u32_e32 v9, v8
	v_cmp_ne_u32_e32 vcc_lo, 0, v8
	v_add_nc_u32_e32 v19, 0x1000000, v8
	s_delay_alu instid0(VALU_DEP_3) | instskip(NEXT) | instid1(VALU_DEP_1)
	v_min_u32_e32 v9, 32, v9
	v_sub_nc_u32_e64 v9, v9, 4 clamp
	s_delay_alu instid0(VALU_DEP_1) | instskip(SKIP_1) | instid1(VALU_DEP_2)
	v_lshlrev_b32_e32 v18, v9, v8
	v_lshlrev_b32_e32 v9, 23, v9
	v_lshrrev_b32_e32 v18, 4, v18
	s_delay_alu instid0(VALU_DEP_1) | instskip(SKIP_1) | instid1(VALU_DEP_2)
	v_sub_nc_u32_e32 v9, v18, v9
	v_ashrrev_i32_e32 v18, 8, v19
	v_add_nc_u32_e32 v9, 0x3c000000, v9
	s_delay_alu instid0(VALU_DEP_1) | instskip(NEXT) | instid1(VALU_DEP_1)
	v_and_or_b32 v9, 0x7f800000, v18, v9
	v_cndmask_b32_e32 v8, 0, v9, vcc_lo
	s_delay_alu instid0(VALU_DEP_1) | instskip(NEXT) | instid1(VALU_DEP_1)
	v_and_or_b32 v6, 0x80000000, v6, v8
	v_trunc_f32_e32 v6, v6
	s_delay_alu instid0(VALU_DEP_1) | instskip(NEXT) | instid1(VALU_DEP_1)
	v_mul_f32_e64 v8, 0x2f800000, |v6|
	v_floor_f32_e32 v8, v8
	s_delay_alu instid0(VALU_DEP_1) | instskip(SKIP_1) | instid1(VALU_DEP_2)
	v_fma_f32 v8, 0xcf800000, v8, |v6|
	v_ashrrev_i32_e32 v6, 31, v6
	v_cvt_u32_f32_e32 v8, v8
	s_delay_alu instid0(VALU_DEP_1) | instskip(NEXT) | instid1(VALU_DEP_1)
	v_xor_b32_e32 v8, v8, v6
	v_sub_nc_u32_e32 v8, v8, v6
.LBB175_2061:
	s_mov_b32 s3, 0
.LBB175_2062:
	s_delay_alu instid0(SALU_CYCLE_1)
	s_and_not1_b32 vcc_lo, exec_lo, s3
	s_cbranch_vccnz .LBB175_2064
; %bb.2063:
	global_load_u8 v6, v[12:13], off
	s_waitcnt vmcnt(0)
	v_lshlrev_b32_e32 v8, 25, v6
	v_lshlrev_b16 v6, 8, v6
	s_delay_alu instid0(VALU_DEP_2) | instskip(NEXT) | instid1(VALU_DEP_2)
	v_lshrrev_b32_e32 v9, 4, v8
	v_and_or_b32 v18, 0x7f00, v6, 0.5
	v_bfe_i32 v6, v6, 0, 16
	s_delay_alu instid0(VALU_DEP_3) | instskip(NEXT) | instid1(VALU_DEP_1)
	v_or_b32_e32 v9, 0x70000000, v9
	v_dual_add_f32 v18, -0.5, v18 :: v_dual_mul_f32 v9, 0x7800000, v9
	v_cmp_gt_u32_e32 vcc_lo, 0x8000000, v8
	s_delay_alu instid0(VALU_DEP_2) | instskip(NEXT) | instid1(VALU_DEP_1)
	v_cndmask_b32_e32 v8, v9, v18, vcc_lo
	v_and_or_b32 v6, 0x80000000, v6, v8
	s_delay_alu instid0(VALU_DEP_1) | instskip(NEXT) | instid1(VALU_DEP_1)
	v_trunc_f32_e32 v6, v6
	v_mul_f32_e64 v8, 0x2f800000, |v6|
	s_delay_alu instid0(VALU_DEP_1) | instskip(NEXT) | instid1(VALU_DEP_1)
	v_floor_f32_e32 v8, v8
	v_fma_f32 v8, 0xcf800000, v8, |v6|
	v_ashrrev_i32_e32 v6, 31, v6
	s_delay_alu instid0(VALU_DEP_2) | instskip(NEXT) | instid1(VALU_DEP_1)
	v_cvt_u32_f32_e32 v8, v8
	v_xor_b32_e32 v8, v8, v6
	s_delay_alu instid0(VALU_DEP_1)
	v_sub_nc_u32_e32 v8, v8, v6
.LBB175_2064:
	s_mov_b32 s3, 0
	s_mov_b32 s11, -1
.LBB175_2065:
	s_and_not1_b32 vcc_lo, exec_lo, s3
	s_mov_b32 s3, 0
	s_cbranch_vccnz .LBB175_2076
; %bb.2066:
	v_cmp_lt_i16_e32 vcc_lo, 14, v16
	s_cbranch_vccz .LBB175_2069
; %bb.2067:
	v_cmp_eq_u16_e32 vcc_lo, 15, v16
	s_cbranch_vccz .LBB175_2072
; %bb.2068:
	global_load_u16 v6, v[12:13], off
	s_mov_b32 s2, 0
	s_mov_b32 s11, -1
	s_waitcnt vmcnt(0)
	v_lshlrev_b32_e32 v6, 16, v6
	s_delay_alu instid0(VALU_DEP_1) | instskip(NEXT) | instid1(VALU_DEP_1)
	v_trunc_f32_e32 v6, v6
	v_mul_f32_e64 v8, 0x2f800000, |v6|
	s_delay_alu instid0(VALU_DEP_1) | instskip(NEXT) | instid1(VALU_DEP_1)
	v_floor_f32_e32 v8, v8
	v_fma_f32 v8, 0xcf800000, v8, |v6|
	v_ashrrev_i32_e32 v6, 31, v6
	s_delay_alu instid0(VALU_DEP_2) | instskip(NEXT) | instid1(VALU_DEP_1)
	v_cvt_u32_f32_e32 v8, v8
	v_xor_b32_e32 v8, v8, v6
	s_delay_alu instid0(VALU_DEP_1)
	v_sub_nc_u32_e32 v8, v8, v6
	s_branch .LBB175_2074
.LBB175_2069:
	s_mov_b32 s3, -1
	s_branch .LBB175_2073
.LBB175_2070:
	s_or_saveexec_b32 s3, s3
	v_mov_b32_e32 v8, s12
	s_xor_b32 exec_lo, exec_lo, s3
	s_cbranch_execz .LBB175_2051
.LBB175_2071:
	v_cmp_ne_u16_e32 vcc_lo, 0, v6
	v_mov_b32_e32 v8, 0
	s_and_not1_b32 s11, s11, exec_lo
	s_and_b32 s12, vcc_lo, exec_lo
	s_delay_alu instid0(SALU_CYCLE_1)
	s_or_b32 s11, s11, s12
	s_or_b32 exec_lo, exec_lo, s3
	s_and_saveexec_b32 s3, s11
	s_cbranch_execnz .LBB175_2052
	s_branch .LBB175_2053
.LBB175_2072:
	s_mov_b32 s2, -1
.LBB175_2073:
                                        ; implicit-def: $vgpr8
.LBB175_2074:
	s_and_b32 vcc_lo, exec_lo, s3
	s_mov_b32 s3, 0
	s_cbranch_vccz .LBB175_2076
; %bb.2075:
	v_cmp_ne_u16_e64 s2, 11, v16
	s_mov_b32 s3, -1
                                        ; implicit-def: $vgpr8
.LBB175_2076:
	s_delay_alu instid0(VALU_DEP_1)
	s_and_b32 vcc_lo, exec_lo, s2
	s_cbranch_vccnz .LBB175_2141
; %bb.2077:
	s_and_not1_b32 vcc_lo, exec_lo, s3
	s_cbranch_vccnz .LBB175_2079
.LBB175_2078:
	global_load_u8 v6, v[12:13], off
	s_mov_b32 s11, -1
	s_waitcnt vmcnt(0)
	v_cmp_ne_u16_e32 vcc_lo, 0, v6
	v_cndmask_b32_e64 v8, 0, 1, vcc_lo
.LBB175_2079:
	s_mov_b32 s2, 0
.LBB175_2080:
	s_delay_alu instid0(SALU_CYCLE_1)
	s_and_b32 vcc_lo, exec_lo, s2
	s_cbranch_vccz .LBB175_2129
; %bb.2081:
	v_cmp_gt_i16_e32 vcc_lo, 5, v16
	s_cbranch_vccnz .LBB175_2086
; %bb.2082:
	v_cmp_gt_i16_e32 vcc_lo, 8, v16
	s_cbranch_vccnz .LBB175_2087
	;; [unrolled: 3-line block ×3, first 2 shown]
; %bb.2084:
	v_cmp_lt_i16_e32 vcc_lo, 9, v16
	s_cbranch_vccz .LBB175_2089
; %bb.2085:
	global_load_b64 v[8:9], v[12:13], off
	s_mov_b32 s2, 0
	s_waitcnt vmcnt(0)
	v_trunc_f64_e32 v[8:9], v[8:9]
	s_delay_alu instid0(VALU_DEP_1) | instskip(NEXT) | instid1(VALU_DEP_1)
	v_ldexp_f64 v[18:19], v[8:9], 0xffffffe0
	v_floor_f64_e32 v[18:19], v[18:19]
	s_delay_alu instid0(VALU_DEP_1) | instskip(NEXT) | instid1(VALU_DEP_1)
	v_fma_f64 v[8:9], 0xc1f00000, v[18:19], v[8:9]
	v_cvt_u32_f64_e32 v8, v[8:9]
	s_branch .LBB175_2090
.LBB175_2086:
	s_mov_b32 s2, -1
                                        ; implicit-def: $vgpr8
	s_branch .LBB175_2108
.LBB175_2087:
	s_mov_b32 s2, -1
                                        ; implicit-def: $vgpr8
	s_branch .LBB175_2096
.LBB175_2088:
	s_mov_b32 s2, -1
                                        ; implicit-def: $vgpr8
	s_branch .LBB175_2093
.LBB175_2089:
	s_mov_b32 s2, -1
                                        ; implicit-def: $vgpr8
.LBB175_2090:
	s_delay_alu instid0(SALU_CYCLE_1)
	s_and_not1_b32 vcc_lo, exec_lo, s2
	s_cbranch_vccnz .LBB175_2092
; %bb.2091:
	global_load_b32 v6, v[12:13], off
	s_waitcnt vmcnt(0)
	v_trunc_f32_e32 v6, v6
	s_delay_alu instid0(VALU_DEP_1) | instskip(NEXT) | instid1(VALU_DEP_1)
	v_mul_f32_e64 v8, 0x2f800000, |v6|
	v_floor_f32_e32 v8, v8
	s_delay_alu instid0(VALU_DEP_1) | instskip(SKIP_1) | instid1(VALU_DEP_2)
	v_fma_f32 v8, 0xcf800000, v8, |v6|
	v_ashrrev_i32_e32 v6, 31, v6
	v_cvt_u32_f32_e32 v8, v8
	s_delay_alu instid0(VALU_DEP_1) | instskip(NEXT) | instid1(VALU_DEP_1)
	v_xor_b32_e32 v8, v8, v6
	v_sub_nc_u32_e32 v8, v8, v6
.LBB175_2092:
	s_mov_b32 s2, 0
.LBB175_2093:
	s_delay_alu instid0(SALU_CYCLE_1)
	s_and_not1_b32 vcc_lo, exec_lo, s2
	s_cbranch_vccnz .LBB175_2095
; %bb.2094:
	global_load_b32 v6, v[12:13], off
	s_waitcnt vmcnt(0)
	v_cvt_f32_f16_e32 v6, v6
	s_delay_alu instid0(VALU_DEP_1)
	v_cvt_i32_f32_e32 v8, v6
.LBB175_2095:
	s_mov_b32 s2, 0
.LBB175_2096:
	s_delay_alu instid0(SALU_CYCLE_1)
	s_and_not1_b32 vcc_lo, exec_lo, s2
	s_cbranch_vccnz .LBB175_2107
; %bb.2097:
	v_cmp_gt_i16_e32 vcc_lo, 6, v16
	s_cbranch_vccnz .LBB175_2100
; %bb.2098:
	v_cmp_lt_i16_e32 vcc_lo, 6, v16
	s_cbranch_vccz .LBB175_2101
; %bb.2099:
	global_load_b64 v[8:9], v[12:13], off
	s_mov_b32 s2, 0
	s_waitcnt vmcnt(0)
	v_trunc_f64_e32 v[8:9], v[8:9]
	s_delay_alu instid0(VALU_DEP_1) | instskip(NEXT) | instid1(VALU_DEP_1)
	v_ldexp_f64 v[18:19], v[8:9], 0xffffffe0
	v_floor_f64_e32 v[18:19], v[18:19]
	s_delay_alu instid0(VALU_DEP_1) | instskip(NEXT) | instid1(VALU_DEP_1)
	v_fma_f64 v[8:9], 0xc1f00000, v[18:19], v[8:9]
	v_cvt_u32_f64_e32 v8, v[8:9]
	s_branch .LBB175_2102
.LBB175_2100:
	s_mov_b32 s2, -1
                                        ; implicit-def: $vgpr8
	s_branch .LBB175_2105
.LBB175_2101:
	s_mov_b32 s2, -1
                                        ; implicit-def: $vgpr8
.LBB175_2102:
	s_delay_alu instid0(SALU_CYCLE_1)
	s_and_not1_b32 vcc_lo, exec_lo, s2
	s_cbranch_vccnz .LBB175_2104
; %bb.2103:
	global_load_b32 v6, v[12:13], off
	s_waitcnt vmcnt(0)
	v_trunc_f32_e32 v6, v6
	s_delay_alu instid0(VALU_DEP_1) | instskip(NEXT) | instid1(VALU_DEP_1)
	v_mul_f32_e64 v8, 0x2f800000, |v6|
	v_floor_f32_e32 v8, v8
	s_delay_alu instid0(VALU_DEP_1) | instskip(SKIP_1) | instid1(VALU_DEP_2)
	v_fma_f32 v8, 0xcf800000, v8, |v6|
	v_ashrrev_i32_e32 v6, 31, v6
	v_cvt_u32_f32_e32 v8, v8
	s_delay_alu instid0(VALU_DEP_1) | instskip(NEXT) | instid1(VALU_DEP_1)
	v_xor_b32_e32 v8, v8, v6
	v_sub_nc_u32_e32 v8, v8, v6
.LBB175_2104:
	s_mov_b32 s2, 0
.LBB175_2105:
	s_delay_alu instid0(SALU_CYCLE_1)
	s_and_not1_b32 vcc_lo, exec_lo, s2
	s_cbranch_vccnz .LBB175_2107
; %bb.2106:
	global_load_u16 v6, v[12:13], off
	s_waitcnt vmcnt(0)
	v_cvt_f32_f16_e32 v6, v6
	s_delay_alu instid0(VALU_DEP_1)
	v_cvt_i32_f32_e32 v8, v6
.LBB175_2107:
	s_mov_b32 s2, 0
.LBB175_2108:
	s_delay_alu instid0(SALU_CYCLE_1)
	s_and_not1_b32 vcc_lo, exec_lo, s2
	s_cbranch_vccnz .LBB175_2128
; %bb.2109:
	v_cmp_gt_i16_e32 vcc_lo, 2, v16
	s_cbranch_vccnz .LBB175_2113
; %bb.2110:
	v_cmp_gt_i16_e32 vcc_lo, 3, v16
	s_cbranch_vccnz .LBB175_2114
; %bb.2111:
	v_cmp_lt_i16_e32 vcc_lo, 3, v16
	s_cbranch_vccz .LBB175_2115
; %bb.2112:
	global_load_b64 v[8:9], v[12:13], off
	s_mov_b32 s2, 0
	s_branch .LBB175_2116
.LBB175_2113:
	s_mov_b32 s2, -1
                                        ; implicit-def: $vgpr8
	s_branch .LBB175_2122
.LBB175_2114:
	s_mov_b32 s2, -1
                                        ; implicit-def: $vgpr8
	s_branch .LBB175_2119
.LBB175_2115:
	s_mov_b32 s2, -1
                                        ; implicit-def: $vgpr8
.LBB175_2116:
	s_delay_alu instid0(SALU_CYCLE_1)
	s_and_not1_b32 vcc_lo, exec_lo, s2
	s_cbranch_vccnz .LBB175_2118
; %bb.2117:
	global_load_b32 v8, v[12:13], off
.LBB175_2118:
	s_mov_b32 s2, 0
.LBB175_2119:
	s_delay_alu instid0(SALU_CYCLE_1)
	s_and_not1_b32 vcc_lo, exec_lo, s2
	s_cbranch_vccnz .LBB175_2121
; %bb.2120:
	global_load_u16 v8, v[12:13], off
.LBB175_2121:
	s_mov_b32 s2, 0
.LBB175_2122:
	s_delay_alu instid0(SALU_CYCLE_1)
	s_and_not1_b32 vcc_lo, exec_lo, s2
	s_cbranch_vccnz .LBB175_2128
; %bb.2123:
	v_cmp_lt_i16_e32 vcc_lo, 0, v16
	s_mov_b32 s2, 0
	s_cbranch_vccz .LBB175_2125
; %bb.2124:
	global_load_u8 v8, v[12:13], off
	s_branch .LBB175_2126
.LBB175_2125:
	s_mov_b32 s2, -1
                                        ; implicit-def: $vgpr8
.LBB175_2126:
	s_delay_alu instid0(SALU_CYCLE_1)
	s_and_not1_b32 vcc_lo, exec_lo, s2
	s_cbranch_vccnz .LBB175_2128
; %bb.2127:
	global_load_u8 v8, v[12:13], off
.LBB175_2128:
	s_mov_b32 s11, -1
.LBB175_2129:
	s_delay_alu instid0(SALU_CYCLE_1)
	s_and_not1_b32 vcc_lo, exec_lo, s11
	s_cbranch_vccnz .LBB175_3049
; %bb.2130:
	v_cmp_gt_i16_e32 vcc_lo, 11, v15
	v_add_co_u32 v11, s2, s6, v11
	s_delay_alu instid0(VALU_DEP_1)
	v_add_co_ci_u32_e64 v12, null, s7, 0, s2
	s_mov_b32 s11, 0
	s_cbranch_vccnz .LBB175_2137
; %bb.2131:
	v_cmp_lt_i16_e32 vcc_lo, 25, v15
	s_mov_b32 s3, 0
	s_cbranch_vccz .LBB175_2138
; %bb.2132:
	v_cmp_lt_i16_e32 vcc_lo, 28, v15
	s_cbranch_vccz .LBB175_2139
; %bb.2133:
	v_cmp_lt_i16_e32 vcc_lo, 43, v15
	s_cbranch_vccz .LBB175_2140
; %bb.2134:
	v_cmp_lt_i16_e32 vcc_lo, 45, v15
	s_cbranch_vccz .LBB175_2143
; %bb.2135:
	v_cmp_eq_u16_e32 vcc_lo, 46, v15
	s_mov_b32 s12, 0
	s_cbranch_vccz .LBB175_2146
; %bb.2136:
	global_load_b32 v13, v[11:12], off
	s_mov_b32 s2, 0
	s_mov_b32 s11, -1
	s_branch .LBB175_2148
.LBB175_2137:
	s_mov_b32 s2, -1
                                        ; implicit-def: $vgpr13
	s_branch .LBB175_2214
.LBB175_2138:
	s_mov_b32 s12, -1
	s_mov_b32 s2, 0
                                        ; implicit-def: $vgpr13
	s_branch .LBB175_2177
.LBB175_2139:
	s_mov_b32 s12, -1
	s_mov_b32 s2, 0
                                        ; implicit-def: $vgpr13
	s_branch .LBB175_2158
.LBB175_2140:
	s_mov_b32 s12, -1
	s_mov_b32 s2, 0
                                        ; implicit-def: $vgpr13
	s_branch .LBB175_2153
.LBB175_2141:
	s_cbranch_execnz .LBB175_2144
; %bb.2142:
	s_or_b32 s10, s10, exec_lo
                                        ; implicit-def: $vgpr8
	s_cbranch_execz .LBB175_2078
	s_branch .LBB175_2079
.LBB175_2143:
	s_mov_b32 s12, -1
	s_mov_b32 s2, 0
	s_branch .LBB175_2147
.LBB175_2144:
	s_trap 2
	s_sendmsg_rtn_b32 s0, sendmsg(MSG_RTN_GET_DOORBELL)
	s_mov_b32 ttmp2, m0
	s_waitcnt lgkmcnt(0)
	s_and_b32 s0, s0, 0x3ff
	s_delay_alu instid0(SALU_CYCLE_1) | instskip(NEXT) | instid1(SALU_CYCLE_1)
	s_bitset1_b32 s0, 10
	s_mov_b32 m0, s0
	s_sendmsg sendmsg(MSG_INTERRUPT)
	s_mov_b32 m0, ttmp2
.LBB175_2145:                           ; =>This Inner Loop Header: Depth=1
	s_sethalt 5
	s_branch .LBB175_2145
.LBB175_2146:
	s_mov_b32 s2, -1
.LBB175_2147:
                                        ; implicit-def: $vgpr13
.LBB175_2148:
	s_and_b32 vcc_lo, exec_lo, s12
	s_cbranch_vccz .LBB175_2152
; %bb.2149:
	v_cmp_eq_u16_e32 vcc_lo, 44, v15
	s_cbranch_vccz .LBB175_2151
; %bb.2150:
	global_load_u8 v6, v[11:12], off
	s_mov_b32 s2, 0
	s_mov_b32 s11, -1
	s_waitcnt vmcnt(0)
	v_lshlrev_b32_e32 v9, 23, v6
	v_cmp_ne_u32_e32 vcc_lo, 0xff, v6
	s_delay_alu instid0(VALU_DEP_2) | instskip(SKIP_1) | instid1(VALU_DEP_2)
	v_cndmask_b32_e32 v9, 0x7f800001, v9, vcc_lo
	v_cmp_ne_u32_e32 vcc_lo, 0, v6
	v_cndmask_b32_e32 v6, 0x400000, v9, vcc_lo
	s_delay_alu instid0(VALU_DEP_1) | instskip(SKIP_1) | instid1(VALU_DEP_2)
	v_add_nc_u32_e32 v9, 0x7fff, v6
	v_cmp_o_f32_e32 vcc_lo, v6, v6
	v_lshrrev_b32_e32 v9, 16, v9
	s_delay_alu instid0(VALU_DEP_1)
	v_cndmask_b32_e32 v13, 0x7fc0, v9, vcc_lo
	s_branch .LBB175_2152
.LBB175_2151:
	s_mov_b32 s2, -1
                                        ; implicit-def: $vgpr13
.LBB175_2152:
	s_mov_b32 s12, 0
.LBB175_2153:
	s_delay_alu instid0(SALU_CYCLE_1)
	s_and_b32 vcc_lo, exec_lo, s12
	s_cbranch_vccz .LBB175_2157
; %bb.2154:
	v_cmp_eq_u16_e32 vcc_lo, 29, v15
	s_cbranch_vccz .LBB175_2156
; %bb.2155:
	global_load_b64 v[18:19], v[11:12], off
	s_mov_b32 s2, 0
	s_mov_b32 s11, -1
	s_mov_b32 s12, 0
	s_waitcnt vmcnt(0)
	v_clz_i32_u32_e32 v6, v19
	s_delay_alu instid0(VALU_DEP_1) | instskip(NEXT) | instid1(VALU_DEP_1)
	v_min_u32_e32 v6, 32, v6
	v_lshlrev_b64 v[18:19], v6, v[18:19]
	v_sub_nc_u32_e32 v6, 32, v6
	s_delay_alu instid0(VALU_DEP_2) | instskip(NEXT) | instid1(VALU_DEP_1)
	v_min_u32_e32 v9, 1, v18
	v_or_b32_e32 v9, v19, v9
	s_delay_alu instid0(VALU_DEP_1) | instskip(NEXT) | instid1(VALU_DEP_1)
	v_cvt_f32_u32_e32 v9, v9
	v_ldexp_f32 v6, v9, v6
	s_delay_alu instid0(VALU_DEP_1) | instskip(NEXT) | instid1(VALU_DEP_1)
	v_bfe_u32 v9, v6, 16, 1
	v_add3_u32 v6, v6, v9, 0x7fff
	s_delay_alu instid0(VALU_DEP_1)
	v_lshrrev_b32_e32 v13, 16, v6
	s_branch .LBB175_2158
.LBB175_2156:
	s_mov_b32 s2, -1
                                        ; implicit-def: $vgpr13
.LBB175_2157:
	s_mov_b32 s12, 0
.LBB175_2158:
	s_delay_alu instid0(SALU_CYCLE_1)
	s_and_b32 vcc_lo, exec_lo, s12
	s_cbranch_vccz .LBB175_2176
; %bb.2159:
	v_cmp_gt_i16_e32 vcc_lo, 27, v15
	s_cbranch_vccnz .LBB175_2162
; %bb.2160:
	v_cmp_lt_i16_e32 vcc_lo, 27, v15
	s_cbranch_vccz .LBB175_2163
; %bb.2161:
	global_load_b32 v6, v[11:12], off
	s_mov_b32 s11, 0
	s_waitcnt vmcnt(0)
	v_cvt_f32_u32_e32 v6, v6
	s_delay_alu instid0(VALU_DEP_1) | instskip(NEXT) | instid1(VALU_DEP_1)
	v_bfe_u32 v9, v6, 16, 1
	v_add3_u32 v6, v6, v9, 0x7fff
	s_delay_alu instid0(VALU_DEP_1)
	v_lshrrev_b32_e32 v13, 16, v6
	s_branch .LBB175_2164
.LBB175_2162:
	s_mov_b32 s11, -1
                                        ; implicit-def: $vgpr13
	s_branch .LBB175_2167
.LBB175_2163:
	s_mov_b32 s11, -1
                                        ; implicit-def: $vgpr13
.LBB175_2164:
	s_delay_alu instid0(SALU_CYCLE_1)
	s_and_not1_b32 vcc_lo, exec_lo, s11
	s_cbranch_vccnz .LBB175_2166
; %bb.2165:
	global_load_u16 v6, v[11:12], off
	s_waitcnt vmcnt(0)
	v_cvt_f32_u32_e32 v6, v6
	s_delay_alu instid0(VALU_DEP_1) | instskip(NEXT) | instid1(VALU_DEP_1)
	v_bfe_u32 v9, v6, 16, 1
	v_add3_u32 v6, v6, v9, 0x7fff
	s_delay_alu instid0(VALU_DEP_1)
	v_lshrrev_b32_e32 v13, 16, v6
.LBB175_2166:
	s_mov_b32 s11, 0
.LBB175_2167:
	s_delay_alu instid0(SALU_CYCLE_1)
	s_and_not1_b32 vcc_lo, exec_lo, s11
	s_cbranch_vccnz .LBB175_2175
; %bb.2168:
	global_load_u8 v6, v[11:12], off
	s_mov_b32 s11, 0
	s_mov_b32 s13, exec_lo
                                        ; implicit-def: $sgpr12
	s_waitcnt vmcnt(0)
	v_cmpx_lt_i16_e32 0x7f, v6
	s_xor_b32 s13, exec_lo, s13
	s_cbranch_execz .LBB175_2189
; %bb.2169:
	s_mov_b32 s11, -1
	s_mov_b32 s14, exec_lo
                                        ; implicit-def: $sgpr12
	v_cmpx_eq_u16_e32 0x80, v6
; %bb.2170:
	s_mov_b32 s12, 0x7f800001
	s_xor_b32 s11, exec_lo, -1
; %bb.2171:
	s_or_b32 exec_lo, exec_lo, s14
	s_delay_alu instid0(SALU_CYCLE_1)
	s_and_b32 s11, s11, exec_lo
	s_or_saveexec_b32 s13, s13
	v_mov_b32_e32 v9, s12
	s_xor_b32 exec_lo, exec_lo, s13
	s_cbranch_execnz .LBB175_2190
.LBB175_2172:
	s_or_b32 exec_lo, exec_lo, s13
	s_and_saveexec_b32 s12, s11
	s_cbranch_execz .LBB175_2174
.LBB175_2173:
	v_and_b32_e32 v9, 0xffff, v6
	s_delay_alu instid0(VALU_DEP_1) | instskip(NEXT) | instid1(VALU_DEP_1)
	v_and_b32_e32 v13, 7, v9
	v_clz_i32_u32_e32 v18, v13
	s_delay_alu instid0(VALU_DEP_1) | instskip(NEXT) | instid1(VALU_DEP_1)
	v_min_u32_e32 v18, 32, v18
	v_subrev_nc_u32_e32 v19, 28, v18
	v_sub_nc_u32_e32 v18, 29, v18
	s_delay_alu instid0(VALU_DEP_2) | instskip(SKIP_1) | instid1(VALU_DEP_2)
	v_lshlrev_b32_e32 v19, v19, v9
	v_bfe_u32 v9, v9, 3, 4
	v_and_b32_e32 v19, 7, v19
	s_delay_alu instid0(VALU_DEP_2) | instskip(NEXT) | instid1(VALU_DEP_2)
	v_cmp_eq_u32_e32 vcc_lo, 0, v9
	v_dual_cndmask_b32 v13, v13, v19 :: v_dual_lshlrev_b32 v6, 24, v6
	v_cndmask_b32_e32 v9, v9, v18, vcc_lo
	s_delay_alu instid0(VALU_DEP_2) | instskip(NEXT) | instid1(VALU_DEP_3)
	v_and_b32_e32 v6, 0x80000000, v6
	v_lshlrev_b32_e32 v13, 20, v13
	s_delay_alu instid0(VALU_DEP_3) | instskip(NEXT) | instid1(VALU_DEP_1)
	v_lshl_add_u32 v9, v9, 23, 0x3b800000
	v_or3_b32 v9, v6, v9, v13
.LBB175_2174:
	s_or_b32 exec_lo, exec_lo, s12
	s_delay_alu instid0(VALU_DEP_1) | instskip(SKIP_1) | instid1(VALU_DEP_2)
	v_bfe_u32 v6, v9, 16, 1
	v_cmp_o_f32_e32 vcc_lo, v9, v9
	v_add3_u32 v6, v9, v6, 0x7fff
	s_delay_alu instid0(VALU_DEP_1) | instskip(NEXT) | instid1(VALU_DEP_1)
	v_lshrrev_b32_e32 v6, 16, v6
	v_cndmask_b32_e32 v13, 0x7fc0, v6, vcc_lo
.LBB175_2175:
	s_mov_b32 s11, -1
.LBB175_2176:
	s_mov_b32 s12, 0
.LBB175_2177:
	s_delay_alu instid0(SALU_CYCLE_1)
	s_and_b32 vcc_lo, exec_lo, s12
	s_cbranch_vccz .LBB175_2210
; %bb.2178:
	v_cmp_lt_i16_e32 vcc_lo, 22, v15
	s_cbranch_vccz .LBB175_2188
; %bb.2179:
	v_cmp_gt_i16_e32 vcc_lo, 24, v15
	s_cbranch_vccnz .LBB175_2191
; %bb.2180:
	v_cmp_lt_i16_e32 vcc_lo, 24, v15
	s_cbranch_vccz .LBB175_2192
; %bb.2181:
	global_load_u8 v6, v[11:12], off
	s_mov_b32 s12, exec_lo
                                        ; implicit-def: $sgpr11
	s_waitcnt vmcnt(0)
	v_cmpx_lt_i16_e32 0x7f, v6
	s_xor_b32 s12, exec_lo, s12
	s_cbranch_execz .LBB175_2204
; %bb.2182:
	s_mov_b32 s3, -1
	s_mov_b32 s13, exec_lo
                                        ; implicit-def: $sgpr11
	v_cmpx_eq_u16_e32 0x80, v6
; %bb.2183:
	s_mov_b32 s11, 0x7f800001
	s_xor_b32 s3, exec_lo, -1
; %bb.2184:
	s_or_b32 exec_lo, exec_lo, s13
	s_delay_alu instid0(SALU_CYCLE_1)
	s_and_b32 s3, s3, exec_lo
	s_or_saveexec_b32 s12, s12
	v_mov_b32_e32 v9, s11
	s_xor_b32 exec_lo, exec_lo, s12
	s_cbranch_execnz .LBB175_2205
.LBB175_2185:
	s_or_b32 exec_lo, exec_lo, s12
	s_and_saveexec_b32 s11, s3
	s_cbranch_execz .LBB175_2187
.LBB175_2186:
	v_and_b32_e32 v9, 0xffff, v6
	s_delay_alu instid0(VALU_DEP_1) | instskip(NEXT) | instid1(VALU_DEP_1)
	v_and_b32_e32 v13, 3, v9
	v_clz_i32_u32_e32 v18, v13
	s_delay_alu instid0(VALU_DEP_1) | instskip(NEXT) | instid1(VALU_DEP_1)
	v_min_u32_e32 v18, 32, v18
	v_subrev_nc_u32_e32 v19, 29, v18
	v_sub_nc_u32_e32 v18, 30, v18
	s_delay_alu instid0(VALU_DEP_2) | instskip(SKIP_1) | instid1(VALU_DEP_2)
	v_lshlrev_b32_e32 v19, v19, v9
	v_bfe_u32 v9, v9, 2, 5
	v_and_b32_e32 v19, 3, v19
	s_delay_alu instid0(VALU_DEP_2) | instskip(NEXT) | instid1(VALU_DEP_2)
	v_cmp_eq_u32_e32 vcc_lo, 0, v9
	v_dual_cndmask_b32 v13, v13, v19 :: v_dual_lshlrev_b32 v6, 24, v6
	v_cndmask_b32_e32 v9, v9, v18, vcc_lo
	s_delay_alu instid0(VALU_DEP_2) | instskip(NEXT) | instid1(VALU_DEP_3)
	v_and_b32_e32 v6, 0x80000000, v6
	v_lshlrev_b32_e32 v13, 21, v13
	s_delay_alu instid0(VALU_DEP_3) | instskip(NEXT) | instid1(VALU_DEP_1)
	v_lshl_add_u32 v9, v9, 23, 0x37800000
	v_or3_b32 v9, v6, v9, v13
.LBB175_2187:
	s_or_b32 exec_lo, exec_lo, s11
	s_delay_alu instid0(VALU_DEP_1) | instskip(SKIP_2) | instid1(VALU_DEP_2)
	v_bfe_u32 v6, v9, 16, 1
	v_cmp_o_f32_e32 vcc_lo, v9, v9
	s_mov_b32 s3, 0
	v_add3_u32 v6, v9, v6, 0x7fff
	s_delay_alu instid0(VALU_DEP_1) | instskip(NEXT) | instid1(VALU_DEP_1)
	v_lshrrev_b32_e32 v6, 16, v6
	v_cndmask_b32_e32 v13, 0x7fc0, v6, vcc_lo
	s_branch .LBB175_2193
.LBB175_2188:
	s_mov_b32 s3, -1
                                        ; implicit-def: $vgpr13
	s_branch .LBB175_2199
.LBB175_2189:
	s_or_saveexec_b32 s13, s13
	v_mov_b32_e32 v9, s12
	s_xor_b32 exec_lo, exec_lo, s13
	s_cbranch_execz .LBB175_2172
.LBB175_2190:
	v_cmp_ne_u16_e32 vcc_lo, 0, v6
	v_mov_b32_e32 v9, 0
	s_and_not1_b32 s11, s11, exec_lo
	s_and_b32 s12, vcc_lo, exec_lo
	s_delay_alu instid0(SALU_CYCLE_1)
	s_or_b32 s11, s11, s12
	s_or_b32 exec_lo, exec_lo, s13
	s_and_saveexec_b32 s12, s11
	s_cbranch_execnz .LBB175_2173
	s_branch .LBB175_2174
.LBB175_2191:
	s_mov_b32 s3, -1
                                        ; implicit-def: $vgpr13
	s_branch .LBB175_2196
.LBB175_2192:
	s_mov_b32 s3, -1
                                        ; implicit-def: $vgpr13
.LBB175_2193:
	s_delay_alu instid0(SALU_CYCLE_1)
	s_and_b32 vcc_lo, exec_lo, s3
	s_cbranch_vccz .LBB175_2195
; %bb.2194:
	global_load_u8 v6, v[11:12], off
	s_waitcnt vmcnt(0)
	v_lshlrev_b32_e32 v6, 24, v6
	s_delay_alu instid0(VALU_DEP_1) | instskip(NEXT) | instid1(VALU_DEP_1)
	v_and_b32_e32 v9, 0x7f000000, v6
	v_clz_i32_u32_e32 v13, v9
	v_add_nc_u32_e32 v19, 0x1000000, v9
	v_cmp_ne_u32_e32 vcc_lo, 0, v9
	s_delay_alu instid0(VALU_DEP_3) | instskip(NEXT) | instid1(VALU_DEP_1)
	v_min_u32_e32 v13, 32, v13
	v_sub_nc_u32_e64 v13, v13, 4 clamp
	s_delay_alu instid0(VALU_DEP_1) | instskip(SKIP_1) | instid1(VALU_DEP_2)
	v_lshlrev_b32_e32 v18, v13, v9
	v_lshlrev_b32_e32 v13, 23, v13
	v_lshrrev_b32_e32 v18, 4, v18
	s_delay_alu instid0(VALU_DEP_1) | instskip(SKIP_1) | instid1(VALU_DEP_2)
	v_sub_nc_u32_e32 v13, v18, v13
	v_ashrrev_i32_e32 v18, 8, v19
	v_add_nc_u32_e32 v13, 0x3c000000, v13
	s_delay_alu instid0(VALU_DEP_1) | instskip(NEXT) | instid1(VALU_DEP_1)
	v_and_or_b32 v13, 0x7f800000, v18, v13
	v_cndmask_b32_e32 v9, 0, v13, vcc_lo
	s_delay_alu instid0(VALU_DEP_1) | instskip(SKIP_1) | instid1(VALU_DEP_2)
	v_and_or_b32 v6, 0x80000000, v6, v9
	v_bfe_u32 v9, v9, 16, 1
	v_cmp_o_f32_e32 vcc_lo, v6, v6
	s_delay_alu instid0(VALU_DEP_2) | instskip(NEXT) | instid1(VALU_DEP_1)
	v_add3_u32 v9, v6, v9, 0x7fff
	v_lshrrev_b32_e32 v9, 16, v9
	s_delay_alu instid0(VALU_DEP_1)
	v_cndmask_b32_e32 v13, 0x7fc0, v9, vcc_lo
.LBB175_2195:
	s_mov_b32 s3, 0
.LBB175_2196:
	s_delay_alu instid0(SALU_CYCLE_1)
	s_and_not1_b32 vcc_lo, exec_lo, s3
	s_cbranch_vccnz .LBB175_2198
; %bb.2197:
	global_load_u8 v6, v[11:12], off
	s_waitcnt vmcnt(0)
	v_lshlrev_b32_e32 v9, 25, v6
	v_lshlrev_b16 v6, 8, v6
	s_delay_alu instid0(VALU_DEP_2) | instskip(NEXT) | instid1(VALU_DEP_2)
	v_lshrrev_b32_e32 v13, 4, v9
	v_and_or_b32 v18, 0x7f00, v6, 0.5
	v_cmp_gt_u32_e32 vcc_lo, 0x8000000, v9
	v_bfe_i32 v6, v6, 0, 16
	s_delay_alu instid0(VALU_DEP_4) | instskip(NEXT) | instid1(VALU_DEP_1)
	v_or_b32_e32 v13, 0x70000000, v13
	v_dual_add_f32 v18, -0.5, v18 :: v_dual_mul_f32 v13, 0x7800000, v13
	s_delay_alu instid0(VALU_DEP_1) | instskip(NEXT) | instid1(VALU_DEP_1)
	v_cndmask_b32_e32 v9, v13, v18, vcc_lo
	v_and_or_b32 v6, 0x80000000, v6, v9
	v_bfe_u32 v9, v9, 16, 1
	s_delay_alu instid0(VALU_DEP_2) | instskip(NEXT) | instid1(VALU_DEP_2)
	v_cmp_o_f32_e32 vcc_lo, v6, v6
	v_add3_u32 v9, v6, v9, 0x7fff
	s_delay_alu instid0(VALU_DEP_1) | instskip(NEXT) | instid1(VALU_DEP_1)
	v_lshrrev_b32_e32 v9, 16, v9
	v_cndmask_b32_e32 v13, 0x7fc0, v9, vcc_lo
.LBB175_2198:
	s_mov_b32 s3, 0
	s_mov_b32 s11, -1
.LBB175_2199:
	s_and_not1_b32 vcc_lo, exec_lo, s3
	s_mov_b32 s3, 0
	s_cbranch_vccnz .LBB175_2210
; %bb.2200:
	v_cmp_lt_i16_e32 vcc_lo, 14, v15
	s_cbranch_vccz .LBB175_2203
; %bb.2201:
	v_cmp_eq_u16_e32 vcc_lo, 15, v15
	s_cbranch_vccz .LBB175_2206
; %bb.2202:
	global_load_u16 v13, v[11:12], off
	s_mov_b32 s2, 0
	s_mov_b32 s11, -1
	s_branch .LBB175_2208
.LBB175_2203:
	s_mov_b32 s3, -1
	s_branch .LBB175_2207
.LBB175_2204:
	s_or_saveexec_b32 s12, s12
	v_mov_b32_e32 v9, s11
	s_xor_b32 exec_lo, exec_lo, s12
	s_cbranch_execz .LBB175_2185
.LBB175_2205:
	v_cmp_ne_u16_e32 vcc_lo, 0, v6
	v_mov_b32_e32 v9, 0
	s_and_not1_b32 s3, s3, exec_lo
	s_and_b32 s11, vcc_lo, exec_lo
	s_delay_alu instid0(SALU_CYCLE_1)
	s_or_b32 s3, s3, s11
	s_or_b32 exec_lo, exec_lo, s12
	s_and_saveexec_b32 s11, s3
	s_cbranch_execnz .LBB175_2186
	s_branch .LBB175_2187
.LBB175_2206:
	s_mov_b32 s2, -1
.LBB175_2207:
                                        ; implicit-def: $vgpr13
.LBB175_2208:
	s_and_b32 vcc_lo, exec_lo, s3
	s_mov_b32 s3, 0
	s_cbranch_vccz .LBB175_2210
; %bb.2209:
	v_cmp_ne_u16_e64 s2, 11, v15
	s_mov_b32 s3, -1
                                        ; implicit-def: $vgpr13
.LBB175_2210:
	s_delay_alu instid0(VALU_DEP_1)
	s_and_b32 vcc_lo, exec_lo, s2
	s_cbranch_vccnz .LBB175_2275
; %bb.2211:
	s_and_not1_b32 vcc_lo, exec_lo, s3
	s_cbranch_vccnz .LBB175_2213
.LBB175_2212:
	global_load_u8 v6, v[11:12], off
	s_mov_b32 s11, -1
	s_waitcnt vmcnt(0)
	v_cmp_ne_u16_e32 vcc_lo, 0, v6
	v_cndmask_b32_e64 v6, 0, 1.0, vcc_lo
	s_delay_alu instid0(VALU_DEP_1)
	v_lshrrev_b32_e32 v13, 16, v6
.LBB175_2213:
	s_mov_b32 s2, 0
.LBB175_2214:
	s_delay_alu instid0(SALU_CYCLE_1)
	s_and_b32 vcc_lo, exec_lo, s2
	s_cbranch_vccz .LBB175_2263
; %bb.2215:
	v_cmp_gt_i16_e32 vcc_lo, 5, v15
	s_cbranch_vccnz .LBB175_2220
; %bb.2216:
	v_cmp_gt_i16_e32 vcc_lo, 8, v15
	s_cbranch_vccnz .LBB175_2221
	;; [unrolled: 3-line block ×3, first 2 shown]
; %bb.2218:
	v_cmp_lt_i16_e32 vcc_lo, 9, v15
	s_cbranch_vccz .LBB175_2223
; %bb.2219:
	global_load_b64 v[18:19], v[11:12], off
	s_mov_b32 s2, 0
	s_waitcnt vmcnt(0)
	v_cvt_f32_f64_e32 v6, v[18:19]
	s_delay_alu instid0(VALU_DEP_1) | instskip(SKIP_1) | instid1(VALU_DEP_2)
	v_bfe_u32 v9, v6, 16, 1
	v_cmp_o_f32_e32 vcc_lo, v6, v6
	v_add3_u32 v9, v6, v9, 0x7fff
	s_delay_alu instid0(VALU_DEP_1) | instskip(NEXT) | instid1(VALU_DEP_1)
	v_lshrrev_b32_e32 v9, 16, v9
	v_cndmask_b32_e32 v13, 0x7fc0, v9, vcc_lo
	s_branch .LBB175_2224
.LBB175_2220:
	s_mov_b32 s2, -1
                                        ; implicit-def: $vgpr13
	s_branch .LBB175_2242
.LBB175_2221:
	s_mov_b32 s2, -1
                                        ; implicit-def: $vgpr13
	s_branch .LBB175_2230
.LBB175_2222:
	s_mov_b32 s2, -1
                                        ; implicit-def: $vgpr13
	s_branch .LBB175_2227
.LBB175_2223:
	s_mov_b32 s2, -1
                                        ; implicit-def: $vgpr13
.LBB175_2224:
	s_delay_alu instid0(SALU_CYCLE_1)
	s_and_not1_b32 vcc_lo, exec_lo, s2
	s_cbranch_vccnz .LBB175_2226
; %bb.2225:
	global_load_b32 v6, v[11:12], off
	s_waitcnt vmcnt(0)
	v_bfe_u32 v9, v6, 16, 1
	v_cmp_o_f32_e32 vcc_lo, v6, v6
	s_delay_alu instid0(VALU_DEP_2) | instskip(NEXT) | instid1(VALU_DEP_1)
	v_add3_u32 v9, v6, v9, 0x7fff
	v_lshrrev_b32_e32 v9, 16, v9
	s_delay_alu instid0(VALU_DEP_1)
	v_cndmask_b32_e32 v13, 0x7fc0, v9, vcc_lo
.LBB175_2226:
	s_mov_b32 s2, 0
.LBB175_2227:
	s_delay_alu instid0(SALU_CYCLE_1)
	s_and_not1_b32 vcc_lo, exec_lo, s2
	s_cbranch_vccnz .LBB175_2229
; %bb.2228:
	global_load_b32 v6, v[11:12], off
	s_waitcnt vmcnt(0)
	v_cvt_f32_f16_e32 v9, v6
	v_cmp_o_f16_e32 vcc_lo, v6, v6
	s_delay_alu instid0(VALU_DEP_2) | instskip(NEXT) | instid1(VALU_DEP_1)
	v_bfe_u32 v13, v9, 16, 1
	v_add3_u32 v9, v9, v13, 0x7fff
	s_delay_alu instid0(VALU_DEP_1) | instskip(NEXT) | instid1(VALU_DEP_1)
	v_lshrrev_b32_e32 v9, 16, v9
	v_cndmask_b32_e32 v13, 0x7fc0, v9, vcc_lo
.LBB175_2229:
	s_mov_b32 s2, 0
.LBB175_2230:
	s_delay_alu instid0(SALU_CYCLE_1)
	s_and_not1_b32 vcc_lo, exec_lo, s2
	s_cbranch_vccnz .LBB175_2241
; %bb.2231:
	v_cmp_gt_i16_e32 vcc_lo, 6, v15
	s_cbranch_vccnz .LBB175_2234
; %bb.2232:
	v_cmp_lt_i16_e32 vcc_lo, 6, v15
	s_cbranch_vccz .LBB175_2235
; %bb.2233:
	global_load_b64 v[18:19], v[11:12], off
	s_mov_b32 s2, 0
	s_waitcnt vmcnt(0)
	v_cvt_f32_f64_e32 v6, v[18:19]
	s_delay_alu instid0(VALU_DEP_1) | instskip(SKIP_1) | instid1(VALU_DEP_2)
	v_bfe_u32 v9, v6, 16, 1
	v_cmp_o_f32_e32 vcc_lo, v6, v6
	v_add3_u32 v9, v6, v9, 0x7fff
	s_delay_alu instid0(VALU_DEP_1) | instskip(NEXT) | instid1(VALU_DEP_1)
	v_lshrrev_b32_e32 v9, 16, v9
	v_cndmask_b32_e32 v13, 0x7fc0, v9, vcc_lo
	s_branch .LBB175_2236
.LBB175_2234:
	s_mov_b32 s2, -1
                                        ; implicit-def: $vgpr13
	s_branch .LBB175_2239
.LBB175_2235:
	s_mov_b32 s2, -1
                                        ; implicit-def: $vgpr13
.LBB175_2236:
	s_delay_alu instid0(SALU_CYCLE_1)
	s_and_not1_b32 vcc_lo, exec_lo, s2
	s_cbranch_vccnz .LBB175_2238
; %bb.2237:
	global_load_b32 v6, v[11:12], off
	s_waitcnt vmcnt(0)
	v_bfe_u32 v9, v6, 16, 1
	v_cmp_o_f32_e32 vcc_lo, v6, v6
	s_delay_alu instid0(VALU_DEP_2) | instskip(NEXT) | instid1(VALU_DEP_1)
	v_add3_u32 v9, v6, v9, 0x7fff
	v_lshrrev_b32_e32 v9, 16, v9
	s_delay_alu instid0(VALU_DEP_1)
	v_cndmask_b32_e32 v13, 0x7fc0, v9, vcc_lo
.LBB175_2238:
	s_mov_b32 s2, 0
.LBB175_2239:
	s_delay_alu instid0(SALU_CYCLE_1)
	s_and_not1_b32 vcc_lo, exec_lo, s2
	s_cbranch_vccnz .LBB175_2241
; %bb.2240:
	global_load_u16 v6, v[11:12], off
	s_waitcnt vmcnt(0)
	v_cvt_f32_f16_e32 v9, v6
	v_cmp_o_f16_e32 vcc_lo, v6, v6
	s_delay_alu instid0(VALU_DEP_2) | instskip(NEXT) | instid1(VALU_DEP_1)
	v_bfe_u32 v13, v9, 16, 1
	v_add3_u32 v9, v9, v13, 0x7fff
	s_delay_alu instid0(VALU_DEP_1) | instskip(NEXT) | instid1(VALU_DEP_1)
	v_lshrrev_b32_e32 v9, 16, v9
	v_cndmask_b32_e32 v13, 0x7fc0, v9, vcc_lo
.LBB175_2241:
	s_mov_b32 s2, 0
.LBB175_2242:
	s_delay_alu instid0(SALU_CYCLE_1)
	s_and_not1_b32 vcc_lo, exec_lo, s2
	s_cbranch_vccnz .LBB175_2262
; %bb.2243:
	v_cmp_gt_i16_e32 vcc_lo, 2, v15
	s_cbranch_vccnz .LBB175_2247
; %bb.2244:
	v_cmp_gt_i16_e32 vcc_lo, 3, v15
	s_cbranch_vccnz .LBB175_2248
; %bb.2245:
	v_cmp_lt_i16_e32 vcc_lo, 3, v15
	s_cbranch_vccz .LBB175_2249
; %bb.2246:
	global_load_b64 v[18:19], v[11:12], off
	s_mov_b32 s2, 0
	s_waitcnt vmcnt(0)
	v_xor_b32_e32 v6, v18, v19
	v_cls_i32_e32 v9, v19
	s_delay_alu instid0(VALU_DEP_2) | instskip(NEXT) | instid1(VALU_DEP_2)
	v_ashrrev_i32_e32 v6, 31, v6
	v_add_nc_u32_e32 v9, -1, v9
	s_delay_alu instid0(VALU_DEP_2) | instskip(NEXT) | instid1(VALU_DEP_1)
	v_add_nc_u32_e32 v6, 32, v6
	v_min_u32_e32 v6, v9, v6
	s_delay_alu instid0(VALU_DEP_1) | instskip(SKIP_1) | instid1(VALU_DEP_2)
	v_lshlrev_b64 v[18:19], v6, v[18:19]
	v_sub_nc_u32_e32 v6, 32, v6
	v_min_u32_e32 v9, 1, v18
	s_delay_alu instid0(VALU_DEP_1) | instskip(NEXT) | instid1(VALU_DEP_1)
	v_or_b32_e32 v9, v19, v9
	v_cvt_f32_i32_e32 v9, v9
	s_delay_alu instid0(VALU_DEP_1) | instskip(NEXT) | instid1(VALU_DEP_1)
	v_ldexp_f32 v6, v9, v6
	v_bfe_u32 v9, v6, 16, 1
	s_delay_alu instid0(VALU_DEP_1) | instskip(NEXT) | instid1(VALU_DEP_1)
	v_add3_u32 v6, v6, v9, 0x7fff
	v_lshrrev_b32_e32 v13, 16, v6
	s_branch .LBB175_2250
.LBB175_2247:
	s_mov_b32 s2, -1
                                        ; implicit-def: $vgpr13
	s_branch .LBB175_2256
.LBB175_2248:
	s_mov_b32 s2, -1
                                        ; implicit-def: $vgpr13
	s_branch .LBB175_2253
.LBB175_2249:
	s_mov_b32 s2, -1
                                        ; implicit-def: $vgpr13
.LBB175_2250:
	s_delay_alu instid0(SALU_CYCLE_1)
	s_and_not1_b32 vcc_lo, exec_lo, s2
	s_cbranch_vccnz .LBB175_2252
; %bb.2251:
	global_load_b32 v6, v[11:12], off
	s_waitcnt vmcnt(0)
	v_cvt_f32_i32_e32 v6, v6
	s_delay_alu instid0(VALU_DEP_1) | instskip(NEXT) | instid1(VALU_DEP_1)
	v_bfe_u32 v9, v6, 16, 1
	v_add3_u32 v6, v6, v9, 0x7fff
	s_delay_alu instid0(VALU_DEP_1)
	v_lshrrev_b32_e32 v13, 16, v6
.LBB175_2252:
	s_mov_b32 s2, 0
.LBB175_2253:
	s_delay_alu instid0(SALU_CYCLE_1)
	s_and_not1_b32 vcc_lo, exec_lo, s2
	s_cbranch_vccnz .LBB175_2255
; %bb.2254:
	global_load_i16 v6, v[11:12], off
	s_waitcnt vmcnt(0)
	v_cvt_f32_i32_e32 v6, v6
	s_delay_alu instid0(VALU_DEP_1) | instskip(NEXT) | instid1(VALU_DEP_1)
	v_bfe_u32 v9, v6, 16, 1
	v_add3_u32 v6, v6, v9, 0x7fff
	s_delay_alu instid0(VALU_DEP_1)
	v_lshrrev_b32_e32 v13, 16, v6
.LBB175_2255:
	s_mov_b32 s2, 0
.LBB175_2256:
	s_delay_alu instid0(SALU_CYCLE_1)
	s_and_not1_b32 vcc_lo, exec_lo, s2
	s_cbranch_vccnz .LBB175_2262
; %bb.2257:
	v_cmp_lt_i16_e32 vcc_lo, 0, v15
	s_mov_b32 s2, 0
	s_cbranch_vccz .LBB175_2259
; %bb.2258:
	global_load_i8 v6, v[11:12], off
	s_waitcnt vmcnt(0)
	v_cvt_f32_i32_e32 v6, v6
	s_delay_alu instid0(VALU_DEP_1) | instskip(NEXT) | instid1(VALU_DEP_1)
	v_bfe_u32 v9, v6, 16, 1
	v_add3_u32 v6, v6, v9, 0x7fff
	s_delay_alu instid0(VALU_DEP_1)
	v_lshrrev_b32_e32 v13, 16, v6
	s_branch .LBB175_2260
.LBB175_2259:
	s_mov_b32 s2, -1
                                        ; implicit-def: $vgpr13
.LBB175_2260:
	s_delay_alu instid0(SALU_CYCLE_1)
	s_and_not1_b32 vcc_lo, exec_lo, s2
	s_cbranch_vccnz .LBB175_2262
; %bb.2261:
	global_load_u8 v6, v[11:12], off
	s_waitcnt vmcnt(0)
	v_cvt_f32_ubyte0_e32 v6, v6
	s_delay_alu instid0(VALU_DEP_1) | instskip(NEXT) | instid1(VALU_DEP_1)
	v_bfe_u32 v9, v6, 16, 1
	v_add3_u32 v6, v6, v9, 0x7fff
	s_delay_alu instid0(VALU_DEP_1)
	v_lshrrev_b32_e32 v13, 16, v6
.LBB175_2262:
	s_mov_b32 s11, -1
.LBB175_2263:
	s_delay_alu instid0(SALU_CYCLE_1)
	s_and_not1_b32 vcc_lo, exec_lo, s11
	s_cbranch_vccnz .LBB175_3049
; %bb.2264:
	v_cmp_gt_i16_e32 vcc_lo, 11, v16
	v_add_co_u32 v11, s2, s0, v10
	s_delay_alu instid0(VALU_DEP_1)
	v_add_co_ci_u32_e64 v12, null, s1, 0, s2
	s_mov_b32 s11, 0
	s_cbranch_vccnz .LBB175_2271
; %bb.2265:
	v_cmp_lt_i16_e32 vcc_lo, 25, v16
	s_mov_b32 s3, 0
	s_cbranch_vccz .LBB175_2272
; %bb.2266:
	v_cmp_lt_i16_e32 vcc_lo, 28, v16
	s_cbranch_vccz .LBB175_2273
; %bb.2267:
	v_cmp_lt_i16_e32 vcc_lo, 43, v16
	;; [unrolled: 3-line block ×3, first 2 shown]
	s_cbranch_vccz .LBB175_2277
; %bb.2269:
	v_cmp_eq_u16_e32 vcc_lo, 46, v16
	s_mov_b32 s12, 0
	s_cbranch_vccz .LBB175_2282
; %bb.2270:
	global_load_b32 v6, v[11:12], off
	s_mov_b32 s2, 0
	s_mov_b32 s11, -1
	s_waitcnt vmcnt(0)
	v_lshlrev_b32_e32 v6, 16, v6
	s_delay_alu instid0(VALU_DEP_1) | instskip(NEXT) | instid1(VALU_DEP_1)
	v_trunc_f32_e32 v6, v6
	v_mul_f32_e64 v9, 0x2f800000, |v6|
	s_delay_alu instid0(VALU_DEP_1) | instskip(NEXT) | instid1(VALU_DEP_1)
	v_floor_f32_e32 v9, v9
	v_fma_f32 v9, 0xcf800000, v9, |v6|
	v_ashrrev_i32_e32 v6, 31, v6
	s_delay_alu instid0(VALU_DEP_2) | instskip(NEXT) | instid1(VALU_DEP_1)
	v_cvt_u32_f32_e32 v9, v9
	v_xor_b32_e32 v9, v9, v6
	s_delay_alu instid0(VALU_DEP_1)
	v_sub_nc_u32_e32 v9, v9, v6
	s_branch .LBB175_2284
.LBB175_2271:
	s_mov_b32 s2, -1
                                        ; implicit-def: $vgpr9
	s_branch .LBB175_2346
.LBB175_2272:
	s_mov_b32 s12, -1
	s_mov_b32 s2, 0
                                        ; implicit-def: $vgpr9
	s_branch .LBB175_2311
.LBB175_2273:
	s_mov_b32 s12, -1
	s_mov_b32 s2, 0
                                        ; implicit-def: $vgpr9
	s_branch .LBB175_2294
.LBB175_2274:
	s_mov_b32 s12, -1
	s_mov_b32 s2, 0
                                        ; implicit-def: $vgpr9
	s_branch .LBB175_2289
.LBB175_2275:
	s_cbranch_execnz .LBB175_2278
; %bb.2276:
	s_or_b32 s10, s10, exec_lo
                                        ; implicit-def: $vgpr13
	s_cbranch_execz .LBB175_2212
	s_branch .LBB175_2213
.LBB175_2277:
	s_mov_b32 s12, -1
	s_mov_b32 s2, 0
	s_branch .LBB175_2283
.LBB175_2278:
	s_trap 2
	s_sendmsg_rtn_b32 s0, sendmsg(MSG_RTN_GET_DOORBELL)
	s_mov_b32 ttmp2, m0
	s_waitcnt lgkmcnt(0)
	s_and_b32 s0, s0, 0x3ff
	s_delay_alu instid0(SALU_CYCLE_1) | instskip(NEXT) | instid1(SALU_CYCLE_1)
	s_bitset1_b32 s0, 10
	s_mov_b32 m0, s0
	s_sendmsg sendmsg(MSG_INTERRUPT)
	s_mov_b32 m0, ttmp2
.LBB175_2279:                           ; =>This Inner Loop Header: Depth=1
	s_sethalt 5
	s_branch .LBB175_2279
.LBB175_2280:
	s_or_saveexec_b32 s50, s50
                                        ; implicit-def: $sgpr51
	s_delay_alu instid0(SALU_CYCLE_1)
	s_xor_b32 exec_lo, exec_lo, s50
	s_cbranch_execz .LBB175_1161
.LBB175_2281:
	v_add_f32_e64 v5, 0x42800000, |v6|
	s_and_not1_b32 s49, s49, exec_lo
	s_mov_b32 s51, 0
	s_delay_alu instid0(VALU_DEP_1) | instskip(NEXT) | instid1(VALU_DEP_1)
	v_and_b32_e32 v5, 0xff, v5
	v_cmp_ne_u32_e32 vcc_lo, 0, v5
	s_and_b32 s52, vcc_lo, exec_lo
	s_delay_alu instid0(SALU_CYCLE_1)
	s_or_b32 s49, s49, s52
	s_or_b32 exec_lo, exec_lo, s50
	v_mov_b32_e32 v8, s51
	s_and_saveexec_b32 s50, s49
	s_cbranch_execnz .LBB175_1162
	s_branch .LBB175_1163
.LBB175_2282:
	s_mov_b32 s2, -1
.LBB175_2283:
                                        ; implicit-def: $vgpr9
.LBB175_2284:
	s_and_b32 vcc_lo, exec_lo, s12
	s_cbranch_vccz .LBB175_2288
; %bb.2285:
	v_cmp_eq_u16_e32 vcc_lo, 44, v16
	s_cbranch_vccz .LBB175_2287
; %bb.2286:
	global_load_u8 v6, v[11:12], off
	s_mov_b32 s2, 0
	s_mov_b32 s11, -1
	s_waitcnt vmcnt(0)
	v_lshlrev_b32_e32 v9, 23, v6
	v_cmp_ne_u32_e32 vcc_lo, 0, v6
	s_delay_alu instid0(VALU_DEP_2) | instskip(NEXT) | instid1(VALU_DEP_1)
	v_trunc_f32_e32 v9, v9
	v_mul_f32_e64 v10, 0x2f800000, |v9|
	s_delay_alu instid0(VALU_DEP_1) | instskip(NEXT) | instid1(VALU_DEP_1)
	v_floor_f32_e32 v10, v10
	v_fma_f32 v10, 0xcf800000, v10, |v9|
	v_ashrrev_i32_e32 v9, 31, v9
	s_delay_alu instid0(VALU_DEP_2) | instskip(NEXT) | instid1(VALU_DEP_1)
	v_cvt_u32_f32_e32 v10, v10
	v_xor_b32_e32 v10, v10, v9
	s_delay_alu instid0(VALU_DEP_1) | instskip(NEXT) | instid1(VALU_DEP_1)
	v_sub_nc_u32_e32 v9, v10, v9
	v_cndmask_b32_e32 v9, 0, v9, vcc_lo
	s_branch .LBB175_2288
.LBB175_2287:
	s_mov_b32 s2, -1
                                        ; implicit-def: $vgpr9
.LBB175_2288:
	s_mov_b32 s12, 0
.LBB175_2289:
	s_delay_alu instid0(SALU_CYCLE_1)
	s_and_b32 vcc_lo, exec_lo, s12
	s_cbranch_vccz .LBB175_2293
; %bb.2290:
	v_cmp_eq_u16_e32 vcc_lo, 29, v16
	s_cbranch_vccz .LBB175_2292
; %bb.2291:
	global_load_b64 v[9:10], v[11:12], off
	s_mov_b32 s2, 0
	s_mov_b32 s11, -1
	s_branch .LBB175_2293
.LBB175_2292:
	s_mov_b32 s2, -1
                                        ; implicit-def: $vgpr9
.LBB175_2293:
	s_mov_b32 s12, 0
.LBB175_2294:
	s_delay_alu instid0(SALU_CYCLE_1)
	s_and_b32 vcc_lo, exec_lo, s12
	s_cbranch_vccz .LBB175_2310
; %bb.2295:
	v_cmp_gt_i16_e32 vcc_lo, 27, v16
	s_cbranch_vccnz .LBB175_2298
; %bb.2296:
	v_cmp_lt_i16_e32 vcc_lo, 27, v16
	s_cbranch_vccz .LBB175_2299
; %bb.2297:
	global_load_b32 v9, v[11:12], off
	s_mov_b32 s11, 0
	s_branch .LBB175_2300
.LBB175_2298:
	s_mov_b32 s11, -1
                                        ; implicit-def: $vgpr9
	s_branch .LBB175_2303
.LBB175_2299:
	s_mov_b32 s11, -1
                                        ; implicit-def: $vgpr9
.LBB175_2300:
	s_delay_alu instid0(SALU_CYCLE_1)
	s_and_not1_b32 vcc_lo, exec_lo, s11
	s_cbranch_vccnz .LBB175_2302
; %bb.2301:
	global_load_u16 v9, v[11:12], off
.LBB175_2302:
	s_mov_b32 s11, 0
.LBB175_2303:
	s_delay_alu instid0(SALU_CYCLE_1)
	s_and_not1_b32 vcc_lo, exec_lo, s11
	s_cbranch_vccnz .LBB175_2309
; %bb.2304:
	global_load_u8 v6, v[11:12], off
	s_mov_b32 s12, 0
	s_mov_b32 s11, exec_lo
                                        ; implicit-def: $sgpr13
	s_waitcnt vmcnt(0)
	v_cmpx_lt_i16_e32 0x7f, v6
	s_xor_b32 s11, exec_lo, s11
	s_cbranch_execz .LBB175_2321
; %bb.2305:
	v_cmp_ne_u16_e32 vcc_lo, 0x80, v6
	s_mov_b32 s13, 0
	s_and_b32 s12, vcc_lo, exec_lo
	s_or_saveexec_b32 s11, s11
	v_mov_b32_e32 v9, s13
	s_xor_b32 exec_lo, exec_lo, s11
	s_cbranch_execnz .LBB175_2322
.LBB175_2306:
	s_or_b32 exec_lo, exec_lo, s11
	s_and_saveexec_b32 s11, s12
	s_cbranch_execz .LBB175_2308
.LBB175_2307:
	v_and_b32_e32 v9, 0xffff, v6
	v_lshlrev_b32_e32 v6, 24, v6
	s_delay_alu instid0(VALU_DEP_2) | instskip(NEXT) | instid1(VALU_DEP_2)
	v_and_b32_e32 v10, 7, v9
	v_and_b32_e32 v6, 0x80000000, v6
	s_delay_alu instid0(VALU_DEP_2) | instskip(NEXT) | instid1(VALU_DEP_1)
	v_clz_i32_u32_e32 v18, v10
	v_min_u32_e32 v18, 32, v18
	s_delay_alu instid0(VALU_DEP_1) | instskip(SKIP_1) | instid1(VALU_DEP_2)
	v_subrev_nc_u32_e32 v19, 28, v18
	v_sub_nc_u32_e32 v18, 29, v18
	v_lshlrev_b32_e32 v19, v19, v9
	v_bfe_u32 v9, v9, 3, 4
	s_delay_alu instid0(VALU_DEP_2) | instskip(NEXT) | instid1(VALU_DEP_2)
	v_and_b32_e32 v19, 7, v19
	v_cmp_eq_u32_e32 vcc_lo, 0, v9
	s_delay_alu instid0(VALU_DEP_2) | instskip(NEXT) | instid1(VALU_DEP_1)
	v_dual_cndmask_b32 v9, v9, v18 :: v_dual_cndmask_b32 v10, v10, v19
	v_lshl_add_u32 v9, v9, 23, 0x3b800000
	s_delay_alu instid0(VALU_DEP_2) | instskip(NEXT) | instid1(VALU_DEP_1)
	v_lshlrev_b32_e32 v10, 20, v10
	v_or3_b32 v6, v6, v9, v10
	s_delay_alu instid0(VALU_DEP_1) | instskip(NEXT) | instid1(VALU_DEP_1)
	v_trunc_f32_e32 v6, v6
	v_mul_f32_e64 v9, 0x2f800000, |v6|
	s_delay_alu instid0(VALU_DEP_1) | instskip(NEXT) | instid1(VALU_DEP_1)
	v_floor_f32_e32 v9, v9
	v_fma_f32 v9, 0xcf800000, v9, |v6|
	v_ashrrev_i32_e32 v6, 31, v6
	s_delay_alu instid0(VALU_DEP_2) | instskip(NEXT) | instid1(VALU_DEP_1)
	v_cvt_u32_f32_e32 v9, v9
	v_xor_b32_e32 v9, v9, v6
	s_delay_alu instid0(VALU_DEP_1)
	v_sub_nc_u32_e32 v9, v9, v6
.LBB175_2308:
	s_or_b32 exec_lo, exec_lo, s11
.LBB175_2309:
	s_mov_b32 s11, -1
.LBB175_2310:
	s_mov_b32 s12, 0
.LBB175_2311:
	s_delay_alu instid0(SALU_CYCLE_1)
	s_and_b32 vcc_lo, exec_lo, s12
	s_cbranch_vccz .LBB175_2342
; %bb.2312:
	v_cmp_lt_i16_e32 vcc_lo, 22, v16
	s_cbranch_vccz .LBB175_2320
; %bb.2313:
	v_cmp_gt_i16_e32 vcc_lo, 24, v16
	s_cbranch_vccnz .LBB175_2323
; %bb.2314:
	v_cmp_lt_i16_e32 vcc_lo, 24, v16
	s_cbranch_vccz .LBB175_2324
; %bb.2315:
	global_load_u8 v6, v[11:12], off
	s_mov_b32 s11, 0
	s_mov_b32 s3, exec_lo
                                        ; implicit-def: $sgpr12
	s_waitcnt vmcnt(0)
	v_cmpx_lt_i16_e32 0x7f, v6
	s_xor_b32 s3, exec_lo, s3
	s_cbranch_execz .LBB175_2336
; %bb.2316:
	v_cmp_ne_u16_e32 vcc_lo, 0x80, v6
	s_mov_b32 s12, 0
	s_and_b32 s11, vcc_lo, exec_lo
	s_or_saveexec_b32 s3, s3
	v_mov_b32_e32 v9, s12
	s_xor_b32 exec_lo, exec_lo, s3
	s_cbranch_execnz .LBB175_2337
.LBB175_2317:
	s_or_b32 exec_lo, exec_lo, s3
	s_and_saveexec_b32 s3, s11
	s_cbranch_execz .LBB175_2319
.LBB175_2318:
	v_and_b32_e32 v9, 0xffff, v6
	v_lshlrev_b32_e32 v6, 24, v6
	s_delay_alu instid0(VALU_DEP_2) | instskip(NEXT) | instid1(VALU_DEP_2)
	v_and_b32_e32 v10, 3, v9
	v_and_b32_e32 v6, 0x80000000, v6
	s_delay_alu instid0(VALU_DEP_2) | instskip(NEXT) | instid1(VALU_DEP_1)
	v_clz_i32_u32_e32 v18, v10
	v_min_u32_e32 v18, 32, v18
	s_delay_alu instid0(VALU_DEP_1) | instskip(SKIP_1) | instid1(VALU_DEP_2)
	v_subrev_nc_u32_e32 v19, 29, v18
	v_sub_nc_u32_e32 v18, 30, v18
	v_lshlrev_b32_e32 v19, v19, v9
	v_bfe_u32 v9, v9, 2, 5
	s_delay_alu instid0(VALU_DEP_2) | instskip(NEXT) | instid1(VALU_DEP_2)
	v_and_b32_e32 v19, 3, v19
	v_cmp_eq_u32_e32 vcc_lo, 0, v9
	s_delay_alu instid0(VALU_DEP_2) | instskip(NEXT) | instid1(VALU_DEP_1)
	v_dual_cndmask_b32 v9, v9, v18 :: v_dual_cndmask_b32 v10, v10, v19
	v_lshl_add_u32 v9, v9, 23, 0x37800000
	s_delay_alu instid0(VALU_DEP_2) | instskip(NEXT) | instid1(VALU_DEP_1)
	v_lshlrev_b32_e32 v10, 21, v10
	v_or3_b32 v6, v6, v9, v10
	s_delay_alu instid0(VALU_DEP_1) | instskip(NEXT) | instid1(VALU_DEP_1)
	v_trunc_f32_e32 v6, v6
	v_mul_f32_e64 v9, 0x2f800000, |v6|
	s_delay_alu instid0(VALU_DEP_1) | instskip(NEXT) | instid1(VALU_DEP_1)
	v_floor_f32_e32 v9, v9
	v_fma_f32 v9, 0xcf800000, v9, |v6|
	v_ashrrev_i32_e32 v6, 31, v6
	s_delay_alu instid0(VALU_DEP_2) | instskip(NEXT) | instid1(VALU_DEP_1)
	v_cvt_u32_f32_e32 v9, v9
	v_xor_b32_e32 v9, v9, v6
	s_delay_alu instid0(VALU_DEP_1)
	v_sub_nc_u32_e32 v9, v9, v6
.LBB175_2319:
	s_or_b32 exec_lo, exec_lo, s3
	s_mov_b32 s3, 0
	s_branch .LBB175_2325
.LBB175_2320:
	s_mov_b32 s3, -1
                                        ; implicit-def: $vgpr9
	s_branch .LBB175_2331
.LBB175_2321:
	s_or_saveexec_b32 s11, s11
	v_mov_b32_e32 v9, s13
	s_xor_b32 exec_lo, exec_lo, s11
	s_cbranch_execz .LBB175_2306
.LBB175_2322:
	v_cmp_ne_u16_e32 vcc_lo, 0, v6
	v_mov_b32_e32 v9, 0
	s_and_not1_b32 s12, s12, exec_lo
	s_and_b32 s13, vcc_lo, exec_lo
	s_delay_alu instid0(SALU_CYCLE_1)
	s_or_b32 s12, s12, s13
	s_or_b32 exec_lo, exec_lo, s11
	s_and_saveexec_b32 s11, s12
	s_cbranch_execnz .LBB175_2307
	s_branch .LBB175_2308
.LBB175_2323:
	s_mov_b32 s3, -1
                                        ; implicit-def: $vgpr9
	s_branch .LBB175_2328
.LBB175_2324:
	s_mov_b32 s3, -1
                                        ; implicit-def: $vgpr9
.LBB175_2325:
	s_delay_alu instid0(SALU_CYCLE_1)
	s_and_b32 vcc_lo, exec_lo, s3
	s_cbranch_vccz .LBB175_2327
; %bb.2326:
	global_load_u8 v6, v[11:12], off
	s_waitcnt vmcnt(0)
	v_lshlrev_b32_e32 v6, 24, v6
	s_delay_alu instid0(VALU_DEP_1) | instskip(NEXT) | instid1(VALU_DEP_1)
	v_and_b32_e32 v9, 0x7f000000, v6
	v_clz_i32_u32_e32 v10, v9
	v_cmp_ne_u32_e32 vcc_lo, 0, v9
	v_add_nc_u32_e32 v19, 0x1000000, v9
	s_delay_alu instid0(VALU_DEP_3) | instskip(NEXT) | instid1(VALU_DEP_1)
	v_min_u32_e32 v10, 32, v10
	v_sub_nc_u32_e64 v10, v10, 4 clamp
	s_delay_alu instid0(VALU_DEP_1) | instskip(SKIP_1) | instid1(VALU_DEP_2)
	v_lshlrev_b32_e32 v18, v10, v9
	v_lshlrev_b32_e32 v10, 23, v10
	v_lshrrev_b32_e32 v18, 4, v18
	s_delay_alu instid0(VALU_DEP_1) | instskip(SKIP_1) | instid1(VALU_DEP_2)
	v_sub_nc_u32_e32 v10, v18, v10
	v_ashrrev_i32_e32 v18, 8, v19
	v_add_nc_u32_e32 v10, 0x3c000000, v10
	s_delay_alu instid0(VALU_DEP_1) | instskip(NEXT) | instid1(VALU_DEP_1)
	v_and_or_b32 v10, 0x7f800000, v18, v10
	v_cndmask_b32_e32 v9, 0, v10, vcc_lo
	s_delay_alu instid0(VALU_DEP_1) | instskip(NEXT) | instid1(VALU_DEP_1)
	v_and_or_b32 v6, 0x80000000, v6, v9
	v_trunc_f32_e32 v6, v6
	s_delay_alu instid0(VALU_DEP_1) | instskip(NEXT) | instid1(VALU_DEP_1)
	v_mul_f32_e64 v9, 0x2f800000, |v6|
	v_floor_f32_e32 v9, v9
	s_delay_alu instid0(VALU_DEP_1) | instskip(SKIP_1) | instid1(VALU_DEP_2)
	v_fma_f32 v9, 0xcf800000, v9, |v6|
	v_ashrrev_i32_e32 v6, 31, v6
	v_cvt_u32_f32_e32 v9, v9
	s_delay_alu instid0(VALU_DEP_1) | instskip(NEXT) | instid1(VALU_DEP_1)
	v_xor_b32_e32 v9, v9, v6
	v_sub_nc_u32_e32 v9, v9, v6
.LBB175_2327:
	s_mov_b32 s3, 0
.LBB175_2328:
	s_delay_alu instid0(SALU_CYCLE_1)
	s_and_not1_b32 vcc_lo, exec_lo, s3
	s_cbranch_vccnz .LBB175_2330
; %bb.2329:
	global_load_u8 v6, v[11:12], off
	s_waitcnt vmcnt(0)
	v_lshlrev_b32_e32 v9, 25, v6
	v_lshlrev_b16 v6, 8, v6
	s_delay_alu instid0(VALU_DEP_2) | instskip(NEXT) | instid1(VALU_DEP_2)
	v_lshrrev_b32_e32 v10, 4, v9
	v_and_or_b32 v18, 0x7f00, v6, 0.5
	v_cmp_gt_u32_e32 vcc_lo, 0x8000000, v9
	v_bfe_i32 v6, v6, 0, 16
	s_delay_alu instid0(VALU_DEP_4) | instskip(NEXT) | instid1(VALU_DEP_4)
	v_or_b32_e32 v10, 0x70000000, v10
	v_add_f32_e32 v18, -0.5, v18
	s_delay_alu instid0(VALU_DEP_2) | instskip(NEXT) | instid1(VALU_DEP_1)
	v_mul_f32_e32 v10, 0x7800000, v10
	v_cndmask_b32_e32 v9, v10, v18, vcc_lo
	s_delay_alu instid0(VALU_DEP_1) | instskip(NEXT) | instid1(VALU_DEP_1)
	v_and_or_b32 v6, 0x80000000, v6, v9
	v_trunc_f32_e32 v6, v6
	s_delay_alu instid0(VALU_DEP_1) | instskip(NEXT) | instid1(VALU_DEP_1)
	v_mul_f32_e64 v9, 0x2f800000, |v6|
	v_floor_f32_e32 v9, v9
	s_delay_alu instid0(VALU_DEP_1) | instskip(SKIP_1) | instid1(VALU_DEP_2)
	v_fma_f32 v9, 0xcf800000, v9, |v6|
	v_ashrrev_i32_e32 v6, 31, v6
	v_cvt_u32_f32_e32 v9, v9
	s_delay_alu instid0(VALU_DEP_1) | instskip(NEXT) | instid1(VALU_DEP_1)
	v_xor_b32_e32 v9, v9, v6
	v_sub_nc_u32_e32 v9, v9, v6
.LBB175_2330:
	s_mov_b32 s3, 0
	s_mov_b32 s11, -1
.LBB175_2331:
	s_and_not1_b32 vcc_lo, exec_lo, s3
	s_mov_b32 s3, 0
	s_cbranch_vccnz .LBB175_2342
; %bb.2332:
	v_cmp_lt_i16_e32 vcc_lo, 14, v16
	s_cbranch_vccz .LBB175_2335
; %bb.2333:
	v_cmp_eq_u16_e32 vcc_lo, 15, v16
	s_cbranch_vccz .LBB175_2338
; %bb.2334:
	global_load_u16 v6, v[11:12], off
	s_mov_b32 s2, 0
	s_mov_b32 s11, -1
	s_waitcnt vmcnt(0)
	v_lshlrev_b32_e32 v6, 16, v6
	s_delay_alu instid0(VALU_DEP_1) | instskip(NEXT) | instid1(VALU_DEP_1)
	v_trunc_f32_e32 v6, v6
	v_mul_f32_e64 v9, 0x2f800000, |v6|
	s_delay_alu instid0(VALU_DEP_1) | instskip(NEXT) | instid1(VALU_DEP_1)
	v_floor_f32_e32 v9, v9
	v_fma_f32 v9, 0xcf800000, v9, |v6|
	v_ashrrev_i32_e32 v6, 31, v6
	s_delay_alu instid0(VALU_DEP_2) | instskip(NEXT) | instid1(VALU_DEP_1)
	v_cvt_u32_f32_e32 v9, v9
	v_xor_b32_e32 v9, v9, v6
	s_delay_alu instid0(VALU_DEP_1)
	v_sub_nc_u32_e32 v9, v9, v6
	s_branch .LBB175_2340
.LBB175_2335:
	s_mov_b32 s3, -1
	s_branch .LBB175_2339
.LBB175_2336:
	s_or_saveexec_b32 s3, s3
	v_mov_b32_e32 v9, s12
	s_xor_b32 exec_lo, exec_lo, s3
	s_cbranch_execz .LBB175_2317
.LBB175_2337:
	v_cmp_ne_u16_e32 vcc_lo, 0, v6
	v_mov_b32_e32 v9, 0
	s_and_not1_b32 s11, s11, exec_lo
	s_and_b32 s12, vcc_lo, exec_lo
	s_delay_alu instid0(SALU_CYCLE_1)
	s_or_b32 s11, s11, s12
	s_or_b32 exec_lo, exec_lo, s3
	s_and_saveexec_b32 s3, s11
	s_cbranch_execnz .LBB175_2318
	s_branch .LBB175_2319
.LBB175_2338:
	s_mov_b32 s2, -1
.LBB175_2339:
                                        ; implicit-def: $vgpr9
.LBB175_2340:
	s_and_b32 vcc_lo, exec_lo, s3
	s_mov_b32 s3, 0
	s_cbranch_vccz .LBB175_2342
; %bb.2341:
	v_cmp_ne_u16_e64 s2, 11, v16
	s_mov_b32 s3, -1
                                        ; implicit-def: $vgpr9
.LBB175_2342:
	s_delay_alu instid0(VALU_DEP_1)
	s_and_b32 vcc_lo, exec_lo, s2
	s_cbranch_vccnz .LBB175_2407
; %bb.2343:
	s_and_not1_b32 vcc_lo, exec_lo, s3
	s_cbranch_vccnz .LBB175_2345
.LBB175_2344:
	global_load_u8 v6, v[11:12], off
	s_mov_b32 s11, -1
	s_waitcnt vmcnt(0)
	v_cmp_ne_u16_e32 vcc_lo, 0, v6
	v_cndmask_b32_e64 v9, 0, 1, vcc_lo
.LBB175_2345:
	s_mov_b32 s2, 0
.LBB175_2346:
	s_delay_alu instid0(SALU_CYCLE_1)
	s_and_b32 vcc_lo, exec_lo, s2
	s_cbranch_vccz .LBB175_2395
; %bb.2347:
	v_cmp_gt_i16_e32 vcc_lo, 5, v16
	s_cbranch_vccnz .LBB175_2352
; %bb.2348:
	v_cmp_gt_i16_e32 vcc_lo, 8, v16
	s_cbranch_vccnz .LBB175_2353
	;; [unrolled: 3-line block ×3, first 2 shown]
; %bb.2350:
	v_cmp_lt_i16_e32 vcc_lo, 9, v16
	s_cbranch_vccz .LBB175_2355
; %bb.2351:
	global_load_b64 v[9:10], v[11:12], off
	s_mov_b32 s2, 0
	s_waitcnt vmcnt(0)
	v_trunc_f64_e32 v[9:10], v[9:10]
	s_delay_alu instid0(VALU_DEP_1) | instskip(NEXT) | instid1(VALU_DEP_1)
	v_ldexp_f64 v[18:19], v[9:10], 0xffffffe0
	v_floor_f64_e32 v[18:19], v[18:19]
	s_delay_alu instid0(VALU_DEP_1) | instskip(NEXT) | instid1(VALU_DEP_1)
	v_fma_f64 v[9:10], 0xc1f00000, v[18:19], v[9:10]
	v_cvt_u32_f64_e32 v9, v[9:10]
	s_branch .LBB175_2356
.LBB175_2352:
	s_mov_b32 s2, -1
                                        ; implicit-def: $vgpr9
	s_branch .LBB175_2374
.LBB175_2353:
	s_mov_b32 s2, -1
                                        ; implicit-def: $vgpr9
	s_branch .LBB175_2362
.LBB175_2354:
	s_mov_b32 s2, -1
                                        ; implicit-def: $vgpr9
	s_branch .LBB175_2359
.LBB175_2355:
	s_mov_b32 s2, -1
                                        ; implicit-def: $vgpr9
.LBB175_2356:
	s_delay_alu instid0(SALU_CYCLE_1)
	s_and_not1_b32 vcc_lo, exec_lo, s2
	s_cbranch_vccnz .LBB175_2358
; %bb.2357:
	global_load_b32 v6, v[11:12], off
	s_waitcnt vmcnt(0)
	v_trunc_f32_e32 v6, v6
	s_delay_alu instid0(VALU_DEP_1) | instskip(NEXT) | instid1(VALU_DEP_1)
	v_mul_f32_e64 v9, 0x2f800000, |v6|
	v_floor_f32_e32 v9, v9
	s_delay_alu instid0(VALU_DEP_1) | instskip(SKIP_1) | instid1(VALU_DEP_2)
	v_fma_f32 v9, 0xcf800000, v9, |v6|
	v_ashrrev_i32_e32 v6, 31, v6
	v_cvt_u32_f32_e32 v9, v9
	s_delay_alu instid0(VALU_DEP_1) | instskip(NEXT) | instid1(VALU_DEP_1)
	v_xor_b32_e32 v9, v9, v6
	v_sub_nc_u32_e32 v9, v9, v6
.LBB175_2358:
	s_mov_b32 s2, 0
.LBB175_2359:
	s_delay_alu instid0(SALU_CYCLE_1)
	s_and_not1_b32 vcc_lo, exec_lo, s2
	s_cbranch_vccnz .LBB175_2361
; %bb.2360:
	global_load_b32 v6, v[11:12], off
	s_waitcnt vmcnt(0)
	v_cvt_f32_f16_e32 v6, v6
	s_delay_alu instid0(VALU_DEP_1)
	v_cvt_i32_f32_e32 v9, v6
.LBB175_2361:
	s_mov_b32 s2, 0
.LBB175_2362:
	s_delay_alu instid0(SALU_CYCLE_1)
	s_and_not1_b32 vcc_lo, exec_lo, s2
	s_cbranch_vccnz .LBB175_2373
; %bb.2363:
	v_cmp_gt_i16_e32 vcc_lo, 6, v16
	s_cbranch_vccnz .LBB175_2366
; %bb.2364:
	v_cmp_lt_i16_e32 vcc_lo, 6, v16
	s_cbranch_vccz .LBB175_2367
; %bb.2365:
	global_load_b64 v[9:10], v[11:12], off
	s_mov_b32 s2, 0
	s_waitcnt vmcnt(0)
	v_trunc_f64_e32 v[9:10], v[9:10]
	s_delay_alu instid0(VALU_DEP_1) | instskip(NEXT) | instid1(VALU_DEP_1)
	v_ldexp_f64 v[18:19], v[9:10], 0xffffffe0
	v_floor_f64_e32 v[18:19], v[18:19]
	s_delay_alu instid0(VALU_DEP_1) | instskip(NEXT) | instid1(VALU_DEP_1)
	v_fma_f64 v[9:10], 0xc1f00000, v[18:19], v[9:10]
	v_cvt_u32_f64_e32 v9, v[9:10]
	s_branch .LBB175_2368
.LBB175_2366:
	s_mov_b32 s2, -1
                                        ; implicit-def: $vgpr9
	s_branch .LBB175_2371
.LBB175_2367:
	s_mov_b32 s2, -1
                                        ; implicit-def: $vgpr9
.LBB175_2368:
	s_delay_alu instid0(SALU_CYCLE_1)
	s_and_not1_b32 vcc_lo, exec_lo, s2
	s_cbranch_vccnz .LBB175_2370
; %bb.2369:
	global_load_b32 v6, v[11:12], off
	s_waitcnt vmcnt(0)
	v_trunc_f32_e32 v6, v6
	s_delay_alu instid0(VALU_DEP_1) | instskip(NEXT) | instid1(VALU_DEP_1)
	v_mul_f32_e64 v9, 0x2f800000, |v6|
	v_floor_f32_e32 v9, v9
	s_delay_alu instid0(VALU_DEP_1) | instskip(SKIP_1) | instid1(VALU_DEP_2)
	v_fma_f32 v9, 0xcf800000, v9, |v6|
	v_ashrrev_i32_e32 v6, 31, v6
	v_cvt_u32_f32_e32 v9, v9
	s_delay_alu instid0(VALU_DEP_1) | instskip(NEXT) | instid1(VALU_DEP_1)
	v_xor_b32_e32 v9, v9, v6
	v_sub_nc_u32_e32 v9, v9, v6
.LBB175_2370:
	s_mov_b32 s2, 0
.LBB175_2371:
	s_delay_alu instid0(SALU_CYCLE_1)
	s_and_not1_b32 vcc_lo, exec_lo, s2
	s_cbranch_vccnz .LBB175_2373
; %bb.2372:
	global_load_u16 v6, v[11:12], off
	s_waitcnt vmcnt(0)
	v_cvt_f32_f16_e32 v6, v6
	s_delay_alu instid0(VALU_DEP_1)
	v_cvt_i32_f32_e32 v9, v6
.LBB175_2373:
	s_mov_b32 s2, 0
.LBB175_2374:
	s_delay_alu instid0(SALU_CYCLE_1)
	s_and_not1_b32 vcc_lo, exec_lo, s2
	s_cbranch_vccnz .LBB175_2394
; %bb.2375:
	v_cmp_gt_i16_e32 vcc_lo, 2, v16
	s_cbranch_vccnz .LBB175_2379
; %bb.2376:
	v_cmp_gt_i16_e32 vcc_lo, 3, v16
	s_cbranch_vccnz .LBB175_2380
; %bb.2377:
	v_cmp_lt_i16_e32 vcc_lo, 3, v16
	s_cbranch_vccz .LBB175_2381
; %bb.2378:
	global_load_b64 v[9:10], v[11:12], off
	s_mov_b32 s2, 0
	s_branch .LBB175_2382
.LBB175_2379:
	s_mov_b32 s2, -1
                                        ; implicit-def: $vgpr9
	s_branch .LBB175_2388
.LBB175_2380:
	s_mov_b32 s2, -1
                                        ; implicit-def: $vgpr9
	s_branch .LBB175_2385
.LBB175_2381:
	s_mov_b32 s2, -1
                                        ; implicit-def: $vgpr9
.LBB175_2382:
	s_delay_alu instid0(SALU_CYCLE_1)
	s_and_not1_b32 vcc_lo, exec_lo, s2
	s_cbranch_vccnz .LBB175_2384
; %bb.2383:
	global_load_b32 v9, v[11:12], off
.LBB175_2384:
	s_mov_b32 s2, 0
.LBB175_2385:
	s_delay_alu instid0(SALU_CYCLE_1)
	s_and_not1_b32 vcc_lo, exec_lo, s2
	s_cbranch_vccnz .LBB175_2387
; %bb.2386:
	global_load_u16 v9, v[11:12], off
.LBB175_2387:
	s_mov_b32 s2, 0
.LBB175_2388:
	s_delay_alu instid0(SALU_CYCLE_1)
	s_and_not1_b32 vcc_lo, exec_lo, s2
	s_cbranch_vccnz .LBB175_2394
; %bb.2389:
	v_cmp_lt_i16_e32 vcc_lo, 0, v16
	s_mov_b32 s2, 0
	s_cbranch_vccz .LBB175_2391
; %bb.2390:
	global_load_u8 v9, v[11:12], off
	s_branch .LBB175_2392
.LBB175_2391:
	s_mov_b32 s2, -1
                                        ; implicit-def: $vgpr9
.LBB175_2392:
	s_delay_alu instid0(SALU_CYCLE_1)
	s_and_not1_b32 vcc_lo, exec_lo, s2
	s_cbranch_vccnz .LBB175_2394
; %bb.2393:
	global_load_u8 v9, v[11:12], off
.LBB175_2394:
	s_mov_b32 s11, -1
.LBB175_2395:
	s_delay_alu instid0(SALU_CYCLE_1)
	s_and_not1_b32 vcc_lo, exec_lo, s11
	s_cbranch_vccnz .LBB175_3049
; %bb.2396:
	v_cmp_gt_i16_e32 vcc_lo, 11, v15
	s_waitcnt vmcnt(0)
	v_add_co_u32 v6, s2, s6, v7
	s_delay_alu instid0(VALU_DEP_1)
	v_add_co_ci_u32_e64 v7, null, s7, 0, s2
	s_mov_b32 s6, 0
	s_cbranch_vccnz .LBB175_2403
; %bb.2397:
	v_cmp_lt_i16_e32 vcc_lo, 25, v15
	s_mov_b32 s3, 0
	s_cbranch_vccz .LBB175_2404
; %bb.2398:
	v_cmp_lt_i16_e32 vcc_lo, 28, v15
	s_cbranch_vccz .LBB175_2405
; %bb.2399:
	v_cmp_lt_i16_e32 vcc_lo, 43, v15
	;; [unrolled: 3-line block ×3, first 2 shown]
	s_cbranch_vccz .LBB175_2409
; %bb.2401:
	v_cmp_eq_u16_e32 vcc_lo, 46, v15
	s_mov_b32 s7, 0
	s_cbranch_vccz .LBB175_2412
; %bb.2402:
	global_load_b32 v12, v[6:7], off
	s_mov_b32 s2, 0
	s_mov_b32 s6, -1
	s_branch .LBB175_2414
.LBB175_2403:
	s_mov_b32 s2, -1
                                        ; implicit-def: $vgpr12
	s_branch .LBB175_2480
.LBB175_2404:
	s_mov_b32 s7, -1
	s_mov_b32 s2, 0
                                        ; implicit-def: $vgpr12
	s_branch .LBB175_2443
.LBB175_2405:
	s_mov_b32 s7, -1
	s_mov_b32 s2, 0
                                        ; implicit-def: $vgpr12
	s_branch .LBB175_2424
.LBB175_2406:
	s_mov_b32 s7, -1
	s_mov_b32 s2, 0
                                        ; implicit-def: $vgpr12
	s_branch .LBB175_2419
.LBB175_2407:
	s_cbranch_execnz .LBB175_2410
; %bb.2408:
	s_or_b32 s10, s10, exec_lo
                                        ; implicit-def: $vgpr9
	s_cbranch_execz .LBB175_2344
	s_branch .LBB175_2345
.LBB175_2409:
	s_mov_b32 s7, -1
	s_mov_b32 s2, 0
	s_branch .LBB175_2413
.LBB175_2410:
	s_trap 2
	s_sendmsg_rtn_b32 s0, sendmsg(MSG_RTN_GET_DOORBELL)
	s_mov_b32 ttmp2, m0
	s_waitcnt lgkmcnt(0)
	s_and_b32 s0, s0, 0x3ff
	s_delay_alu instid0(SALU_CYCLE_1) | instskip(NEXT) | instid1(SALU_CYCLE_1)
	s_bitset1_b32 s0, 10
	s_mov_b32 m0, s0
	s_sendmsg sendmsg(MSG_INTERRUPT)
	s_mov_b32 m0, ttmp2
.LBB175_2411:                           ; =>This Inner Loop Header: Depth=1
	s_sethalt 5
	s_branch .LBB175_2411
.LBB175_2412:
	s_mov_b32 s2, -1
.LBB175_2413:
                                        ; implicit-def: $vgpr12
.LBB175_2414:
	s_and_b32 vcc_lo, exec_lo, s7
	s_cbranch_vccz .LBB175_2418
; %bb.2415:
	v_cmp_eq_u16_e32 vcc_lo, 44, v15
	s_cbranch_vccz .LBB175_2417
; %bb.2416:
	global_load_u8 v10, v[6:7], off
	s_mov_b32 s2, 0
	s_mov_b32 s6, -1
	s_waitcnt vmcnt(0)
	v_lshlrev_b32_e32 v11, 23, v10
	v_cmp_ne_u32_e32 vcc_lo, 0xff, v10
	s_delay_alu instid0(VALU_DEP_2) | instskip(SKIP_1) | instid1(VALU_DEP_2)
	v_cndmask_b32_e32 v11, 0x7f800001, v11, vcc_lo
	v_cmp_ne_u32_e32 vcc_lo, 0, v10
	v_cndmask_b32_e32 v10, 0x400000, v11, vcc_lo
	s_delay_alu instid0(VALU_DEP_1) | instskip(SKIP_1) | instid1(VALU_DEP_2)
	v_add_nc_u32_e32 v11, 0x7fff, v10
	v_cmp_o_f32_e32 vcc_lo, v10, v10
	v_lshrrev_b32_e32 v11, 16, v11
	s_delay_alu instid0(VALU_DEP_1)
	v_cndmask_b32_e32 v12, 0x7fc0, v11, vcc_lo
	s_branch .LBB175_2418
.LBB175_2417:
	s_mov_b32 s2, -1
                                        ; implicit-def: $vgpr12
.LBB175_2418:
	s_mov_b32 s7, 0
.LBB175_2419:
	s_delay_alu instid0(SALU_CYCLE_1)
	s_and_b32 vcc_lo, exec_lo, s7
	s_cbranch_vccz .LBB175_2423
; %bb.2420:
	v_cmp_eq_u16_e32 vcc_lo, 29, v15
	s_cbranch_vccz .LBB175_2422
; %bb.2421:
	global_load_b64 v[10:11], v[6:7], off
	s_mov_b32 s2, 0
	s_mov_b32 s6, -1
	s_mov_b32 s7, 0
	s_waitcnt vmcnt(0)
	v_clz_i32_u32_e32 v12, v11
	s_delay_alu instid0(VALU_DEP_1) | instskip(NEXT) | instid1(VALU_DEP_1)
	v_min_u32_e32 v12, 32, v12
	v_lshlrev_b64 v[10:11], v12, v[10:11]
	s_delay_alu instid0(VALU_DEP_1) | instskip(NEXT) | instid1(VALU_DEP_1)
	v_min_u32_e32 v10, 1, v10
	v_or_b32_e32 v10, v11, v10
	v_sub_nc_u32_e32 v11, 32, v12
	s_delay_alu instid0(VALU_DEP_2) | instskip(NEXT) | instid1(VALU_DEP_1)
	v_cvt_f32_u32_e32 v10, v10
	v_ldexp_f32 v10, v10, v11
	s_delay_alu instid0(VALU_DEP_1) | instskip(NEXT) | instid1(VALU_DEP_1)
	v_bfe_u32 v11, v10, 16, 1
	v_add3_u32 v10, v10, v11, 0x7fff
	s_delay_alu instid0(VALU_DEP_1)
	v_lshrrev_b32_e32 v12, 16, v10
	s_branch .LBB175_2424
.LBB175_2422:
	s_mov_b32 s2, -1
                                        ; implicit-def: $vgpr12
.LBB175_2423:
	s_mov_b32 s7, 0
.LBB175_2424:
	s_delay_alu instid0(SALU_CYCLE_1)
	s_and_b32 vcc_lo, exec_lo, s7
	s_cbranch_vccz .LBB175_2442
; %bb.2425:
	v_cmp_gt_i16_e32 vcc_lo, 27, v15
	s_cbranch_vccnz .LBB175_2428
; %bb.2426:
	v_cmp_lt_i16_e32 vcc_lo, 27, v15
	s_cbranch_vccz .LBB175_2429
; %bb.2427:
	global_load_b32 v10, v[6:7], off
	s_mov_b32 s6, 0
	s_waitcnt vmcnt(0)
	v_cvt_f32_u32_e32 v10, v10
	s_delay_alu instid0(VALU_DEP_1) | instskip(NEXT) | instid1(VALU_DEP_1)
	v_bfe_u32 v11, v10, 16, 1
	v_add3_u32 v10, v10, v11, 0x7fff
	s_delay_alu instid0(VALU_DEP_1)
	v_lshrrev_b32_e32 v12, 16, v10
	s_branch .LBB175_2430
.LBB175_2428:
	s_mov_b32 s6, -1
                                        ; implicit-def: $vgpr12
	s_branch .LBB175_2433
.LBB175_2429:
	s_mov_b32 s6, -1
                                        ; implicit-def: $vgpr12
.LBB175_2430:
	s_delay_alu instid0(SALU_CYCLE_1)
	s_and_not1_b32 vcc_lo, exec_lo, s6
	s_cbranch_vccnz .LBB175_2432
; %bb.2431:
	global_load_u16 v10, v[6:7], off
	s_waitcnt vmcnt(0)
	v_cvt_f32_u32_e32 v10, v10
	s_delay_alu instid0(VALU_DEP_1) | instskip(NEXT) | instid1(VALU_DEP_1)
	v_bfe_u32 v11, v10, 16, 1
	v_add3_u32 v10, v10, v11, 0x7fff
	s_delay_alu instid0(VALU_DEP_1)
	v_lshrrev_b32_e32 v12, 16, v10
.LBB175_2432:
	s_mov_b32 s6, 0
.LBB175_2433:
	s_delay_alu instid0(SALU_CYCLE_1)
	s_and_not1_b32 vcc_lo, exec_lo, s6
	s_cbranch_vccnz .LBB175_2441
; %bb.2434:
	global_load_u8 v10, v[6:7], off
	s_mov_b32 s6, 0
	s_mov_b32 s11, exec_lo
                                        ; implicit-def: $sgpr7
	s_waitcnt vmcnt(0)
	v_cmpx_lt_i16_e32 0x7f, v10
	s_xor_b32 s11, exec_lo, s11
	s_cbranch_execz .LBB175_2455
; %bb.2435:
	s_mov_b32 s6, -1
	s_mov_b32 s12, exec_lo
                                        ; implicit-def: $sgpr7
	v_cmpx_eq_u16_e32 0x80, v10
; %bb.2436:
	s_mov_b32 s7, 0x7f800001
	s_xor_b32 s6, exec_lo, -1
; %bb.2437:
	s_or_b32 exec_lo, exec_lo, s12
	s_delay_alu instid0(SALU_CYCLE_1)
	s_and_b32 s6, s6, exec_lo
	s_or_saveexec_b32 s11, s11
	v_mov_b32_e32 v11, s7
	s_xor_b32 exec_lo, exec_lo, s11
	s_cbranch_execnz .LBB175_2456
.LBB175_2438:
	s_or_b32 exec_lo, exec_lo, s11
	s_and_saveexec_b32 s7, s6
	s_cbranch_execz .LBB175_2440
.LBB175_2439:
	v_and_b32_e32 v11, 0xffff, v10
	v_lshlrev_b32_e32 v10, 24, v10
	s_delay_alu instid0(VALU_DEP_2) | instskip(NEXT) | instid1(VALU_DEP_2)
	v_and_b32_e32 v12, 7, v11
	v_and_b32_e32 v10, 0x80000000, v10
	s_delay_alu instid0(VALU_DEP_2) | instskip(NEXT) | instid1(VALU_DEP_1)
	v_clz_i32_u32_e32 v18, v12
	v_min_u32_e32 v18, 32, v18
	s_delay_alu instid0(VALU_DEP_1) | instskip(SKIP_1) | instid1(VALU_DEP_2)
	v_subrev_nc_u32_e32 v19, 28, v18
	v_sub_nc_u32_e32 v18, 29, v18
	v_lshlrev_b32_e32 v19, v19, v11
	v_bfe_u32 v11, v11, 3, 4
	s_delay_alu instid0(VALU_DEP_2) | instskip(NEXT) | instid1(VALU_DEP_2)
	v_and_b32_e32 v19, 7, v19
	v_cmp_eq_u32_e32 vcc_lo, 0, v11
	s_delay_alu instid0(VALU_DEP_2) | instskip(NEXT) | instid1(VALU_DEP_1)
	v_dual_cndmask_b32 v11, v11, v18 :: v_dual_cndmask_b32 v12, v12, v19
	v_lshl_add_u32 v11, v11, 23, 0x3b800000
	s_delay_alu instid0(VALU_DEP_2) | instskip(NEXT) | instid1(VALU_DEP_1)
	v_lshlrev_b32_e32 v12, 20, v12
	v_or3_b32 v11, v10, v11, v12
.LBB175_2440:
	s_or_b32 exec_lo, exec_lo, s7
	s_delay_alu instid0(VALU_DEP_1) | instskip(SKIP_1) | instid1(VALU_DEP_2)
	v_bfe_u32 v10, v11, 16, 1
	v_cmp_o_f32_e32 vcc_lo, v11, v11
	v_add3_u32 v10, v11, v10, 0x7fff
	s_delay_alu instid0(VALU_DEP_1) | instskip(NEXT) | instid1(VALU_DEP_1)
	v_lshrrev_b32_e32 v10, 16, v10
	v_cndmask_b32_e32 v12, 0x7fc0, v10, vcc_lo
.LBB175_2441:
	s_mov_b32 s6, -1
.LBB175_2442:
	s_mov_b32 s7, 0
.LBB175_2443:
	s_delay_alu instid0(SALU_CYCLE_1)
	s_and_b32 vcc_lo, exec_lo, s7
	s_cbranch_vccz .LBB175_2476
; %bb.2444:
	v_cmp_lt_i16_e32 vcc_lo, 22, v15
	s_cbranch_vccz .LBB175_2454
; %bb.2445:
	v_cmp_gt_i16_e32 vcc_lo, 24, v15
	s_cbranch_vccnz .LBB175_2457
; %bb.2446:
	v_cmp_lt_i16_e32 vcc_lo, 24, v15
	s_cbranch_vccz .LBB175_2458
; %bb.2447:
	global_load_u8 v10, v[6:7], off
	s_mov_b32 s7, exec_lo
                                        ; implicit-def: $sgpr6
	s_waitcnt vmcnt(0)
	v_cmpx_lt_i16_e32 0x7f, v10
	s_xor_b32 s7, exec_lo, s7
	s_cbranch_execz .LBB175_2470
; %bb.2448:
	s_mov_b32 s3, -1
	s_mov_b32 s11, exec_lo
                                        ; implicit-def: $sgpr6
	v_cmpx_eq_u16_e32 0x80, v10
; %bb.2449:
	s_mov_b32 s6, 0x7f800001
	s_xor_b32 s3, exec_lo, -1
; %bb.2450:
	s_or_b32 exec_lo, exec_lo, s11
	s_delay_alu instid0(SALU_CYCLE_1)
	s_and_b32 s3, s3, exec_lo
	s_or_saveexec_b32 s7, s7
	v_mov_b32_e32 v11, s6
	s_xor_b32 exec_lo, exec_lo, s7
	s_cbranch_execnz .LBB175_2471
.LBB175_2451:
	s_or_b32 exec_lo, exec_lo, s7
	s_and_saveexec_b32 s6, s3
	s_cbranch_execz .LBB175_2453
.LBB175_2452:
	v_and_b32_e32 v11, 0xffff, v10
	v_lshlrev_b32_e32 v10, 24, v10
	s_delay_alu instid0(VALU_DEP_2) | instskip(NEXT) | instid1(VALU_DEP_2)
	v_and_b32_e32 v12, 3, v11
	v_and_b32_e32 v10, 0x80000000, v10
	s_delay_alu instid0(VALU_DEP_2) | instskip(NEXT) | instid1(VALU_DEP_1)
	v_clz_i32_u32_e32 v18, v12
	v_min_u32_e32 v18, 32, v18
	s_delay_alu instid0(VALU_DEP_1) | instskip(SKIP_1) | instid1(VALU_DEP_2)
	v_subrev_nc_u32_e32 v19, 29, v18
	v_sub_nc_u32_e32 v18, 30, v18
	v_lshlrev_b32_e32 v19, v19, v11
	v_bfe_u32 v11, v11, 2, 5
	s_delay_alu instid0(VALU_DEP_2) | instskip(NEXT) | instid1(VALU_DEP_2)
	v_and_b32_e32 v19, 3, v19
	v_cmp_eq_u32_e32 vcc_lo, 0, v11
	s_delay_alu instid0(VALU_DEP_2) | instskip(NEXT) | instid1(VALU_DEP_1)
	v_dual_cndmask_b32 v11, v11, v18 :: v_dual_cndmask_b32 v12, v12, v19
	v_lshl_add_u32 v11, v11, 23, 0x37800000
	s_delay_alu instid0(VALU_DEP_2) | instskip(NEXT) | instid1(VALU_DEP_1)
	v_lshlrev_b32_e32 v12, 21, v12
	v_or3_b32 v11, v10, v11, v12
.LBB175_2453:
	s_or_b32 exec_lo, exec_lo, s6
	s_delay_alu instid0(VALU_DEP_1) | instskip(SKIP_2) | instid1(VALU_DEP_2)
	v_bfe_u32 v10, v11, 16, 1
	v_cmp_o_f32_e32 vcc_lo, v11, v11
	s_mov_b32 s3, 0
	v_add3_u32 v10, v11, v10, 0x7fff
	s_delay_alu instid0(VALU_DEP_1) | instskip(NEXT) | instid1(VALU_DEP_1)
	v_lshrrev_b32_e32 v10, 16, v10
	v_cndmask_b32_e32 v12, 0x7fc0, v10, vcc_lo
	s_branch .LBB175_2459
.LBB175_2454:
	s_mov_b32 s3, -1
                                        ; implicit-def: $vgpr12
	s_branch .LBB175_2465
.LBB175_2455:
	s_or_saveexec_b32 s11, s11
	v_mov_b32_e32 v11, s7
	s_xor_b32 exec_lo, exec_lo, s11
	s_cbranch_execz .LBB175_2438
.LBB175_2456:
	v_cmp_ne_u16_e32 vcc_lo, 0, v10
	v_mov_b32_e32 v11, 0
	s_and_not1_b32 s6, s6, exec_lo
	s_and_b32 s7, vcc_lo, exec_lo
	s_delay_alu instid0(SALU_CYCLE_1)
	s_or_b32 s6, s6, s7
	s_or_b32 exec_lo, exec_lo, s11
	s_and_saveexec_b32 s7, s6
	s_cbranch_execnz .LBB175_2439
	s_branch .LBB175_2440
.LBB175_2457:
	s_mov_b32 s3, -1
                                        ; implicit-def: $vgpr12
	s_branch .LBB175_2462
.LBB175_2458:
	s_mov_b32 s3, -1
                                        ; implicit-def: $vgpr12
.LBB175_2459:
	s_delay_alu instid0(SALU_CYCLE_1)
	s_and_b32 vcc_lo, exec_lo, s3
	s_cbranch_vccz .LBB175_2461
; %bb.2460:
	global_load_u8 v10, v[6:7], off
	s_waitcnt vmcnt(0)
	v_lshlrev_b32_e32 v10, 24, v10
	s_delay_alu instid0(VALU_DEP_1) | instskip(NEXT) | instid1(VALU_DEP_1)
	v_and_b32_e32 v11, 0x7f000000, v10
	v_clz_i32_u32_e32 v12, v11
	v_add_nc_u32_e32 v19, 0x1000000, v11
	v_cmp_ne_u32_e32 vcc_lo, 0, v11
	s_delay_alu instid0(VALU_DEP_3) | instskip(NEXT) | instid1(VALU_DEP_1)
	v_min_u32_e32 v12, 32, v12
	v_sub_nc_u32_e64 v12, v12, 4 clamp
	s_delay_alu instid0(VALU_DEP_1) | instskip(SKIP_1) | instid1(VALU_DEP_2)
	v_lshlrev_b32_e32 v18, v12, v11
	v_lshlrev_b32_e32 v12, 23, v12
	v_lshrrev_b32_e32 v18, 4, v18
	s_delay_alu instid0(VALU_DEP_1) | instskip(SKIP_1) | instid1(VALU_DEP_2)
	v_sub_nc_u32_e32 v12, v18, v12
	v_ashrrev_i32_e32 v18, 8, v19
	v_add_nc_u32_e32 v12, 0x3c000000, v12
	s_delay_alu instid0(VALU_DEP_1) | instskip(NEXT) | instid1(VALU_DEP_1)
	v_and_or_b32 v12, 0x7f800000, v18, v12
	v_cndmask_b32_e32 v11, 0, v12, vcc_lo
	s_delay_alu instid0(VALU_DEP_1) | instskip(SKIP_1) | instid1(VALU_DEP_2)
	v_and_or_b32 v10, 0x80000000, v10, v11
	v_bfe_u32 v11, v11, 16, 1
	v_cmp_o_f32_e32 vcc_lo, v10, v10
	s_delay_alu instid0(VALU_DEP_2) | instskip(NEXT) | instid1(VALU_DEP_1)
	v_add3_u32 v11, v10, v11, 0x7fff
	v_lshrrev_b32_e32 v11, 16, v11
	s_delay_alu instid0(VALU_DEP_1)
	v_cndmask_b32_e32 v12, 0x7fc0, v11, vcc_lo
.LBB175_2461:
	s_mov_b32 s3, 0
.LBB175_2462:
	s_delay_alu instid0(SALU_CYCLE_1)
	s_and_not1_b32 vcc_lo, exec_lo, s3
	s_cbranch_vccnz .LBB175_2464
; %bb.2463:
	global_load_u8 v10, v[6:7], off
	s_waitcnt vmcnt(0)
	v_lshlrev_b32_e32 v11, 25, v10
	v_lshlrev_b16 v10, 8, v10
	s_delay_alu instid0(VALU_DEP_2) | instskip(NEXT) | instid1(VALU_DEP_2)
	v_lshrrev_b32_e32 v12, 4, v11
	v_and_or_b32 v18, 0x7f00, v10, 0.5
	v_bfe_i32 v10, v10, 0, 16
	s_delay_alu instid0(VALU_DEP_3) | instskip(NEXT) | instid1(VALU_DEP_3)
	v_or_b32_e32 v12, 0x70000000, v12
	v_add_f32_e32 v18, -0.5, v18
	s_delay_alu instid0(VALU_DEP_2) | instskip(SKIP_1) | instid1(VALU_DEP_2)
	v_mul_f32_e32 v12, 0x7800000, v12
	v_cmp_gt_u32_e32 vcc_lo, 0x8000000, v11
	v_cndmask_b32_e32 v11, v12, v18, vcc_lo
	s_delay_alu instid0(VALU_DEP_1) | instskip(SKIP_1) | instid1(VALU_DEP_2)
	v_and_or_b32 v10, 0x80000000, v10, v11
	v_bfe_u32 v11, v11, 16, 1
	v_cmp_o_f32_e32 vcc_lo, v10, v10
	s_delay_alu instid0(VALU_DEP_2) | instskip(NEXT) | instid1(VALU_DEP_1)
	v_add3_u32 v11, v10, v11, 0x7fff
	v_lshrrev_b32_e32 v11, 16, v11
	s_delay_alu instid0(VALU_DEP_1)
	v_cndmask_b32_e32 v12, 0x7fc0, v11, vcc_lo
.LBB175_2464:
	s_mov_b32 s3, 0
	s_mov_b32 s6, -1
.LBB175_2465:
	s_and_not1_b32 vcc_lo, exec_lo, s3
	s_mov_b32 s3, 0
	s_cbranch_vccnz .LBB175_2476
; %bb.2466:
	v_cmp_lt_i16_e32 vcc_lo, 14, v15
	s_cbranch_vccz .LBB175_2469
; %bb.2467:
	v_cmp_eq_u16_e32 vcc_lo, 15, v15
	s_cbranch_vccz .LBB175_2472
; %bb.2468:
	global_load_u16 v12, v[6:7], off
	s_mov_b32 s2, 0
	s_mov_b32 s6, -1
	s_branch .LBB175_2474
.LBB175_2469:
	s_mov_b32 s3, -1
	s_branch .LBB175_2473
.LBB175_2470:
	s_or_saveexec_b32 s7, s7
	v_mov_b32_e32 v11, s6
	s_xor_b32 exec_lo, exec_lo, s7
	s_cbranch_execz .LBB175_2451
.LBB175_2471:
	v_cmp_ne_u16_e32 vcc_lo, 0, v10
	v_mov_b32_e32 v11, 0
	s_and_not1_b32 s3, s3, exec_lo
	s_and_b32 s6, vcc_lo, exec_lo
	s_delay_alu instid0(SALU_CYCLE_1)
	s_or_b32 s3, s3, s6
	s_or_b32 exec_lo, exec_lo, s7
	s_and_saveexec_b32 s6, s3
	s_cbranch_execnz .LBB175_2452
	s_branch .LBB175_2453
.LBB175_2472:
	s_mov_b32 s2, -1
.LBB175_2473:
                                        ; implicit-def: $vgpr12
.LBB175_2474:
	s_and_b32 vcc_lo, exec_lo, s3
	s_mov_b32 s3, 0
	s_cbranch_vccz .LBB175_2476
; %bb.2475:
	v_cmp_ne_u16_e64 s2, 11, v15
	s_mov_b32 s3, -1
                                        ; implicit-def: $vgpr12
.LBB175_2476:
	s_delay_alu instid0(VALU_DEP_1)
	s_and_b32 vcc_lo, exec_lo, s2
	s_cbranch_vccnz .LBB175_2541
; %bb.2477:
	s_and_not1_b32 vcc_lo, exec_lo, s3
	s_cbranch_vccnz .LBB175_2479
.LBB175_2478:
	global_load_u8 v10, v[6:7], off
	s_mov_b32 s6, -1
	s_waitcnt vmcnt(0)
	v_cmp_ne_u16_e32 vcc_lo, 0, v10
	v_cndmask_b32_e64 v10, 0, 1.0, vcc_lo
	s_delay_alu instid0(VALU_DEP_1)
	v_lshrrev_b32_e32 v12, 16, v10
.LBB175_2479:
	s_mov_b32 s2, 0
.LBB175_2480:
	s_delay_alu instid0(SALU_CYCLE_1)
	s_and_b32 vcc_lo, exec_lo, s2
	s_cbranch_vccz .LBB175_2529
; %bb.2481:
	v_cmp_gt_i16_e32 vcc_lo, 5, v15
	s_cbranch_vccnz .LBB175_2486
; %bb.2482:
	v_cmp_gt_i16_e32 vcc_lo, 8, v15
	s_cbranch_vccnz .LBB175_2487
	;; [unrolled: 3-line block ×3, first 2 shown]
; %bb.2484:
	v_cmp_lt_i16_e32 vcc_lo, 9, v15
	s_cbranch_vccz .LBB175_2489
; %bb.2485:
	global_load_b64 v[10:11], v[6:7], off
	s_mov_b32 s2, 0
	s_waitcnt vmcnt(0)
	v_cvt_f32_f64_e32 v10, v[10:11]
	s_delay_alu instid0(VALU_DEP_1) | instskip(SKIP_1) | instid1(VALU_DEP_2)
	v_bfe_u32 v11, v10, 16, 1
	v_cmp_o_f32_e32 vcc_lo, v10, v10
	v_add3_u32 v11, v10, v11, 0x7fff
	s_delay_alu instid0(VALU_DEP_1) | instskip(NEXT) | instid1(VALU_DEP_1)
	v_lshrrev_b32_e32 v11, 16, v11
	v_cndmask_b32_e32 v12, 0x7fc0, v11, vcc_lo
	s_branch .LBB175_2490
.LBB175_2486:
	s_mov_b32 s2, -1
                                        ; implicit-def: $vgpr12
	s_branch .LBB175_2508
.LBB175_2487:
	s_mov_b32 s2, -1
                                        ; implicit-def: $vgpr12
	s_branch .LBB175_2496
.LBB175_2488:
	s_mov_b32 s2, -1
                                        ; implicit-def: $vgpr12
	s_branch .LBB175_2493
.LBB175_2489:
	s_mov_b32 s2, -1
                                        ; implicit-def: $vgpr12
.LBB175_2490:
	s_delay_alu instid0(SALU_CYCLE_1)
	s_and_not1_b32 vcc_lo, exec_lo, s2
	s_cbranch_vccnz .LBB175_2492
; %bb.2491:
	global_load_b32 v10, v[6:7], off
	s_waitcnt vmcnt(0)
	v_bfe_u32 v11, v10, 16, 1
	v_cmp_o_f32_e32 vcc_lo, v10, v10
	s_delay_alu instid0(VALU_DEP_2) | instskip(NEXT) | instid1(VALU_DEP_1)
	v_add3_u32 v11, v10, v11, 0x7fff
	v_lshrrev_b32_e32 v11, 16, v11
	s_delay_alu instid0(VALU_DEP_1)
	v_cndmask_b32_e32 v12, 0x7fc0, v11, vcc_lo
.LBB175_2492:
	s_mov_b32 s2, 0
.LBB175_2493:
	s_delay_alu instid0(SALU_CYCLE_1)
	s_and_not1_b32 vcc_lo, exec_lo, s2
	s_cbranch_vccnz .LBB175_2495
; %bb.2494:
	global_load_b32 v10, v[6:7], off
	s_waitcnt vmcnt(0)
	v_cvt_f32_f16_e32 v11, v10
	v_cmp_o_f16_e32 vcc_lo, v10, v10
	s_delay_alu instid0(VALU_DEP_2) | instskip(NEXT) | instid1(VALU_DEP_1)
	v_bfe_u32 v12, v11, 16, 1
	v_add3_u32 v11, v11, v12, 0x7fff
	s_delay_alu instid0(VALU_DEP_1) | instskip(NEXT) | instid1(VALU_DEP_1)
	v_lshrrev_b32_e32 v11, 16, v11
	v_cndmask_b32_e32 v12, 0x7fc0, v11, vcc_lo
.LBB175_2495:
	s_mov_b32 s2, 0
.LBB175_2496:
	s_delay_alu instid0(SALU_CYCLE_1)
	s_and_not1_b32 vcc_lo, exec_lo, s2
	s_cbranch_vccnz .LBB175_2507
; %bb.2497:
	v_cmp_gt_i16_e32 vcc_lo, 6, v15
	s_cbranch_vccnz .LBB175_2500
; %bb.2498:
	v_cmp_lt_i16_e32 vcc_lo, 6, v15
	s_cbranch_vccz .LBB175_2501
; %bb.2499:
	global_load_b64 v[10:11], v[6:7], off
	s_mov_b32 s2, 0
	s_waitcnt vmcnt(0)
	v_cvt_f32_f64_e32 v10, v[10:11]
	s_delay_alu instid0(VALU_DEP_1) | instskip(SKIP_1) | instid1(VALU_DEP_2)
	v_bfe_u32 v11, v10, 16, 1
	v_cmp_o_f32_e32 vcc_lo, v10, v10
	v_add3_u32 v11, v10, v11, 0x7fff
	s_delay_alu instid0(VALU_DEP_1) | instskip(NEXT) | instid1(VALU_DEP_1)
	v_lshrrev_b32_e32 v11, 16, v11
	v_cndmask_b32_e32 v12, 0x7fc0, v11, vcc_lo
	s_branch .LBB175_2502
.LBB175_2500:
	s_mov_b32 s2, -1
                                        ; implicit-def: $vgpr12
	s_branch .LBB175_2505
.LBB175_2501:
	s_mov_b32 s2, -1
                                        ; implicit-def: $vgpr12
.LBB175_2502:
	s_delay_alu instid0(SALU_CYCLE_1)
	s_and_not1_b32 vcc_lo, exec_lo, s2
	s_cbranch_vccnz .LBB175_2504
; %bb.2503:
	global_load_b32 v10, v[6:7], off
	s_waitcnt vmcnt(0)
	v_bfe_u32 v11, v10, 16, 1
	v_cmp_o_f32_e32 vcc_lo, v10, v10
	s_delay_alu instid0(VALU_DEP_2) | instskip(NEXT) | instid1(VALU_DEP_1)
	v_add3_u32 v11, v10, v11, 0x7fff
	v_lshrrev_b32_e32 v11, 16, v11
	s_delay_alu instid0(VALU_DEP_1)
	v_cndmask_b32_e32 v12, 0x7fc0, v11, vcc_lo
.LBB175_2504:
	s_mov_b32 s2, 0
.LBB175_2505:
	s_delay_alu instid0(SALU_CYCLE_1)
	s_and_not1_b32 vcc_lo, exec_lo, s2
	s_cbranch_vccnz .LBB175_2507
; %bb.2506:
	global_load_u16 v10, v[6:7], off
	s_waitcnt vmcnt(0)
	v_cvt_f32_f16_e32 v11, v10
	v_cmp_o_f16_e32 vcc_lo, v10, v10
	s_delay_alu instid0(VALU_DEP_2) | instskip(NEXT) | instid1(VALU_DEP_1)
	v_bfe_u32 v12, v11, 16, 1
	v_add3_u32 v11, v11, v12, 0x7fff
	s_delay_alu instid0(VALU_DEP_1) | instskip(NEXT) | instid1(VALU_DEP_1)
	v_lshrrev_b32_e32 v11, 16, v11
	v_cndmask_b32_e32 v12, 0x7fc0, v11, vcc_lo
.LBB175_2507:
	s_mov_b32 s2, 0
.LBB175_2508:
	s_delay_alu instid0(SALU_CYCLE_1)
	s_and_not1_b32 vcc_lo, exec_lo, s2
	s_cbranch_vccnz .LBB175_2528
; %bb.2509:
	v_cmp_gt_i16_e32 vcc_lo, 2, v15
	s_cbranch_vccnz .LBB175_2513
; %bb.2510:
	v_cmp_gt_i16_e32 vcc_lo, 3, v15
	s_cbranch_vccnz .LBB175_2514
; %bb.2511:
	v_cmp_lt_i16_e32 vcc_lo, 3, v15
	s_cbranch_vccz .LBB175_2515
; %bb.2512:
	global_load_b64 v[10:11], v[6:7], off
	s_mov_b32 s2, 0
	s_waitcnt vmcnt(0)
	v_xor_b32_e32 v12, v10, v11
	v_cls_i32_e32 v18, v11
	s_delay_alu instid0(VALU_DEP_2) | instskip(NEXT) | instid1(VALU_DEP_2)
	v_ashrrev_i32_e32 v12, 31, v12
	v_add_nc_u32_e32 v18, -1, v18
	s_delay_alu instid0(VALU_DEP_2) | instskip(NEXT) | instid1(VALU_DEP_1)
	v_add_nc_u32_e32 v12, 32, v12
	v_min_u32_e32 v12, v18, v12
	s_delay_alu instid0(VALU_DEP_1) | instskip(NEXT) | instid1(VALU_DEP_1)
	v_lshlrev_b64 v[10:11], v12, v[10:11]
	v_min_u32_e32 v10, 1, v10
	s_delay_alu instid0(VALU_DEP_1) | instskip(SKIP_1) | instid1(VALU_DEP_2)
	v_or_b32_e32 v10, v11, v10
	v_sub_nc_u32_e32 v11, 32, v12
	v_cvt_f32_i32_e32 v10, v10
	s_delay_alu instid0(VALU_DEP_1) | instskip(NEXT) | instid1(VALU_DEP_1)
	v_ldexp_f32 v10, v10, v11
	v_bfe_u32 v11, v10, 16, 1
	s_delay_alu instid0(VALU_DEP_1) | instskip(NEXT) | instid1(VALU_DEP_1)
	v_add3_u32 v10, v10, v11, 0x7fff
	v_lshrrev_b32_e32 v12, 16, v10
	s_branch .LBB175_2516
.LBB175_2513:
	s_mov_b32 s2, -1
                                        ; implicit-def: $vgpr12
	s_branch .LBB175_2522
.LBB175_2514:
	s_mov_b32 s2, -1
                                        ; implicit-def: $vgpr12
	s_branch .LBB175_2519
.LBB175_2515:
	s_mov_b32 s2, -1
                                        ; implicit-def: $vgpr12
.LBB175_2516:
	s_delay_alu instid0(SALU_CYCLE_1)
	s_and_not1_b32 vcc_lo, exec_lo, s2
	s_cbranch_vccnz .LBB175_2518
; %bb.2517:
	global_load_b32 v10, v[6:7], off
	s_waitcnt vmcnt(0)
	v_cvt_f32_i32_e32 v10, v10
	s_delay_alu instid0(VALU_DEP_1) | instskip(NEXT) | instid1(VALU_DEP_1)
	v_bfe_u32 v11, v10, 16, 1
	v_add3_u32 v10, v10, v11, 0x7fff
	s_delay_alu instid0(VALU_DEP_1)
	v_lshrrev_b32_e32 v12, 16, v10
.LBB175_2518:
	s_mov_b32 s2, 0
.LBB175_2519:
	s_delay_alu instid0(SALU_CYCLE_1)
	s_and_not1_b32 vcc_lo, exec_lo, s2
	s_cbranch_vccnz .LBB175_2521
; %bb.2520:
	global_load_i16 v10, v[6:7], off
	s_waitcnt vmcnt(0)
	v_cvt_f32_i32_e32 v10, v10
	s_delay_alu instid0(VALU_DEP_1) | instskip(NEXT) | instid1(VALU_DEP_1)
	v_bfe_u32 v11, v10, 16, 1
	v_add3_u32 v10, v10, v11, 0x7fff
	s_delay_alu instid0(VALU_DEP_1)
	v_lshrrev_b32_e32 v12, 16, v10
.LBB175_2521:
	s_mov_b32 s2, 0
.LBB175_2522:
	s_delay_alu instid0(SALU_CYCLE_1)
	s_and_not1_b32 vcc_lo, exec_lo, s2
	s_cbranch_vccnz .LBB175_2528
; %bb.2523:
	v_cmp_lt_i16_e32 vcc_lo, 0, v15
	s_mov_b32 s2, 0
	s_cbranch_vccz .LBB175_2525
; %bb.2524:
	global_load_i8 v10, v[6:7], off
	s_waitcnt vmcnt(0)
	v_cvt_f32_i32_e32 v10, v10
	s_delay_alu instid0(VALU_DEP_1) | instskip(NEXT) | instid1(VALU_DEP_1)
	v_bfe_u32 v11, v10, 16, 1
	v_add3_u32 v10, v10, v11, 0x7fff
	s_delay_alu instid0(VALU_DEP_1)
	v_lshrrev_b32_e32 v12, 16, v10
	s_branch .LBB175_2526
.LBB175_2525:
	s_mov_b32 s2, -1
                                        ; implicit-def: $vgpr12
.LBB175_2526:
	s_delay_alu instid0(SALU_CYCLE_1)
	s_and_not1_b32 vcc_lo, exec_lo, s2
	s_cbranch_vccnz .LBB175_2528
; %bb.2527:
	global_load_u8 v6, v[6:7], off
	s_waitcnt vmcnt(0)
	v_cvt_f32_ubyte0_e32 v6, v6
	s_delay_alu instid0(VALU_DEP_1) | instskip(NEXT) | instid1(VALU_DEP_1)
	v_bfe_u32 v7, v6, 16, 1
	v_add3_u32 v6, v6, v7, 0x7fff
	s_delay_alu instid0(VALU_DEP_1)
	v_lshrrev_b32_e32 v12, 16, v6
.LBB175_2528:
	s_mov_b32 s6, -1
.LBB175_2529:
	s_delay_alu instid0(SALU_CYCLE_1)
	s_and_not1_b32 vcc_lo, exec_lo, s6
	s_cbranch_vccnz .LBB175_3049
; %bb.2530:
	v_cmp_gt_i16_e32 vcc_lo, 11, v16
	v_add_co_u32 v10, s0, s0, v4
	s_delay_alu instid0(VALU_DEP_1)
	v_add_co_ci_u32_e64 v11, null, s1, 0, s0
	s_mov_b32 s2, 0
	s_cbranch_vccnz .LBB175_2537
; %bb.2531:
	v_cmp_lt_i16_e32 vcc_lo, 25, v16
	s_mov_b32 s1, 0
	s_cbranch_vccz .LBB175_2538
; %bb.2532:
	v_cmp_lt_i16_e32 vcc_lo, 28, v16
	s_cbranch_vccz .LBB175_2539
; %bb.2533:
	v_cmp_lt_i16_e32 vcc_lo, 43, v16
	;; [unrolled: 3-line block ×3, first 2 shown]
	s_cbranch_vccz .LBB175_2543
; %bb.2535:
	v_cmp_eq_u16_e32 vcc_lo, 46, v16
	s_mov_b32 s3, 0
	s_cbranch_vccz .LBB175_2546
; %bb.2536:
	global_load_b32 v4, v[10:11], off
	s_mov_b32 s0, 0
	s_mov_b32 s2, -1
	s_waitcnt vmcnt(0)
	v_lshlrev_b32_e32 v4, 16, v4
	s_delay_alu instid0(VALU_DEP_1) | instskip(NEXT) | instid1(VALU_DEP_1)
	v_trunc_f32_e32 v4, v4
	v_mul_f32_e64 v6, 0x2f800000, |v4|
	s_delay_alu instid0(VALU_DEP_1) | instskip(NEXT) | instid1(VALU_DEP_1)
	v_floor_f32_e32 v6, v6
	v_fma_f32 v6, 0xcf800000, v6, |v4|
	v_ashrrev_i32_e32 v4, 31, v4
	s_delay_alu instid0(VALU_DEP_2) | instskip(NEXT) | instid1(VALU_DEP_1)
	v_cvt_u32_f32_e32 v6, v6
	v_xor_b32_e32 v6, v6, v4
	s_delay_alu instid0(VALU_DEP_1)
	v_sub_nc_u32_e32 v6, v6, v4
	s_branch .LBB175_2548
.LBB175_2537:
	s_mov_b32 s0, -1
                                        ; implicit-def: $vgpr6
	s_branch .LBB175_2610
.LBB175_2538:
	s_mov_b32 s3, -1
	s_mov_b32 s0, 0
                                        ; implicit-def: $vgpr6
	s_branch .LBB175_2575
.LBB175_2539:
	s_mov_b32 s3, -1
	s_mov_b32 s0, 0
                                        ; implicit-def: $vgpr6
	s_branch .LBB175_2558
.LBB175_2540:
	s_mov_b32 s3, -1
	s_mov_b32 s0, 0
                                        ; implicit-def: $vgpr6
	s_branch .LBB175_2553
.LBB175_2541:
	s_cbranch_execnz .LBB175_2544
; %bb.2542:
	s_or_b32 s10, s10, exec_lo
                                        ; implicit-def: $vgpr12
	s_cbranch_execz .LBB175_2478
	s_branch .LBB175_2479
.LBB175_2543:
	s_mov_b32 s3, -1
	s_mov_b32 s0, 0
	s_branch .LBB175_2547
.LBB175_2544:
	s_trap 2
	s_sendmsg_rtn_b32 s0, sendmsg(MSG_RTN_GET_DOORBELL)
	s_mov_b32 ttmp2, m0
	s_waitcnt lgkmcnt(0)
	s_and_b32 s0, s0, 0x3ff
	s_delay_alu instid0(SALU_CYCLE_1) | instskip(NEXT) | instid1(SALU_CYCLE_1)
	s_bitset1_b32 s0, 10
	s_mov_b32 m0, s0
	s_sendmsg sendmsg(MSG_INTERRUPT)
	s_mov_b32 m0, ttmp2
.LBB175_2545:                           ; =>This Inner Loop Header: Depth=1
	s_sethalt 5
	s_branch .LBB175_2545
.LBB175_2546:
	s_mov_b32 s0, -1
.LBB175_2547:
                                        ; implicit-def: $vgpr6
.LBB175_2548:
	s_and_b32 vcc_lo, exec_lo, s3
	s_cbranch_vccz .LBB175_2552
; %bb.2549:
	v_cmp_eq_u16_e32 vcc_lo, 44, v16
	s_cbranch_vccz .LBB175_2551
; %bb.2550:
	global_load_u8 v4, v[10:11], off
	s_mov_b32 s0, 0
	s_mov_b32 s2, -1
	s_waitcnt vmcnt(0)
	v_lshlrev_b32_e32 v6, 23, v4
	v_cmp_ne_u32_e32 vcc_lo, 0, v4
	s_delay_alu instid0(VALU_DEP_2) | instskip(NEXT) | instid1(VALU_DEP_1)
	v_trunc_f32_e32 v6, v6
	v_mul_f32_e64 v7, 0x2f800000, |v6|
	s_delay_alu instid0(VALU_DEP_1) | instskip(NEXT) | instid1(VALU_DEP_1)
	v_floor_f32_e32 v7, v7
	v_fma_f32 v7, 0xcf800000, v7, |v6|
	v_ashrrev_i32_e32 v6, 31, v6
	s_delay_alu instid0(VALU_DEP_2) | instskip(NEXT) | instid1(VALU_DEP_1)
	v_cvt_u32_f32_e32 v7, v7
	v_xor_b32_e32 v7, v7, v6
	s_delay_alu instid0(VALU_DEP_1) | instskip(NEXT) | instid1(VALU_DEP_1)
	v_sub_nc_u32_e32 v6, v7, v6
	v_cndmask_b32_e32 v6, 0, v6, vcc_lo
	s_branch .LBB175_2552
.LBB175_2551:
	s_mov_b32 s0, -1
                                        ; implicit-def: $vgpr6
.LBB175_2552:
	s_mov_b32 s3, 0
.LBB175_2553:
	s_delay_alu instid0(SALU_CYCLE_1)
	s_and_b32 vcc_lo, exec_lo, s3
	s_cbranch_vccz .LBB175_2557
; %bb.2554:
	v_cmp_eq_u16_e32 vcc_lo, 29, v16
	s_cbranch_vccz .LBB175_2556
; %bb.2555:
	global_load_b64 v[6:7], v[10:11], off
	s_mov_b32 s0, 0
	s_mov_b32 s2, -1
	s_branch .LBB175_2557
.LBB175_2556:
	s_mov_b32 s0, -1
                                        ; implicit-def: $vgpr6
.LBB175_2557:
	s_mov_b32 s3, 0
.LBB175_2558:
	s_delay_alu instid0(SALU_CYCLE_1)
	s_and_b32 vcc_lo, exec_lo, s3
	s_cbranch_vccz .LBB175_2574
; %bb.2559:
	v_cmp_gt_i16_e32 vcc_lo, 27, v16
	s_cbranch_vccnz .LBB175_2562
; %bb.2560:
	v_cmp_lt_i16_e32 vcc_lo, 27, v16
	s_cbranch_vccz .LBB175_2563
; %bb.2561:
	global_load_b32 v6, v[10:11], off
	s_mov_b32 s2, 0
	s_branch .LBB175_2564
.LBB175_2562:
	s_mov_b32 s2, -1
                                        ; implicit-def: $vgpr6
	s_branch .LBB175_2567
.LBB175_2563:
	s_mov_b32 s2, -1
                                        ; implicit-def: $vgpr6
.LBB175_2564:
	s_delay_alu instid0(SALU_CYCLE_1)
	s_and_not1_b32 vcc_lo, exec_lo, s2
	s_cbranch_vccnz .LBB175_2566
; %bb.2565:
	global_load_u16 v6, v[10:11], off
.LBB175_2566:
	s_mov_b32 s2, 0
.LBB175_2567:
	s_delay_alu instid0(SALU_CYCLE_1)
	s_and_not1_b32 vcc_lo, exec_lo, s2
	s_cbranch_vccnz .LBB175_2573
; %bb.2568:
	global_load_u8 v4, v[10:11], off
	s_mov_b32 s3, 0
	s_mov_b32 s2, exec_lo
                                        ; implicit-def: $sgpr6
	s_waitcnt vmcnt(0)
	v_cmpx_lt_i16_e32 0x7f, v4
	s_xor_b32 s2, exec_lo, s2
	s_cbranch_execz .LBB175_2585
; %bb.2569:
	v_cmp_ne_u16_e32 vcc_lo, 0x80, v4
	s_mov_b32 s6, 0
	s_and_b32 s3, vcc_lo, exec_lo
	s_or_saveexec_b32 s2, s2
	v_mov_b32_e32 v6, s6
	s_xor_b32 exec_lo, exec_lo, s2
	s_cbranch_execnz .LBB175_2586
.LBB175_2570:
	s_or_b32 exec_lo, exec_lo, s2
	s_and_saveexec_b32 s2, s3
	s_cbranch_execz .LBB175_2572
.LBB175_2571:
	v_and_b32_e32 v6, 0xffff, v4
	v_lshlrev_b32_e32 v4, 24, v4
	s_delay_alu instid0(VALU_DEP_2) | instskip(NEXT) | instid1(VALU_DEP_2)
	v_and_b32_e32 v7, 7, v6
	v_and_b32_e32 v4, 0x80000000, v4
	s_delay_alu instid0(VALU_DEP_2) | instskip(NEXT) | instid1(VALU_DEP_1)
	v_clz_i32_u32_e32 v15, v7
	v_min_u32_e32 v15, 32, v15
	s_delay_alu instid0(VALU_DEP_1) | instskip(SKIP_1) | instid1(VALU_DEP_2)
	v_subrev_nc_u32_e32 v18, 28, v15
	v_sub_nc_u32_e32 v15, 29, v15
	v_lshlrev_b32_e32 v18, v18, v6
	v_bfe_u32 v6, v6, 3, 4
	s_delay_alu instid0(VALU_DEP_2) | instskip(NEXT) | instid1(VALU_DEP_2)
	v_and_b32_e32 v18, 7, v18
	v_cmp_eq_u32_e32 vcc_lo, 0, v6
	s_delay_alu instid0(VALU_DEP_2) | instskip(NEXT) | instid1(VALU_DEP_1)
	v_dual_cndmask_b32 v6, v6, v15 :: v_dual_cndmask_b32 v7, v7, v18
	v_lshl_add_u32 v6, v6, 23, 0x3b800000
	s_delay_alu instid0(VALU_DEP_2) | instskip(NEXT) | instid1(VALU_DEP_1)
	v_lshlrev_b32_e32 v7, 20, v7
	v_or3_b32 v4, v4, v6, v7
	s_delay_alu instid0(VALU_DEP_1) | instskip(NEXT) | instid1(VALU_DEP_1)
	v_trunc_f32_e32 v4, v4
	v_mul_f32_e64 v6, 0x2f800000, |v4|
	s_delay_alu instid0(VALU_DEP_1) | instskip(NEXT) | instid1(VALU_DEP_1)
	v_floor_f32_e32 v6, v6
	v_fma_f32 v6, 0xcf800000, v6, |v4|
	v_ashrrev_i32_e32 v4, 31, v4
	s_delay_alu instid0(VALU_DEP_2) | instskip(NEXT) | instid1(VALU_DEP_1)
	v_cvt_u32_f32_e32 v6, v6
	v_xor_b32_e32 v6, v6, v4
	s_delay_alu instid0(VALU_DEP_1)
	v_sub_nc_u32_e32 v6, v6, v4
.LBB175_2572:
	s_or_b32 exec_lo, exec_lo, s2
.LBB175_2573:
	s_mov_b32 s2, -1
.LBB175_2574:
	s_mov_b32 s3, 0
.LBB175_2575:
	s_delay_alu instid0(SALU_CYCLE_1)
	s_and_b32 vcc_lo, exec_lo, s3
	s_cbranch_vccz .LBB175_2606
; %bb.2576:
	v_cmp_lt_i16_e32 vcc_lo, 22, v16
	s_cbranch_vccz .LBB175_2584
; %bb.2577:
	v_cmp_gt_i16_e32 vcc_lo, 24, v16
	s_cbranch_vccnz .LBB175_2587
; %bb.2578:
	v_cmp_lt_i16_e32 vcc_lo, 24, v16
	s_cbranch_vccz .LBB175_2588
; %bb.2579:
	global_load_u8 v4, v[10:11], off
	s_mov_b32 s2, 0
	s_mov_b32 s1, exec_lo
                                        ; implicit-def: $sgpr3
	s_waitcnt vmcnt(0)
	v_cmpx_lt_i16_e32 0x7f, v4
	s_xor_b32 s1, exec_lo, s1
	s_cbranch_execz .LBB175_2600
; %bb.2580:
	v_cmp_ne_u16_e32 vcc_lo, 0x80, v4
	s_mov_b32 s3, 0
	s_and_b32 s2, vcc_lo, exec_lo
	s_or_saveexec_b32 s1, s1
	v_mov_b32_e32 v6, s3
	s_xor_b32 exec_lo, exec_lo, s1
	s_cbranch_execnz .LBB175_2601
.LBB175_2581:
	s_or_b32 exec_lo, exec_lo, s1
	s_and_saveexec_b32 s1, s2
	s_cbranch_execz .LBB175_2583
.LBB175_2582:
	v_and_b32_e32 v6, 0xffff, v4
	v_lshlrev_b32_e32 v4, 24, v4
	s_delay_alu instid0(VALU_DEP_2) | instskip(NEXT) | instid1(VALU_DEP_2)
	v_and_b32_e32 v7, 3, v6
	v_and_b32_e32 v4, 0x80000000, v4
	s_delay_alu instid0(VALU_DEP_2) | instskip(NEXT) | instid1(VALU_DEP_1)
	v_clz_i32_u32_e32 v15, v7
	v_min_u32_e32 v15, 32, v15
	s_delay_alu instid0(VALU_DEP_1) | instskip(SKIP_1) | instid1(VALU_DEP_2)
	v_subrev_nc_u32_e32 v18, 29, v15
	v_sub_nc_u32_e32 v15, 30, v15
	v_lshlrev_b32_e32 v18, v18, v6
	v_bfe_u32 v6, v6, 2, 5
	s_delay_alu instid0(VALU_DEP_2) | instskip(NEXT) | instid1(VALU_DEP_2)
	v_and_b32_e32 v18, 3, v18
	v_cmp_eq_u32_e32 vcc_lo, 0, v6
	s_delay_alu instid0(VALU_DEP_2) | instskip(NEXT) | instid1(VALU_DEP_1)
	v_dual_cndmask_b32 v6, v6, v15 :: v_dual_cndmask_b32 v7, v7, v18
	v_lshl_add_u32 v6, v6, 23, 0x37800000
	s_delay_alu instid0(VALU_DEP_2) | instskip(NEXT) | instid1(VALU_DEP_1)
	v_lshlrev_b32_e32 v7, 21, v7
	v_or3_b32 v4, v4, v6, v7
	s_delay_alu instid0(VALU_DEP_1) | instskip(NEXT) | instid1(VALU_DEP_1)
	v_trunc_f32_e32 v4, v4
	v_mul_f32_e64 v6, 0x2f800000, |v4|
	s_delay_alu instid0(VALU_DEP_1) | instskip(NEXT) | instid1(VALU_DEP_1)
	v_floor_f32_e32 v6, v6
	v_fma_f32 v6, 0xcf800000, v6, |v4|
	v_ashrrev_i32_e32 v4, 31, v4
	s_delay_alu instid0(VALU_DEP_2) | instskip(NEXT) | instid1(VALU_DEP_1)
	v_cvt_u32_f32_e32 v6, v6
	v_xor_b32_e32 v6, v6, v4
	s_delay_alu instid0(VALU_DEP_1)
	v_sub_nc_u32_e32 v6, v6, v4
.LBB175_2583:
	s_or_b32 exec_lo, exec_lo, s1
	s_mov_b32 s1, 0
	s_branch .LBB175_2589
.LBB175_2584:
	s_mov_b32 s1, -1
                                        ; implicit-def: $vgpr6
	s_branch .LBB175_2595
.LBB175_2585:
	s_or_saveexec_b32 s2, s2
	v_mov_b32_e32 v6, s6
	s_xor_b32 exec_lo, exec_lo, s2
	s_cbranch_execz .LBB175_2570
.LBB175_2586:
	v_cmp_ne_u16_e32 vcc_lo, 0, v4
	v_mov_b32_e32 v6, 0
	s_and_not1_b32 s3, s3, exec_lo
	s_and_b32 s6, vcc_lo, exec_lo
	s_delay_alu instid0(SALU_CYCLE_1)
	s_or_b32 s3, s3, s6
	s_or_b32 exec_lo, exec_lo, s2
	s_and_saveexec_b32 s2, s3
	s_cbranch_execnz .LBB175_2571
	s_branch .LBB175_2572
.LBB175_2587:
	s_mov_b32 s1, -1
                                        ; implicit-def: $vgpr6
	s_branch .LBB175_2592
.LBB175_2588:
	s_mov_b32 s1, -1
                                        ; implicit-def: $vgpr6
.LBB175_2589:
	s_delay_alu instid0(SALU_CYCLE_1)
	s_and_b32 vcc_lo, exec_lo, s1
	s_cbranch_vccz .LBB175_2591
; %bb.2590:
	global_load_u8 v4, v[10:11], off
	s_waitcnt vmcnt(0)
	v_lshlrev_b32_e32 v4, 24, v4
	s_delay_alu instid0(VALU_DEP_1) | instskip(NEXT) | instid1(VALU_DEP_1)
	v_and_b32_e32 v6, 0x7f000000, v4
	v_clz_i32_u32_e32 v7, v6
	v_cmp_ne_u32_e32 vcc_lo, 0, v6
	v_add_nc_u32_e32 v18, 0x1000000, v6
	s_delay_alu instid0(VALU_DEP_3) | instskip(NEXT) | instid1(VALU_DEP_1)
	v_min_u32_e32 v7, 32, v7
	v_sub_nc_u32_e64 v7, v7, 4 clamp
	s_delay_alu instid0(VALU_DEP_1) | instskip(SKIP_1) | instid1(VALU_DEP_2)
	v_lshlrev_b32_e32 v15, v7, v6
	v_lshlrev_b32_e32 v7, 23, v7
	v_lshrrev_b32_e32 v15, 4, v15
	s_delay_alu instid0(VALU_DEP_1) | instskip(SKIP_1) | instid1(VALU_DEP_2)
	v_sub_nc_u32_e32 v7, v15, v7
	v_ashrrev_i32_e32 v15, 8, v18
	v_add_nc_u32_e32 v7, 0x3c000000, v7
	s_delay_alu instid0(VALU_DEP_1) | instskip(NEXT) | instid1(VALU_DEP_1)
	v_and_or_b32 v7, 0x7f800000, v15, v7
	v_cndmask_b32_e32 v6, 0, v7, vcc_lo
	s_delay_alu instid0(VALU_DEP_1) | instskip(NEXT) | instid1(VALU_DEP_1)
	v_and_or_b32 v4, 0x80000000, v4, v6
	v_trunc_f32_e32 v4, v4
	s_delay_alu instid0(VALU_DEP_1) | instskip(NEXT) | instid1(VALU_DEP_1)
	v_mul_f32_e64 v6, 0x2f800000, |v4|
	v_floor_f32_e32 v6, v6
	s_delay_alu instid0(VALU_DEP_1) | instskip(SKIP_1) | instid1(VALU_DEP_2)
	v_fma_f32 v6, 0xcf800000, v6, |v4|
	v_ashrrev_i32_e32 v4, 31, v4
	v_cvt_u32_f32_e32 v6, v6
	s_delay_alu instid0(VALU_DEP_1) | instskip(NEXT) | instid1(VALU_DEP_1)
	v_xor_b32_e32 v6, v6, v4
	v_sub_nc_u32_e32 v6, v6, v4
.LBB175_2591:
	s_mov_b32 s1, 0
.LBB175_2592:
	s_delay_alu instid0(SALU_CYCLE_1)
	s_and_not1_b32 vcc_lo, exec_lo, s1
	s_cbranch_vccnz .LBB175_2594
; %bb.2593:
	global_load_u8 v4, v[10:11], off
	s_waitcnt vmcnt(0)
	v_lshlrev_b32_e32 v6, 25, v4
	v_lshlrev_b16 v4, 8, v4
	s_delay_alu instid0(VALU_DEP_1) | instskip(SKIP_1) | instid1(VALU_DEP_2)
	v_and_or_b32 v15, 0x7f00, v4, 0.5
	v_bfe_i32 v4, v4, 0, 16
	v_add_f32_e32 v15, -0.5, v15
	v_lshrrev_b32_e32 v7, 4, v6
	v_cmp_gt_u32_e32 vcc_lo, 0x8000000, v6
	s_delay_alu instid0(VALU_DEP_2) | instskip(NEXT) | instid1(VALU_DEP_1)
	v_or_b32_e32 v7, 0x70000000, v7
	v_mul_f32_e32 v7, 0x7800000, v7
	s_delay_alu instid0(VALU_DEP_1) | instskip(NEXT) | instid1(VALU_DEP_1)
	v_cndmask_b32_e32 v6, v7, v15, vcc_lo
	v_and_or_b32 v4, 0x80000000, v4, v6
	s_delay_alu instid0(VALU_DEP_1) | instskip(NEXT) | instid1(VALU_DEP_1)
	v_trunc_f32_e32 v4, v4
	v_mul_f32_e64 v6, 0x2f800000, |v4|
	s_delay_alu instid0(VALU_DEP_1) | instskip(NEXT) | instid1(VALU_DEP_1)
	v_floor_f32_e32 v6, v6
	v_fma_f32 v6, 0xcf800000, v6, |v4|
	v_ashrrev_i32_e32 v4, 31, v4
	s_delay_alu instid0(VALU_DEP_2) | instskip(NEXT) | instid1(VALU_DEP_1)
	v_cvt_u32_f32_e32 v6, v6
	v_xor_b32_e32 v6, v6, v4
	s_delay_alu instid0(VALU_DEP_1)
	v_sub_nc_u32_e32 v6, v6, v4
.LBB175_2594:
	s_mov_b32 s1, 0
	s_mov_b32 s2, -1
.LBB175_2595:
	s_and_not1_b32 vcc_lo, exec_lo, s1
	s_mov_b32 s1, 0
	s_cbranch_vccnz .LBB175_2606
; %bb.2596:
	v_cmp_lt_i16_e32 vcc_lo, 14, v16
	s_cbranch_vccz .LBB175_2599
; %bb.2597:
	v_cmp_eq_u16_e32 vcc_lo, 15, v16
	s_cbranch_vccz .LBB175_2602
; %bb.2598:
	global_load_u16 v4, v[10:11], off
	s_mov_b32 s0, 0
	s_mov_b32 s2, -1
	s_waitcnt vmcnt(0)
	v_lshlrev_b32_e32 v4, 16, v4
	s_delay_alu instid0(VALU_DEP_1) | instskip(NEXT) | instid1(VALU_DEP_1)
	v_trunc_f32_e32 v4, v4
	v_mul_f32_e64 v6, 0x2f800000, |v4|
	s_delay_alu instid0(VALU_DEP_1) | instskip(NEXT) | instid1(VALU_DEP_1)
	v_floor_f32_e32 v6, v6
	v_fma_f32 v6, 0xcf800000, v6, |v4|
	v_ashrrev_i32_e32 v4, 31, v4
	s_delay_alu instid0(VALU_DEP_2) | instskip(NEXT) | instid1(VALU_DEP_1)
	v_cvt_u32_f32_e32 v6, v6
	v_xor_b32_e32 v6, v6, v4
	s_delay_alu instid0(VALU_DEP_1)
	v_sub_nc_u32_e32 v6, v6, v4
	s_branch .LBB175_2604
.LBB175_2599:
	s_mov_b32 s1, -1
	s_branch .LBB175_2603
.LBB175_2600:
	s_or_saveexec_b32 s1, s1
	v_mov_b32_e32 v6, s3
	s_xor_b32 exec_lo, exec_lo, s1
	s_cbranch_execz .LBB175_2581
.LBB175_2601:
	v_cmp_ne_u16_e32 vcc_lo, 0, v4
	v_mov_b32_e32 v6, 0
	s_and_not1_b32 s2, s2, exec_lo
	s_and_b32 s3, vcc_lo, exec_lo
	s_delay_alu instid0(SALU_CYCLE_1)
	s_or_b32 s2, s2, s3
	s_or_b32 exec_lo, exec_lo, s1
	s_and_saveexec_b32 s1, s2
	s_cbranch_execnz .LBB175_2582
	s_branch .LBB175_2583
.LBB175_2602:
	s_mov_b32 s0, -1
.LBB175_2603:
                                        ; implicit-def: $vgpr6
.LBB175_2604:
	s_and_b32 vcc_lo, exec_lo, s1
	s_mov_b32 s1, 0
	s_cbranch_vccz .LBB175_2606
; %bb.2605:
	v_cmp_ne_u16_e64 s0, 11, v16
	s_mov_b32 s1, -1
                                        ; implicit-def: $vgpr6
.LBB175_2606:
	s_delay_alu instid0(VALU_DEP_1)
	s_and_b32 vcc_lo, exec_lo, s0
	s_cbranch_vccnz .LBB175_2669
; %bb.2607:
	s_and_not1_b32 vcc_lo, exec_lo, s1
	s_cbranch_vccnz .LBB175_2609
.LBB175_2608:
	global_load_u8 v4, v[10:11], off
	s_mov_b32 s2, -1
	s_waitcnt vmcnt(0)
	v_cmp_ne_u16_e32 vcc_lo, 0, v4
	v_cndmask_b32_e64 v6, 0, 1, vcc_lo
.LBB175_2609:
	s_mov_b32 s0, 0
.LBB175_2610:
	s_delay_alu instid0(SALU_CYCLE_1)
	s_and_b32 vcc_lo, exec_lo, s0
	s_cbranch_vccz .LBB175_2659
; %bb.2611:
	v_cmp_gt_i16_e32 vcc_lo, 5, v16
	s_cbranch_vccnz .LBB175_2616
; %bb.2612:
	v_cmp_gt_i16_e32 vcc_lo, 8, v16
	s_cbranch_vccnz .LBB175_2617
	;; [unrolled: 3-line block ×3, first 2 shown]
; %bb.2614:
	v_cmp_lt_i16_e32 vcc_lo, 9, v16
	s_cbranch_vccz .LBB175_2619
; %bb.2615:
	global_load_b64 v[6:7], v[10:11], off
	s_mov_b32 s0, 0
	s_waitcnt vmcnt(0)
	v_trunc_f64_e32 v[6:7], v[6:7]
	s_delay_alu instid0(VALU_DEP_1) | instskip(NEXT) | instid1(VALU_DEP_1)
	v_ldexp_f64 v[18:19], v[6:7], 0xffffffe0
	v_floor_f64_e32 v[18:19], v[18:19]
	s_delay_alu instid0(VALU_DEP_1) | instskip(NEXT) | instid1(VALU_DEP_1)
	v_fma_f64 v[6:7], 0xc1f00000, v[18:19], v[6:7]
	v_cvt_u32_f64_e32 v6, v[6:7]
	s_branch .LBB175_2620
.LBB175_2616:
	s_mov_b32 s0, -1
                                        ; implicit-def: $vgpr6
	s_branch .LBB175_2638
.LBB175_2617:
	s_mov_b32 s0, -1
                                        ; implicit-def: $vgpr6
	s_branch .LBB175_2626
.LBB175_2618:
	s_mov_b32 s0, -1
                                        ; implicit-def: $vgpr6
	s_branch .LBB175_2623
.LBB175_2619:
	s_mov_b32 s0, -1
                                        ; implicit-def: $vgpr6
.LBB175_2620:
	s_delay_alu instid0(SALU_CYCLE_1)
	s_and_not1_b32 vcc_lo, exec_lo, s0
	s_cbranch_vccnz .LBB175_2622
; %bb.2621:
	global_load_b32 v4, v[10:11], off
	s_waitcnt vmcnt(0)
	v_trunc_f32_e32 v4, v4
	s_delay_alu instid0(VALU_DEP_1) | instskip(NEXT) | instid1(VALU_DEP_1)
	v_mul_f32_e64 v6, 0x2f800000, |v4|
	v_floor_f32_e32 v6, v6
	s_delay_alu instid0(VALU_DEP_1) | instskip(SKIP_1) | instid1(VALU_DEP_2)
	v_fma_f32 v6, 0xcf800000, v6, |v4|
	v_ashrrev_i32_e32 v4, 31, v4
	v_cvt_u32_f32_e32 v6, v6
	s_delay_alu instid0(VALU_DEP_1) | instskip(NEXT) | instid1(VALU_DEP_1)
	v_xor_b32_e32 v6, v6, v4
	v_sub_nc_u32_e32 v6, v6, v4
.LBB175_2622:
	s_mov_b32 s0, 0
.LBB175_2623:
	s_delay_alu instid0(SALU_CYCLE_1)
	s_and_not1_b32 vcc_lo, exec_lo, s0
	s_cbranch_vccnz .LBB175_2625
; %bb.2624:
	global_load_b32 v4, v[10:11], off
	s_waitcnt vmcnt(0)
	v_cvt_f32_f16_e32 v4, v4
	s_delay_alu instid0(VALU_DEP_1)
	v_cvt_i32_f32_e32 v6, v4
.LBB175_2625:
	s_mov_b32 s0, 0
.LBB175_2626:
	s_delay_alu instid0(SALU_CYCLE_1)
	s_and_not1_b32 vcc_lo, exec_lo, s0
	s_cbranch_vccnz .LBB175_2637
; %bb.2627:
	v_cmp_gt_i16_e32 vcc_lo, 6, v16
	s_cbranch_vccnz .LBB175_2630
; %bb.2628:
	v_cmp_lt_i16_e32 vcc_lo, 6, v16
	s_cbranch_vccz .LBB175_2631
; %bb.2629:
	global_load_b64 v[6:7], v[10:11], off
	s_mov_b32 s0, 0
	s_waitcnt vmcnt(0)
	v_trunc_f64_e32 v[6:7], v[6:7]
	s_delay_alu instid0(VALU_DEP_1) | instskip(NEXT) | instid1(VALU_DEP_1)
	v_ldexp_f64 v[18:19], v[6:7], 0xffffffe0
	v_floor_f64_e32 v[18:19], v[18:19]
	s_delay_alu instid0(VALU_DEP_1) | instskip(NEXT) | instid1(VALU_DEP_1)
	v_fma_f64 v[6:7], 0xc1f00000, v[18:19], v[6:7]
	v_cvt_u32_f64_e32 v6, v[6:7]
	s_branch .LBB175_2632
.LBB175_2630:
	s_mov_b32 s0, -1
                                        ; implicit-def: $vgpr6
	s_branch .LBB175_2635
.LBB175_2631:
	s_mov_b32 s0, -1
                                        ; implicit-def: $vgpr6
.LBB175_2632:
	s_delay_alu instid0(SALU_CYCLE_1)
	s_and_not1_b32 vcc_lo, exec_lo, s0
	s_cbranch_vccnz .LBB175_2634
; %bb.2633:
	global_load_b32 v4, v[10:11], off
	s_waitcnt vmcnt(0)
	v_trunc_f32_e32 v4, v4
	s_delay_alu instid0(VALU_DEP_1) | instskip(NEXT) | instid1(VALU_DEP_1)
	v_mul_f32_e64 v6, 0x2f800000, |v4|
	v_floor_f32_e32 v6, v6
	s_delay_alu instid0(VALU_DEP_1) | instskip(SKIP_1) | instid1(VALU_DEP_2)
	v_fma_f32 v6, 0xcf800000, v6, |v4|
	v_ashrrev_i32_e32 v4, 31, v4
	v_cvt_u32_f32_e32 v6, v6
	s_delay_alu instid0(VALU_DEP_1) | instskip(NEXT) | instid1(VALU_DEP_1)
	v_xor_b32_e32 v6, v6, v4
	v_sub_nc_u32_e32 v6, v6, v4
.LBB175_2634:
	s_mov_b32 s0, 0
.LBB175_2635:
	s_delay_alu instid0(SALU_CYCLE_1)
	s_and_not1_b32 vcc_lo, exec_lo, s0
	s_cbranch_vccnz .LBB175_2637
; %bb.2636:
	global_load_u16 v4, v[10:11], off
	s_waitcnt vmcnt(0)
	v_cvt_f32_f16_e32 v4, v4
	s_delay_alu instid0(VALU_DEP_1)
	v_cvt_i32_f32_e32 v6, v4
.LBB175_2637:
	s_mov_b32 s0, 0
.LBB175_2638:
	s_delay_alu instid0(SALU_CYCLE_1)
	s_and_not1_b32 vcc_lo, exec_lo, s0
	s_cbranch_vccnz .LBB175_2658
; %bb.2639:
	v_cmp_gt_i16_e32 vcc_lo, 2, v16
	s_cbranch_vccnz .LBB175_2643
; %bb.2640:
	v_cmp_gt_i16_e32 vcc_lo, 3, v16
	s_cbranch_vccnz .LBB175_2644
; %bb.2641:
	v_cmp_lt_i16_e32 vcc_lo, 3, v16
	s_cbranch_vccz .LBB175_2645
; %bb.2642:
	global_load_b64 v[6:7], v[10:11], off
	s_mov_b32 s0, 0
	s_branch .LBB175_2646
.LBB175_2643:
	s_mov_b32 s0, -1
                                        ; implicit-def: $vgpr6
	s_branch .LBB175_2652
.LBB175_2644:
	s_mov_b32 s0, -1
                                        ; implicit-def: $vgpr6
	s_branch .LBB175_2649
.LBB175_2645:
	s_mov_b32 s0, -1
                                        ; implicit-def: $vgpr6
.LBB175_2646:
	s_delay_alu instid0(SALU_CYCLE_1)
	s_and_not1_b32 vcc_lo, exec_lo, s0
	s_cbranch_vccnz .LBB175_2648
; %bb.2647:
	global_load_b32 v6, v[10:11], off
.LBB175_2648:
	s_mov_b32 s0, 0
.LBB175_2649:
	s_delay_alu instid0(SALU_CYCLE_1)
	s_and_not1_b32 vcc_lo, exec_lo, s0
	s_cbranch_vccnz .LBB175_2651
; %bb.2650:
	global_load_u16 v6, v[10:11], off
.LBB175_2651:
	s_mov_b32 s0, 0
.LBB175_2652:
	s_delay_alu instid0(SALU_CYCLE_1)
	s_and_not1_b32 vcc_lo, exec_lo, s0
	s_cbranch_vccnz .LBB175_2658
; %bb.2653:
	v_cmp_lt_i16_e32 vcc_lo, 0, v16
	s_mov_b32 s0, 0
	s_cbranch_vccz .LBB175_2655
; %bb.2654:
	global_load_u8 v6, v[10:11], off
	s_branch .LBB175_2656
.LBB175_2655:
	s_mov_b32 s0, -1
                                        ; implicit-def: $vgpr6
.LBB175_2656:
	s_delay_alu instid0(SALU_CYCLE_1)
	s_and_not1_b32 vcc_lo, exec_lo, s0
	s_cbranch_vccnz .LBB175_2658
; %bb.2657:
	global_load_u8 v6, v[10:11], off
.LBB175_2658:
	s_mov_b32 s2, -1
.LBB175_2659:
	s_delay_alu instid0(SALU_CYCLE_1)
	s_and_not1_b32 vcc_lo, exec_lo, s2
	s_cbranch_vccnz .LBB175_3049
; %bb.2660:
	s_load_b64 s[2:3], s[20:21], 0x1a0
	v_cvt_f32_ubyte0_e32 v4, v5
	v_lshlrev_b32_e32 v5, 16, v14
	v_add_co_u32 v3, s1, s4, v3
	s_mov_b32 s6, 0
	s_delay_alu instid0(VALU_DEP_2) | instskip(SKIP_1) | instid1(VALU_DEP_1)
	v_mul_f32_e32 v4, v5, v4
	s_waitcnt lgkmcnt(0)
	v_mul_f32_e32 v5, s2, v4
	s_and_b32 s3, s3, 0xff
	s_delay_alu instid0(SALU_CYCLE_1) | instskip(NEXT) | instid1(VALU_DEP_2)
	v_cmp_lt_i16_e64 s0, s3, 11
	v_bfe_u32 v4, v5, 16, 1
	v_cmp_o_f32_e32 vcc_lo, v5, v5
	s_delay_alu instid0(VALU_DEP_2) | instskip(SKIP_1) | instid1(VALU_DEP_1)
	v_add3_u32 v4, v5, v4, 0x7fff
	s_waitcnt vmcnt(0)
	v_lshrrev_b32_e32 v7, 16, v4
	v_add_co_ci_u32_e64 v4, null, s5, 0, s1
	s_delay_alu instid0(VALU_DEP_2)
	v_cndmask_b32_e32 v5, 0x7fc0, v7, vcc_lo
	s_and_b32 vcc_lo, exec_lo, s0
	s_mov_b32 s0, -1
	s_cbranch_vccnz .LBB175_2743
; %bb.2661:
	v_cmp_gt_i16_e64 s0, s3, 25
	s_mov_b32 s7, -1
	s_mov_b32 s1, 0
	s_delay_alu instid0(VALU_DEP_1)
	s_and_b32 vcc_lo, exec_lo, s0
	s_mov_b32 s0, 0
	s_cbranch_vccz .LBB175_2699
; %bb.2662:
	v_cmp_gt_i16_e64 s0, s3, 28
	s_delay_alu instid0(VALU_DEP_1)
	s_and_b32 vcc_lo, exec_lo, s0
	s_cbranch_vccz .LBB175_2667
; %bb.2663:
	v_cmp_gt_i16_e64 s0, s3, 43
	s_delay_alu instid0(VALU_DEP_1)
	s_and_b32 vcc_lo, exec_lo, s0
	;; [unrolled: 5-line block ×3, first 2 shown]
	s_cbranch_vccz .LBB175_2671
; %bb.2665:
	v_cmp_eq_u16_e64 s6, s3, 46
	s_mov_b32 s0, -1
	s_mov_b32 s7, 0
	s_delay_alu instid0(VALU_DEP_1)
	s_and_b32 vcc_lo, exec_lo, s6
	s_mov_b32 s6, 0
	s_cbranch_vccz .LBB175_2672
; %bb.2666:
	v_and_b32_e32 v7, 0xffff, v5
	s_mov_b32 s0, 0
	s_mov_b32 s6, -1
	global_store_b32 v[3:4], v7, off
	s_branch .LBB175_2672
.LBB175_2667:
	s_mov_b32 s0, 0
	s_branch .LBB175_2682
.LBB175_2668:
	s_mov_b32 s0, 0
	s_branch .LBB175_2678
.LBB175_2669:
	s_cbranch_execnz .LBB175_2794
; %bb.2670:
	s_or_b32 s10, s10, exec_lo
                                        ; implicit-def: $vgpr6
	s_cbranch_execz .LBB175_2608
	s_branch .LBB175_2609
.LBB175_2671:
	s_mov_b32 s0, 0
.LBB175_2672:
	s_and_b32 vcc_lo, exec_lo, s7
	s_cbranch_vccz .LBB175_2677
; %bb.2673:
	v_cmp_eq_u16_e64 s0, s3, 44
	s_delay_alu instid0(VALU_DEP_1)
	s_and_b32 vcc_lo, exec_lo, s0
	s_mov_b32 s0, -1
	s_cbranch_vccz .LBB175_2677
; %bb.2674:
	v_and_b32_e32 v7, 0xffff, v5
	v_mov_b32_e32 v10, 0xff
	s_mov_b32 s6, exec_lo
	s_delay_alu instid0(VALU_DEP_2) | instskip(NEXT) | instid1(VALU_DEP_1)
	v_bfe_u32 v11, v7, 7, 8
	v_cmpx_ne_u32_e32 0xff, v11
; %bb.2675:
	v_lshlrev_b32_e32 v10, 16, v7
	v_and_b32_e32 v14, 64, v7
	v_lshrrev_b32_e32 v7, 7, v7
	s_delay_alu instid0(VALU_DEP_3) | instskip(NEXT) | instid1(VALU_DEP_3)
	v_and_or_b32 v10, 0x3f0000, v10, v11
	v_cmp_ne_u32_e32 vcc_lo, 0, v14
	s_delay_alu instid0(VALU_DEP_2) | instskip(NEXT) | instid1(VALU_DEP_1)
	v_cmp_ne_u32_e64 s0, 0, v10
	s_and_b32 s0, vcc_lo, s0
	s_delay_alu instid0(SALU_CYCLE_1) | instskip(NEXT) | instid1(VALU_DEP_1)
	v_cndmask_b32_e64 v10, 0, 1, s0
	v_add_nc_u32_e32 v10, v7, v10
; %bb.2676:
	s_or_b32 exec_lo, exec_lo, s6
	s_mov_b32 s0, 0
	s_mov_b32 s6, -1
	global_store_b8 v[3:4], v10, off
.LBB175_2677:
	s_mov_b32 s7, 0
.LBB175_2678:
	s_delay_alu instid0(SALU_CYCLE_1)
	s_and_b32 vcc_lo, exec_lo, s7
	s_cbranch_vccz .LBB175_2681
; %bb.2679:
	v_cmp_eq_u16_e64 s0, s3, 29
	s_delay_alu instid0(VALU_DEP_1)
	s_and_b32 vcc_lo, exec_lo, s0
	s_mov_b32 s0, -1
	s_cbranch_vccz .LBB175_2681
; %bb.2680:
	v_lshlrev_b32_e32 v7, 16, v5
	s_mov_b32 s0, 0
	s_mov_b32 s6, -1
	s_mov_b32 s7, 0
	s_delay_alu instid0(VALU_DEP_1) | instskip(NEXT) | instid1(VALU_DEP_1)
	v_trunc_f32_e32 v7, v7
	v_mul_f32_e32 v10, 0x2f800000, v7
	s_delay_alu instid0(VALU_DEP_1) | instskip(NEXT) | instid1(VALU_DEP_1)
	v_floor_f32_e32 v10, v10
	v_fmamk_f32 v7, v10, 0xcf800000, v7
	v_cvt_u32_f32_e32 v11, v10
	s_delay_alu instid0(VALU_DEP_2)
	v_cvt_u32_f32_e32 v10, v7
	global_store_b64 v[3:4], v[10:11], off
	s_branch .LBB175_2682
.LBB175_2681:
	s_mov_b32 s7, 0
.LBB175_2682:
	s_delay_alu instid0(SALU_CYCLE_1)
	s_and_b32 vcc_lo, exec_lo, s7
	s_cbranch_vccz .LBB175_2698
; %bb.2683:
	v_cmp_lt_i16_e64 s6, s3, 27
	s_delay_alu instid0(VALU_DEP_1)
	s_and_b32 vcc_lo, exec_lo, s6
	s_mov_b32 s6, -1
	s_cbranch_vccnz .LBB175_2689
; %bb.2684:
	v_cmp_gt_i16_e64 s6, s3, 27
	s_delay_alu instid0(VALU_DEP_1)
	s_and_b32 vcc_lo, exec_lo, s6
	s_mov_b32 s6, -1
	s_cbranch_vccz .LBB175_2686
; %bb.2685:
	v_lshlrev_b32_e32 v7, 16, v5
	s_mov_b32 s6, 0
	s_delay_alu instid0(VALU_DEP_1)
	v_cvt_u32_f32_e32 v7, v7
	global_store_b32 v[3:4], v7, off
.LBB175_2686:
	s_and_not1_b32 vcc_lo, exec_lo, s6
	s_cbranch_vccnz .LBB175_2688
; %bb.2687:
	v_lshlrev_b32_e32 v7, 16, v5
	s_delay_alu instid0(VALU_DEP_1)
	v_cvt_u32_f32_e32 v7, v7
	global_store_b16 v[3:4], v7, off
.LBB175_2688:
	s_mov_b32 s6, 0
.LBB175_2689:
	s_delay_alu instid0(SALU_CYCLE_1)
	s_and_not1_b32 vcc_lo, exec_lo, s6
	s_cbranch_vccnz .LBB175_2697
; %bb.2690:
	v_dual_mov_b32 v14, 0x80 :: v_dual_lshlrev_b32 v11, 16, v5
	s_mov_b32 s6, exec_lo
	s_delay_alu instid0(VALU_DEP_1) | instskip(NEXT) | instid1(VALU_DEP_1)
	v_and_b32_e32 v10, 0x7fffffff, v11
	v_cmpx_gt_u32_e32 0x43800000, v10
	s_cbranch_execz .LBB175_2696
; %bb.2691:
	v_and_b32_e32 v7, 0xffff, v5
	v_cmp_lt_u32_e32 vcc_lo, 0x3bffffff, v10
	s_mov_b32 s7, 0
                                        ; implicit-def: $vgpr10
	s_and_saveexec_b32 s11, vcc_lo
	s_delay_alu instid0(SALU_CYCLE_1)
	s_xor_b32 s11, exec_lo, s11
	s_cbranch_execz .LBB175_2791
; %bb.2692:
	v_bfe_u32 v10, v7, 4, 1
	s_mov_b32 s7, exec_lo
	s_delay_alu instid0(VALU_DEP_1) | instskip(NEXT) | instid1(VALU_DEP_1)
	v_add3_u32 v10, v11, v10, 0x487ffff
                                        ; implicit-def: $vgpr11
	v_lshrrev_b32_e32 v10, 20, v10
	s_or_saveexec_b32 s11, s11
                                        ; implicit-def: $sgpr12
	s_delay_alu instid0(SALU_CYCLE_1)
	s_xor_b32 exec_lo, exec_lo, s11
	s_cbranch_execnz .LBB175_2792
.LBB175_2693:
	s_or_b32 exec_lo, exec_lo, s11
	v_mov_b32_e32 v14, s12
	s_and_saveexec_b32 s11, s7
.LBB175_2694:
	v_lshrrev_b32_e32 v7, 8, v7
	s_delay_alu instid0(VALU_DEP_1)
	v_and_or_b32 v14, 0x80, v7, v10
.LBB175_2695:
	s_or_b32 exec_lo, exec_lo, s11
.LBB175_2696:
	s_delay_alu instid0(SALU_CYCLE_1)
	s_or_b32 exec_lo, exec_lo, s6
	global_store_b8 v[3:4], v14, off
.LBB175_2697:
	s_mov_b32 s6, -1
.LBB175_2698:
	s_mov_b32 s7, 0
.LBB175_2699:
	s_delay_alu instid0(SALU_CYCLE_1)
	s_and_b32 vcc_lo, exec_lo, s7
	s_cbranch_vccz .LBB175_2739
; %bb.2700:
	v_cmp_gt_i16_e64 s1, s3, 22
	s_delay_alu instid0(VALU_DEP_1)
	s_and_b32 vcc_lo, exec_lo, s1
	s_mov_b32 s1, -1
	s_cbranch_vccz .LBB175_2732
; %bb.2701:
	v_cmp_lt_i16_e64 s1, s3, 24
	s_delay_alu instid0(VALU_DEP_1)
	s_and_b32 vcc_lo, exec_lo, s1
	s_mov_b32 s1, -1
	s_cbranch_vccnz .LBB175_2721
; %bb.2702:
	v_cmp_gt_i16_e64 s1, s3, 24
	s_delay_alu instid0(VALU_DEP_1)
	s_and_b32 vcc_lo, exec_lo, s1
	s_mov_b32 s1, -1
	s_cbranch_vccz .LBB175_2710
; %bb.2703:
	v_dual_mov_b32 v14, 0x80 :: v_dual_lshlrev_b32 v11, 16, v5
	s_mov_b32 s1, exec_lo
	s_delay_alu instid0(VALU_DEP_1) | instskip(NEXT) | instid1(VALU_DEP_1)
	v_and_b32_e32 v10, 0x7fffffff, v11
	v_cmpx_gt_u32_e32 0x47800000, v10
	s_cbranch_execz .LBB175_2709
; %bb.2704:
	v_and_b32_e32 v7, 0xffff, v5
	v_cmp_lt_u32_e32 vcc_lo, 0x37ffffff, v10
	s_mov_b32 s6, 0
                                        ; implicit-def: $vgpr10
	s_and_saveexec_b32 s7, vcc_lo
	s_delay_alu instid0(SALU_CYCLE_1)
	s_xor_b32 s7, exec_lo, s7
	s_cbranch_execz .LBB175_2798
; %bb.2705:
	v_bfe_u32 v10, v7, 5, 1
	s_mov_b32 s6, exec_lo
	s_delay_alu instid0(VALU_DEP_1) | instskip(NEXT) | instid1(VALU_DEP_1)
	v_add3_u32 v10, v11, v10, 0x88fffff
                                        ; implicit-def: $vgpr11
	v_lshrrev_b32_e32 v10, 21, v10
	s_or_saveexec_b32 s7, s7
                                        ; implicit-def: $sgpr11
	s_delay_alu instid0(SALU_CYCLE_1)
	s_xor_b32 exec_lo, exec_lo, s7
	s_cbranch_execnz .LBB175_2799
.LBB175_2706:
	s_or_b32 exec_lo, exec_lo, s7
	v_mov_b32_e32 v14, s11
	s_and_saveexec_b32 s7, s6
.LBB175_2707:
	v_lshrrev_b32_e32 v7, 8, v7
	s_delay_alu instid0(VALU_DEP_1)
	v_and_or_b32 v14, 0x80, v7, v10
.LBB175_2708:
	s_or_b32 exec_lo, exec_lo, s7
.LBB175_2709:
	s_delay_alu instid0(SALU_CYCLE_1)
	s_or_b32 exec_lo, exec_lo, s1
	s_mov_b32 s1, 0
	global_store_b8 v[3:4], v14, off
.LBB175_2710:
	s_and_b32 vcc_lo, exec_lo, s1
	s_cbranch_vccz .LBB175_2720
; %bb.2711:
	v_lshlrev_b32_e32 v11, 16, v5
	v_and_b32_e32 v7, 0xffff, v5
	s_mov_b32 s1, exec_lo
                                        ; implicit-def: $vgpr10
	s_delay_alu instid0(VALU_DEP_2) | instskip(NEXT) | instid1(VALU_DEP_1)
	v_and_b32_e32 v14, 0x7fffffff, v11
	v_cmpx_gt_u32_e32 0x43f00000, v14
	s_xor_b32 s1, exec_lo, s1
	s_cbranch_execz .LBB175_2717
; %bb.2712:
	s_mov_b32 s6, exec_lo
                                        ; implicit-def: $vgpr10
	v_cmpx_lt_u32_e32 0x3c7fffff, v14
	s_xor_b32 s6, exec_lo, s6
; %bb.2713:
	v_bfe_u32 v10, v7, 4, 1
	s_delay_alu instid0(VALU_DEP_1) | instskip(NEXT) | instid1(VALU_DEP_1)
	v_add3_u32 v10, v11, v10, 0x407ffff
	v_and_b32_e32 v11, 0xff00000, v10
	v_lshrrev_b32_e32 v10, 20, v10
	s_delay_alu instid0(VALU_DEP_2) | instskip(NEXT) | instid1(VALU_DEP_2)
	v_cmp_ne_u32_e32 vcc_lo, 0x7f00000, v11
                                        ; implicit-def: $vgpr11
	v_cndmask_b32_e32 v10, 0x7e, v10, vcc_lo
; %bb.2714:
	s_and_not1_saveexec_b32 s6, s6
; %bb.2715:
	v_add_f32_e64 v10, 0x46800000, |v11|
; %bb.2716:
	s_or_b32 exec_lo, exec_lo, s6
                                        ; implicit-def: $vgpr14
.LBB175_2717:
	s_and_not1_saveexec_b32 s1, s1
; %bb.2718:
	v_mov_b32_e32 v10, 0x7f
	v_cmp_lt_u32_e32 vcc_lo, 0x7f800000, v14
	s_delay_alu instid0(VALU_DEP_2)
	v_cndmask_b32_e32 v10, 0x7e, v10, vcc_lo
; %bb.2719:
	s_or_b32 exec_lo, exec_lo, s1
	v_lshrrev_b32_e32 v7, 8, v7
	s_delay_alu instid0(VALU_DEP_1)
	v_and_or_b32 v7, 0x80, v7, v10
	global_store_b8 v[3:4], v7, off
.LBB175_2720:
	s_mov_b32 s1, 0
.LBB175_2721:
	s_delay_alu instid0(SALU_CYCLE_1)
	s_and_not1_b32 vcc_lo, exec_lo, s1
	s_cbranch_vccnz .LBB175_2731
; %bb.2722:
	v_lshlrev_b32_e32 v11, 16, v5
	v_and_b32_e32 v7, 0xffff, v5
	s_mov_b32 s1, exec_lo
                                        ; implicit-def: $vgpr10
	s_delay_alu instid0(VALU_DEP_2) | instskip(NEXT) | instid1(VALU_DEP_1)
	v_and_b32_e32 v14, 0x7fffffff, v11
	v_cmpx_gt_u32_e32 0x47800000, v14
	s_xor_b32 s1, exec_lo, s1
	s_cbranch_execz .LBB175_2728
; %bb.2723:
	s_mov_b32 s6, exec_lo
                                        ; implicit-def: $vgpr10
	v_cmpx_lt_u32_e32 0x387fffff, v14
	s_xor_b32 s6, exec_lo, s6
; %bb.2724:
	v_bfe_u32 v10, v7, 5, 1
	s_delay_alu instid0(VALU_DEP_1) | instskip(NEXT) | instid1(VALU_DEP_1)
	v_add3_u32 v10, v11, v10, 0x80fffff
                                        ; implicit-def: $vgpr11
	v_lshrrev_b32_e32 v10, 21, v10
; %bb.2725:
	s_and_not1_saveexec_b32 s6, s6
; %bb.2726:
	v_add_f32_e64 v10, 0x43000000, |v11|
; %bb.2727:
	s_or_b32 exec_lo, exec_lo, s6
                                        ; implicit-def: $vgpr14
.LBB175_2728:
	s_and_not1_saveexec_b32 s1, s1
; %bb.2729:
	v_mov_b32_e32 v10, 0x7f
	v_cmp_lt_u32_e32 vcc_lo, 0x7f800000, v14
	s_delay_alu instid0(VALU_DEP_2)
	v_cndmask_b32_e32 v10, 0x7c, v10, vcc_lo
; %bb.2730:
	s_or_b32 exec_lo, exec_lo, s1
	v_lshrrev_b32_e32 v7, 8, v7
	s_delay_alu instid0(VALU_DEP_1)
	v_and_or_b32 v7, 0x80, v7, v10
	global_store_b8 v[3:4], v7, off
.LBB175_2731:
	s_mov_b32 s1, 0
	s_mov_b32 s6, -1
.LBB175_2732:
	s_and_not1_b32 vcc_lo, exec_lo, s1
	s_mov_b32 s1, 0
	s_cbranch_vccnz .LBB175_2739
; %bb.2733:
	v_cmp_gt_i16_e64 s1, s3, 14
	s_delay_alu instid0(VALU_DEP_1)
	s_and_b32 vcc_lo, exec_lo, s1
	s_mov_b32 s1, -1
	s_cbranch_vccz .LBB175_2737
; %bb.2734:
	v_cmp_eq_u16_e64 s0, s3, 15
	s_delay_alu instid0(VALU_DEP_1)
	s_and_b32 vcc_lo, exec_lo, s0
	s_mov_b32 s0, -1
	s_cbranch_vccz .LBB175_2736
; %bb.2735:
	s_mov_b32 s0, 0
	s_mov_b32 s6, -1
	global_store_b16 v[3:4], v5, off
.LBB175_2736:
	s_mov_b32 s1, 0
.LBB175_2737:
	s_delay_alu instid0(SALU_CYCLE_1)
	s_and_b32 vcc_lo, exec_lo, s1
	s_mov_b32 s1, 0
	s_cbranch_vccz .LBB175_2739
; %bb.2738:
	v_cmp_ne_u16_e64 s0, s3, 11
	s_mov_b32 s1, -1
.LBB175_2739:
	s_delay_alu instid0(VALU_DEP_1)
	s_and_b32 vcc_lo, exec_lo, s0
	s_cbranch_vccnz .LBB175_2796
; %bb.2740:
	s_and_not1_b32 vcc_lo, exec_lo, s1
	s_cbranch_vccnz .LBB175_2742
.LBB175_2741:
	v_and_b32_e32 v7, 0x7fff, v5
	s_mov_b32 s6, -1
	s_delay_alu instid0(VALU_DEP_1)
	v_cmp_ne_u16_e32 vcc_lo, 0, v7
	v_cndmask_b32_e64 v7, 0, 1, vcc_lo
	global_store_b8 v[3:4], v7, off
.LBB175_2742:
	s_mov_b32 s0, 0
.LBB175_2743:
	s_delay_alu instid0(SALU_CYCLE_1)
	s_and_b32 vcc_lo, exec_lo, s0
	s_cbranch_vccz .LBB175_2782
; %bb.2744:
	v_cmp_lt_i16_e64 s0, s3, 5
	s_delay_alu instid0(VALU_DEP_1)
	s_and_b32 vcc_lo, exec_lo, s0
	s_mov_b32 s0, -1
	s_cbranch_vccnz .LBB175_2765
; %bb.2745:
	v_cmp_lt_i16_e64 s0, s3, 8
	s_delay_alu instid0(VALU_DEP_1)
	s_and_b32 vcc_lo, exec_lo, s0
	s_mov_b32 s0, -1
	s_cbranch_vccnz .LBB175_2755
; %bb.2746:
	v_cmp_lt_i16_e64 s0, s3, 9
	s_delay_alu instid0(VALU_DEP_1)
	s_and_b32 vcc_lo, exec_lo, s0
	s_mov_b32 s0, -1
	s_cbranch_vccnz .LBB175_2752
; %bb.2747:
	v_cmp_gt_i16_e64 s0, s3, 9
	s_delay_alu instid0(VALU_DEP_1)
	s_and_b32 vcc_lo, exec_lo, s0
	s_mov_b32 s0, -1
	s_cbranch_vccz .LBB175_2749
; %bb.2748:
	v_dual_mov_b32 v20, 0 :: v_dual_lshlrev_b32 v7, 16, v5
	s_mov_b32 s0, 0
	s_delay_alu instid0(VALU_DEP_1) | instskip(NEXT) | instid1(VALU_DEP_2)
	v_cvt_f64_f32_e32 v[18:19], v7
	v_mov_b32_e32 v21, v20
	global_store_b128 v[3:4], v[18:21], off
.LBB175_2749:
	s_and_not1_b32 vcc_lo, exec_lo, s0
	s_cbranch_vccnz .LBB175_2751
; %bb.2750:
	v_dual_mov_b32 v11, 0 :: v_dual_lshlrev_b32 v10, 16, v5
	global_store_b64 v[3:4], v[10:11], off
.LBB175_2751:
	s_mov_b32 s0, 0
.LBB175_2752:
	s_delay_alu instid0(SALU_CYCLE_1)
	s_and_not1_b32 vcc_lo, exec_lo, s0
	s_cbranch_vccnz .LBB175_2754
; %bb.2753:
	v_lshlrev_b32_e32 v7, 16, v5
	s_delay_alu instid0(VALU_DEP_1) | instskip(NEXT) | instid1(VALU_DEP_1)
	v_cvt_f16_f32_e32 v7, v7
	v_and_b32_e32 v7, 0xffff, v7
	global_store_b32 v[3:4], v7, off
.LBB175_2754:
	s_mov_b32 s0, 0
.LBB175_2755:
	s_delay_alu instid0(SALU_CYCLE_1)
	s_and_not1_b32 vcc_lo, exec_lo, s0
	s_cbranch_vccnz .LBB175_2764
; %bb.2756:
	v_cmp_lt_i16_e64 s0, s3, 6
	s_delay_alu instid0(VALU_DEP_1)
	s_and_b32 vcc_lo, exec_lo, s0
	s_mov_b32 s0, -1
	s_cbranch_vccnz .LBB175_2762
; %bb.2757:
	v_cmp_gt_i16_e64 s0, s3, 6
	s_delay_alu instid0(VALU_DEP_1)
	s_and_b32 vcc_lo, exec_lo, s0
	s_mov_b32 s0, -1
	s_cbranch_vccz .LBB175_2759
; %bb.2758:
	v_lshlrev_b32_e32 v7, 16, v5
	s_mov_b32 s0, 0
	s_delay_alu instid0(VALU_DEP_1)
	v_cvt_f64_f32_e32 v[10:11], v7
	global_store_b64 v[3:4], v[10:11], off
.LBB175_2759:
	s_and_not1_b32 vcc_lo, exec_lo, s0
	s_cbranch_vccnz .LBB175_2761
; %bb.2760:
	v_lshlrev_b32_e32 v7, 16, v5
	global_store_b32 v[3:4], v7, off
.LBB175_2761:
	s_mov_b32 s0, 0
.LBB175_2762:
	s_delay_alu instid0(SALU_CYCLE_1)
	s_and_not1_b32 vcc_lo, exec_lo, s0
	s_cbranch_vccnz .LBB175_2764
; %bb.2763:
	v_lshlrev_b32_e32 v7, 16, v5
	s_delay_alu instid0(VALU_DEP_1)
	v_cvt_f16_f32_e32 v7, v7
	global_store_b16 v[3:4], v7, off
.LBB175_2764:
	s_mov_b32 s0, 0
.LBB175_2765:
	s_delay_alu instid0(SALU_CYCLE_1)
	s_and_not1_b32 vcc_lo, exec_lo, s0
	s_cbranch_vccnz .LBB175_2781
; %bb.2766:
	v_cmp_lt_i16_e64 s0, s3, 2
	s_delay_alu instid0(VALU_DEP_1)
	s_and_b32 vcc_lo, exec_lo, s0
	s_mov_b32 s0, -1
	s_cbranch_vccnz .LBB175_2776
; %bb.2767:
	v_cmp_lt_i16_e64 s0, s3, 3
	s_delay_alu instid0(VALU_DEP_1)
	s_and_b32 vcc_lo, exec_lo, s0
	s_mov_b32 s0, -1
	s_cbranch_vccnz .LBB175_2773
; %bb.2768:
	v_cmp_gt_i16_e64 s0, s3, 3
	s_delay_alu instid0(VALU_DEP_1)
	s_and_b32 vcc_lo, exec_lo, s0
	s_mov_b32 s0, -1
	s_cbranch_vccz .LBB175_2770
; %bb.2769:
	v_lshlrev_b32_e32 v7, 16, v5
	s_mov_b32 s0, 0
	s_delay_alu instid0(VALU_DEP_1) | instskip(NEXT) | instid1(VALU_DEP_1)
	v_trunc_f32_e32 v7, v7
	v_mul_f32_e64 v10, 0x2f800000, |v7|
	s_delay_alu instid0(VALU_DEP_1) | instskip(NEXT) | instid1(VALU_DEP_1)
	v_floor_f32_e32 v10, v10
	v_fma_f32 v11, 0xcf800000, v10, |v7|
	v_ashrrev_i32_e32 v7, 31, v7
	v_cvt_u32_f32_e32 v10, v10
	s_delay_alu instid0(VALU_DEP_3) | instskip(NEXT) | instid1(VALU_DEP_2)
	v_cvt_u32_f32_e32 v11, v11
	v_xor_b32_e32 v14, v10, v7
	s_delay_alu instid0(VALU_DEP_2) | instskip(NEXT) | instid1(VALU_DEP_1)
	v_xor_b32_e32 v11, v11, v7
	v_sub_co_u32 v10, vcc_lo, v11, v7
	s_delay_alu instid0(VALU_DEP_3)
	v_sub_co_ci_u32_e32 v11, vcc_lo, v14, v7, vcc_lo
	global_store_b64 v[3:4], v[10:11], off
.LBB175_2770:
	s_and_not1_b32 vcc_lo, exec_lo, s0
	s_cbranch_vccnz .LBB175_2772
; %bb.2771:
	v_lshlrev_b32_e32 v7, 16, v5
	s_delay_alu instid0(VALU_DEP_1)
	v_cvt_i32_f32_e32 v7, v7
	global_store_b32 v[3:4], v7, off
.LBB175_2772:
	s_mov_b32 s0, 0
.LBB175_2773:
	s_delay_alu instid0(SALU_CYCLE_1)
	s_and_not1_b32 vcc_lo, exec_lo, s0
	s_cbranch_vccnz .LBB175_2775
; %bb.2774:
	v_lshlrev_b32_e32 v7, 16, v5
	s_delay_alu instid0(VALU_DEP_1)
	v_cvt_i32_f32_e32 v7, v7
	global_store_b16 v[3:4], v7, off
.LBB175_2775:
	s_mov_b32 s0, 0
.LBB175_2776:
	s_delay_alu instid0(SALU_CYCLE_1)
	s_and_not1_b32 vcc_lo, exec_lo, s0
	s_cbranch_vccnz .LBB175_2781
; %bb.2777:
	v_cmp_gt_i16_e64 s0, s3, 0
	s_delay_alu instid0(VALU_DEP_1)
	s_and_b32 vcc_lo, exec_lo, s0
	s_mov_b32 s0, -1
	s_cbranch_vccz .LBB175_2779
; %bb.2778:
	v_lshlrev_b32_e32 v7, 16, v5
	s_mov_b32 s0, 0
	s_delay_alu instid0(VALU_DEP_1)
	v_cvt_i32_f32_e32 v7, v7
	global_store_b8 v[3:4], v7, off
.LBB175_2779:
	s_and_not1_b32 vcc_lo, exec_lo, s0
	s_cbranch_vccnz .LBB175_2781
; %bb.2780:
	v_lshlrev_b32_e32 v5, 16, v5
	s_delay_alu instid0(VALU_DEP_1) | instskip(NEXT) | instid1(VALU_DEP_1)
	v_trunc_f32_e32 v5, v5
	v_mul_f32_e64 v7, 0x2f800000, |v5|
	s_delay_alu instid0(VALU_DEP_1) | instskip(NEXT) | instid1(VALU_DEP_1)
	v_floor_f32_e32 v7, v7
	v_fma_f32 v7, 0xcf800000, v7, |v5|
	v_ashrrev_i32_e32 v5, 31, v5
	s_delay_alu instid0(VALU_DEP_2) | instskip(NEXT) | instid1(VALU_DEP_1)
	v_cvt_u32_f32_e32 v7, v7
	v_xor_b32_e32 v7, v7, v5
	s_delay_alu instid0(VALU_DEP_1)
	v_sub_nc_u32_e32 v5, v7, v5
	global_store_b8 v[3:4], v5, off
.LBB175_2781:
	s_mov_b32 s6, -1
.LBB175_2782:
	s_delay_alu instid0(SALU_CYCLE_1)
	s_and_not1_b32 vcc_lo, exec_lo, s6
	s_cbranch_vccnz .LBB175_3049
; %bb.2783:
	v_cvt_f32_ubyte0_e32 v3, v8
	v_lshlrev_b32_e32 v4, 16, v17
	v_cmp_lt_i16_e64 s0, s3, 11
	v_add_co_u32 v2, s1, s4, v2
	s_mov_b32 s6, 0
	s_delay_alu instid0(VALU_DEP_3) | instskip(NEXT) | instid1(VALU_DEP_1)
	v_mul_f32_e32 v3, v4, v3
	v_mul_f32_e32 v4, s2, v3
	s_delay_alu instid0(VALU_DEP_1) | instskip(SKIP_1) | instid1(VALU_DEP_2)
	v_bfe_u32 v3, v4, 16, 1
	v_cmp_o_f32_e32 vcc_lo, v4, v4
	v_add3_u32 v3, v4, v3, 0x7fff
	s_delay_alu instid0(VALU_DEP_1) | instskip(SKIP_1) | instid1(VALU_DEP_2)
	v_lshrrev_b32_e32 v5, 16, v3
	v_add_co_ci_u32_e64 v3, null, s5, 0, s1
	v_cndmask_b32_e32 v4, 0x7fc0, v5, vcc_lo
	s_and_b32 vcc_lo, exec_lo, s0
	s_mov_b32 s0, -1
	s_cbranch_vccnz .LBB175_2872
; %bb.2784:
	v_cmp_gt_i16_e64 s0, s3, 25
	s_mov_b32 s7, -1
	s_mov_b32 s1, 0
	s_delay_alu instid0(VALU_DEP_1)
	s_and_b32 vcc_lo, exec_lo, s0
	s_mov_b32 s0, 0
	s_cbranch_vccz .LBB175_2828
; %bb.2785:
	v_cmp_gt_i16_e64 s0, s3, 28
	s_delay_alu instid0(VALU_DEP_1)
	s_and_b32 vcc_lo, exec_lo, s0
	s_cbranch_vccz .LBB175_2790
; %bb.2786:
	v_cmp_gt_i16_e64 s0, s3, 43
	s_delay_alu instid0(VALU_DEP_1)
	s_and_b32 vcc_lo, exec_lo, s0
	;; [unrolled: 5-line block ×3, first 2 shown]
	s_cbranch_vccz .LBB175_2800
; %bb.2788:
	v_cmp_eq_u16_e64 s6, s3, 46
	s_mov_b32 s0, -1
	s_mov_b32 s7, 0
	s_delay_alu instid0(VALU_DEP_1)
	s_and_b32 vcc_lo, exec_lo, s6
	s_mov_b32 s6, 0
	s_cbranch_vccz .LBB175_2801
; %bb.2789:
	v_and_b32_e32 v5, 0xffff, v4
	s_mov_b32 s0, 0
	s_mov_b32 s6, -1
	global_store_b32 v[2:3], v5, off
	s_branch .LBB175_2801
.LBB175_2790:
	s_mov_b32 s0, 0
	s_branch .LBB175_2811
.LBB175_2791:
	s_or_saveexec_b32 s11, s11
                                        ; implicit-def: $sgpr12
	s_delay_alu instid0(SALU_CYCLE_1)
	s_xor_b32 exec_lo, exec_lo, s11
	s_cbranch_execz .LBB175_2693
.LBB175_2792:
	v_add_f32_e64 v10, 0x46000000, |v11|
	s_and_not1_b32 s7, s7, exec_lo
	s_mov_b32 s12, 0
	s_delay_alu instid0(VALU_DEP_1) | instskip(NEXT) | instid1(VALU_DEP_1)
	v_and_b32_e32 v10, 0xff, v10
	v_cmp_ne_u32_e32 vcc_lo, 0, v10
	s_and_b32 s13, vcc_lo, exec_lo
	s_delay_alu instid0(SALU_CYCLE_1)
	s_or_b32 s7, s7, s13
	s_or_b32 exec_lo, exec_lo, s11
	v_mov_b32_e32 v14, s12
	s_and_saveexec_b32 s11, s7
	s_cbranch_execnz .LBB175_2694
	s_branch .LBB175_2695
.LBB175_2793:
	s_mov_b32 s0, 0
	s_branch .LBB175_2807
.LBB175_2794:
	s_trap 2
	s_sendmsg_rtn_b32 s0, sendmsg(MSG_RTN_GET_DOORBELL)
	s_mov_b32 ttmp2, m0
	s_waitcnt lgkmcnt(0)
	s_and_b32 s0, s0, 0x3ff
	s_delay_alu instid0(SALU_CYCLE_1) | instskip(NEXT) | instid1(SALU_CYCLE_1)
	s_bitset1_b32 s0, 10
	s_mov_b32 m0, s0
	s_sendmsg sendmsg(MSG_INTERRUPT)
	s_mov_b32 m0, ttmp2
.LBB175_2795:                           ; =>This Inner Loop Header: Depth=1
	s_sethalt 5
	s_branch .LBB175_2795
.LBB175_2796:
	s_cbranch_execnz .LBB175_2923
; %bb.2797:
	s_or_b32 s10, s10, exec_lo
	s_cbranch_execz .LBB175_2741
	s_branch .LBB175_2742
.LBB175_2798:
	s_or_saveexec_b32 s7, s7
                                        ; implicit-def: $sgpr11
	s_delay_alu instid0(SALU_CYCLE_1)
	s_xor_b32 exec_lo, exec_lo, s7
	s_cbranch_execz .LBB175_2706
.LBB175_2799:
	v_add_f32_e64 v10, 0x42800000, |v11|
	s_and_not1_b32 s6, s6, exec_lo
	s_mov_b32 s11, 0
	s_delay_alu instid0(VALU_DEP_1) | instskip(NEXT) | instid1(VALU_DEP_1)
	v_and_b32_e32 v10, 0xff, v10
	v_cmp_ne_u32_e32 vcc_lo, 0, v10
	s_and_b32 s12, vcc_lo, exec_lo
	s_delay_alu instid0(SALU_CYCLE_1)
	s_or_b32 s6, s6, s12
	s_or_b32 exec_lo, exec_lo, s7
	v_mov_b32_e32 v14, s11
	s_and_saveexec_b32 s7, s6
	s_cbranch_execnz .LBB175_2707
	s_branch .LBB175_2708
.LBB175_2800:
	s_mov_b32 s0, 0
.LBB175_2801:
	s_and_b32 vcc_lo, exec_lo, s7
	s_cbranch_vccz .LBB175_2806
; %bb.2802:
	v_cmp_eq_u16_e64 s0, s3, 44
	s_delay_alu instid0(VALU_DEP_1)
	s_and_b32 vcc_lo, exec_lo, s0
	s_mov_b32 s0, -1
	s_cbranch_vccz .LBB175_2806
; %bb.2803:
	v_and_b32_e32 v5, 0xffff, v4
	v_mov_b32_e32 v7, 0xff
	s_mov_b32 s6, exec_lo
	s_delay_alu instid0(VALU_DEP_2) | instskip(NEXT) | instid1(VALU_DEP_1)
	v_bfe_u32 v8, v5, 7, 8
	v_cmpx_ne_u32_e32 0xff, v8
; %bb.2804:
	v_lshlrev_b32_e32 v7, 16, v5
	v_and_b32_e32 v10, 64, v5
	v_lshrrev_b32_e32 v5, 7, v5
	s_delay_alu instid0(VALU_DEP_3) | instskip(NEXT) | instid1(VALU_DEP_3)
	v_and_or_b32 v7, 0x3f0000, v7, v8
	v_cmp_ne_u32_e32 vcc_lo, 0, v10
	s_delay_alu instid0(VALU_DEP_2) | instskip(NEXT) | instid1(VALU_DEP_1)
	v_cmp_ne_u32_e64 s0, 0, v7
	s_and_b32 s0, vcc_lo, s0
	s_delay_alu instid0(SALU_CYCLE_1) | instskip(NEXT) | instid1(VALU_DEP_1)
	v_cndmask_b32_e64 v7, 0, 1, s0
	v_add_nc_u32_e32 v7, v5, v7
; %bb.2805:
	s_or_b32 exec_lo, exec_lo, s6
	s_mov_b32 s0, 0
	s_mov_b32 s6, -1
	global_store_b8 v[2:3], v7, off
.LBB175_2806:
	s_mov_b32 s7, 0
.LBB175_2807:
	s_delay_alu instid0(SALU_CYCLE_1)
	s_and_b32 vcc_lo, exec_lo, s7
	s_cbranch_vccz .LBB175_2810
; %bb.2808:
	v_cmp_eq_u16_e64 s0, s3, 29
	s_delay_alu instid0(VALU_DEP_1)
	s_and_b32 vcc_lo, exec_lo, s0
	s_mov_b32 s0, -1
	s_cbranch_vccz .LBB175_2810
; %bb.2809:
	v_lshlrev_b32_e32 v5, 16, v4
	s_mov_b32 s0, 0
	s_mov_b32 s6, -1
	s_mov_b32 s7, 0
	s_delay_alu instid0(VALU_DEP_1) | instskip(NEXT) | instid1(VALU_DEP_1)
	v_trunc_f32_e32 v5, v5
	v_mul_f32_e32 v7, 0x2f800000, v5
	s_delay_alu instid0(VALU_DEP_1) | instskip(NEXT) | instid1(VALU_DEP_1)
	v_floor_f32_e32 v7, v7
	v_fmamk_f32 v5, v7, 0xcf800000, v5
	v_cvt_u32_f32_e32 v8, v7
	s_delay_alu instid0(VALU_DEP_2)
	v_cvt_u32_f32_e32 v7, v5
	global_store_b64 v[2:3], v[7:8], off
	s_branch .LBB175_2811
.LBB175_2810:
	s_mov_b32 s7, 0
.LBB175_2811:
	s_delay_alu instid0(SALU_CYCLE_1)
	s_and_b32 vcc_lo, exec_lo, s7
	s_cbranch_vccz .LBB175_2827
; %bb.2812:
	v_cmp_lt_i16_e64 s6, s3, 27
	s_delay_alu instid0(VALU_DEP_1)
	s_and_b32 vcc_lo, exec_lo, s6
	s_mov_b32 s6, -1
	s_cbranch_vccnz .LBB175_2818
; %bb.2813:
	v_cmp_gt_i16_e64 s6, s3, 27
	s_delay_alu instid0(VALU_DEP_1)
	s_and_b32 vcc_lo, exec_lo, s6
	s_mov_b32 s6, -1
	s_cbranch_vccz .LBB175_2815
; %bb.2814:
	v_lshlrev_b32_e32 v5, 16, v4
	s_mov_b32 s6, 0
	s_delay_alu instid0(VALU_DEP_1)
	v_cvt_u32_f32_e32 v5, v5
	global_store_b32 v[2:3], v5, off
.LBB175_2815:
	s_and_not1_b32 vcc_lo, exec_lo, s6
	s_cbranch_vccnz .LBB175_2817
; %bb.2816:
	v_lshlrev_b32_e32 v5, 16, v4
	s_delay_alu instid0(VALU_DEP_1)
	v_cvt_u32_f32_e32 v5, v5
	global_store_b16 v[2:3], v5, off
.LBB175_2817:
	s_mov_b32 s6, 0
.LBB175_2818:
	s_delay_alu instid0(SALU_CYCLE_1)
	s_and_not1_b32 vcc_lo, exec_lo, s6
	s_cbranch_vccnz .LBB175_2826
; %bb.2819:
	v_lshlrev_b32_e32 v8, 16, v4
	v_mov_b32_e32 v10, 0x80
	s_mov_b32 s6, exec_lo
	s_delay_alu instid0(VALU_DEP_2) | instskip(NEXT) | instid1(VALU_DEP_1)
	v_and_b32_e32 v7, 0x7fffffff, v8
	v_cmpx_gt_u32_e32 0x43800000, v7
	s_cbranch_execz .LBB175_2825
; %bb.2820:
	v_and_b32_e32 v5, 0xffff, v4
	v_cmp_lt_u32_e32 vcc_lo, 0x3bffffff, v7
	s_mov_b32 s7, 0
                                        ; implicit-def: $vgpr7
	s_and_saveexec_b32 s11, vcc_lo
	s_delay_alu instid0(SALU_CYCLE_1)
	s_xor_b32 s11, exec_lo, s11
	s_cbranch_execz .LBB175_2920
; %bb.2821:
	v_bfe_u32 v7, v5, 4, 1
	s_mov_b32 s7, exec_lo
	s_delay_alu instid0(VALU_DEP_1) | instskip(NEXT) | instid1(VALU_DEP_1)
	v_add3_u32 v7, v8, v7, 0x487ffff
                                        ; implicit-def: $vgpr8
	v_lshrrev_b32_e32 v7, 20, v7
	s_or_saveexec_b32 s11, s11
                                        ; implicit-def: $sgpr12
	s_delay_alu instid0(SALU_CYCLE_1)
	s_xor_b32 exec_lo, exec_lo, s11
	s_cbranch_execnz .LBB175_2921
.LBB175_2822:
	s_or_b32 exec_lo, exec_lo, s11
	v_mov_b32_e32 v10, s12
	s_and_saveexec_b32 s11, s7
.LBB175_2823:
	v_lshrrev_b32_e32 v5, 8, v5
	s_delay_alu instid0(VALU_DEP_1)
	v_and_or_b32 v10, 0x80, v5, v7
.LBB175_2824:
	s_or_b32 exec_lo, exec_lo, s11
.LBB175_2825:
	s_delay_alu instid0(SALU_CYCLE_1)
	s_or_b32 exec_lo, exec_lo, s6
	global_store_b8 v[2:3], v10, off
.LBB175_2826:
	s_mov_b32 s6, -1
.LBB175_2827:
	s_mov_b32 s7, 0
.LBB175_2828:
	s_delay_alu instid0(SALU_CYCLE_1)
	s_and_b32 vcc_lo, exec_lo, s7
	s_cbranch_vccz .LBB175_2868
; %bb.2829:
	v_cmp_gt_i16_e64 s1, s3, 22
	s_delay_alu instid0(VALU_DEP_1)
	s_and_b32 vcc_lo, exec_lo, s1
	s_mov_b32 s1, -1
	s_cbranch_vccz .LBB175_2861
; %bb.2830:
	v_cmp_lt_i16_e64 s1, s3, 24
	s_delay_alu instid0(VALU_DEP_1)
	s_and_b32 vcc_lo, exec_lo, s1
	s_mov_b32 s1, -1
	s_cbranch_vccnz .LBB175_2850
; %bb.2831:
	v_cmp_gt_i16_e64 s1, s3, 24
	s_delay_alu instid0(VALU_DEP_1)
	s_and_b32 vcc_lo, exec_lo, s1
	s_mov_b32 s1, -1
	s_cbranch_vccz .LBB175_2839
; %bb.2832:
	v_lshlrev_b32_e32 v8, 16, v4
	v_mov_b32_e32 v10, 0x80
	s_mov_b32 s1, exec_lo
	s_delay_alu instid0(VALU_DEP_2) | instskip(NEXT) | instid1(VALU_DEP_1)
	v_and_b32_e32 v7, 0x7fffffff, v8
	v_cmpx_gt_u32_e32 0x47800000, v7
	s_cbranch_execz .LBB175_2838
; %bb.2833:
	v_and_b32_e32 v5, 0xffff, v4
	v_cmp_lt_u32_e32 vcc_lo, 0x37ffffff, v7
	s_mov_b32 s6, 0
                                        ; implicit-def: $vgpr7
	s_and_saveexec_b32 s7, vcc_lo
	s_delay_alu instid0(SALU_CYCLE_1)
	s_xor_b32 s7, exec_lo, s7
	s_cbranch_execz .LBB175_2927
; %bb.2834:
	v_bfe_u32 v7, v5, 5, 1
	s_mov_b32 s6, exec_lo
	s_delay_alu instid0(VALU_DEP_1) | instskip(NEXT) | instid1(VALU_DEP_1)
	v_add3_u32 v7, v8, v7, 0x88fffff
                                        ; implicit-def: $vgpr8
	v_lshrrev_b32_e32 v7, 21, v7
	s_or_saveexec_b32 s7, s7
                                        ; implicit-def: $sgpr11
	s_delay_alu instid0(SALU_CYCLE_1)
	s_xor_b32 exec_lo, exec_lo, s7
	s_cbranch_execnz .LBB175_2928
.LBB175_2835:
	s_or_b32 exec_lo, exec_lo, s7
	v_mov_b32_e32 v10, s11
	s_and_saveexec_b32 s7, s6
.LBB175_2836:
	v_lshrrev_b32_e32 v5, 8, v5
	s_delay_alu instid0(VALU_DEP_1)
	v_and_or_b32 v10, 0x80, v5, v7
.LBB175_2837:
	s_or_b32 exec_lo, exec_lo, s7
.LBB175_2838:
	s_delay_alu instid0(SALU_CYCLE_1)
	s_or_b32 exec_lo, exec_lo, s1
	s_mov_b32 s1, 0
	global_store_b8 v[2:3], v10, off
.LBB175_2839:
	s_and_b32 vcc_lo, exec_lo, s1
	s_cbranch_vccz .LBB175_2849
; %bb.2840:
	v_lshlrev_b32_e32 v8, 16, v4
	v_and_b32_e32 v5, 0xffff, v4
	s_mov_b32 s1, exec_lo
                                        ; implicit-def: $vgpr7
	s_delay_alu instid0(VALU_DEP_2) | instskip(NEXT) | instid1(VALU_DEP_1)
	v_and_b32_e32 v10, 0x7fffffff, v8
	v_cmpx_gt_u32_e32 0x43f00000, v10
	s_xor_b32 s1, exec_lo, s1
	s_cbranch_execz .LBB175_2846
; %bb.2841:
	s_mov_b32 s6, exec_lo
                                        ; implicit-def: $vgpr7
	v_cmpx_lt_u32_e32 0x3c7fffff, v10
	s_xor_b32 s6, exec_lo, s6
; %bb.2842:
	v_bfe_u32 v7, v5, 4, 1
	s_delay_alu instid0(VALU_DEP_1) | instskip(NEXT) | instid1(VALU_DEP_1)
	v_add3_u32 v7, v8, v7, 0x407ffff
	v_and_b32_e32 v8, 0xff00000, v7
	v_lshrrev_b32_e32 v7, 20, v7
	s_delay_alu instid0(VALU_DEP_2) | instskip(NEXT) | instid1(VALU_DEP_2)
	v_cmp_ne_u32_e32 vcc_lo, 0x7f00000, v8
                                        ; implicit-def: $vgpr8
	v_cndmask_b32_e32 v7, 0x7e, v7, vcc_lo
; %bb.2843:
	s_and_not1_saveexec_b32 s6, s6
; %bb.2844:
	v_add_f32_e64 v7, 0x46800000, |v8|
; %bb.2845:
	s_or_b32 exec_lo, exec_lo, s6
                                        ; implicit-def: $vgpr10
.LBB175_2846:
	s_and_not1_saveexec_b32 s1, s1
; %bb.2847:
	v_mov_b32_e32 v7, 0x7f
	v_cmp_lt_u32_e32 vcc_lo, 0x7f800000, v10
	s_delay_alu instid0(VALU_DEP_2)
	v_cndmask_b32_e32 v7, 0x7e, v7, vcc_lo
; %bb.2848:
	s_or_b32 exec_lo, exec_lo, s1
	v_lshrrev_b32_e32 v5, 8, v5
	s_delay_alu instid0(VALU_DEP_1)
	v_and_or_b32 v5, 0x80, v5, v7
	global_store_b8 v[2:3], v5, off
.LBB175_2849:
	s_mov_b32 s1, 0
.LBB175_2850:
	s_delay_alu instid0(SALU_CYCLE_1)
	s_and_not1_b32 vcc_lo, exec_lo, s1
	s_cbranch_vccnz .LBB175_2860
; %bb.2851:
	v_lshlrev_b32_e32 v8, 16, v4
	v_and_b32_e32 v5, 0xffff, v4
	s_mov_b32 s1, exec_lo
                                        ; implicit-def: $vgpr7
	s_delay_alu instid0(VALU_DEP_2) | instskip(NEXT) | instid1(VALU_DEP_1)
	v_and_b32_e32 v10, 0x7fffffff, v8
	v_cmpx_gt_u32_e32 0x47800000, v10
	s_xor_b32 s1, exec_lo, s1
	s_cbranch_execz .LBB175_2857
; %bb.2852:
	s_mov_b32 s6, exec_lo
                                        ; implicit-def: $vgpr7
	v_cmpx_lt_u32_e32 0x387fffff, v10
	s_xor_b32 s6, exec_lo, s6
; %bb.2853:
	v_bfe_u32 v7, v5, 5, 1
	s_delay_alu instid0(VALU_DEP_1) | instskip(NEXT) | instid1(VALU_DEP_1)
	v_add3_u32 v7, v8, v7, 0x80fffff
                                        ; implicit-def: $vgpr8
	v_lshrrev_b32_e32 v7, 21, v7
; %bb.2854:
	s_and_not1_saveexec_b32 s6, s6
; %bb.2855:
	v_add_f32_e64 v7, 0x43000000, |v8|
; %bb.2856:
	s_or_b32 exec_lo, exec_lo, s6
                                        ; implicit-def: $vgpr10
.LBB175_2857:
	s_and_not1_saveexec_b32 s1, s1
; %bb.2858:
	v_mov_b32_e32 v7, 0x7f
	v_cmp_lt_u32_e32 vcc_lo, 0x7f800000, v10
	s_delay_alu instid0(VALU_DEP_2)
	v_cndmask_b32_e32 v7, 0x7c, v7, vcc_lo
; %bb.2859:
	s_or_b32 exec_lo, exec_lo, s1
	v_lshrrev_b32_e32 v5, 8, v5
	s_delay_alu instid0(VALU_DEP_1)
	v_and_or_b32 v5, 0x80, v5, v7
	global_store_b8 v[2:3], v5, off
.LBB175_2860:
	s_mov_b32 s1, 0
	s_mov_b32 s6, -1
.LBB175_2861:
	s_and_not1_b32 vcc_lo, exec_lo, s1
	s_mov_b32 s1, 0
	s_cbranch_vccnz .LBB175_2868
; %bb.2862:
	v_cmp_gt_i16_e64 s1, s3, 14
	s_delay_alu instid0(VALU_DEP_1)
	s_and_b32 vcc_lo, exec_lo, s1
	s_mov_b32 s1, -1
	s_cbranch_vccz .LBB175_2866
; %bb.2863:
	v_cmp_eq_u16_e64 s0, s3, 15
	s_delay_alu instid0(VALU_DEP_1)
	s_and_b32 vcc_lo, exec_lo, s0
	s_mov_b32 s0, -1
	s_cbranch_vccz .LBB175_2865
; %bb.2864:
	s_mov_b32 s0, 0
	s_mov_b32 s6, -1
	global_store_b16 v[2:3], v4, off
.LBB175_2865:
	s_mov_b32 s1, 0
.LBB175_2866:
	s_delay_alu instid0(SALU_CYCLE_1)
	s_and_b32 vcc_lo, exec_lo, s1
	s_mov_b32 s1, 0
	s_cbranch_vccz .LBB175_2868
; %bb.2867:
	v_cmp_ne_u16_e64 s0, s3, 11
	s_mov_b32 s1, -1
.LBB175_2868:
	s_delay_alu instid0(VALU_DEP_1)
	s_and_b32 vcc_lo, exec_lo, s0
	s_cbranch_vccnz .LBB175_2925
; %bb.2869:
	s_and_not1_b32 vcc_lo, exec_lo, s1
	s_cbranch_vccnz .LBB175_2871
.LBB175_2870:
	v_and_b32_e32 v5, 0x7fff, v4
	s_mov_b32 s6, -1
	s_delay_alu instid0(VALU_DEP_1)
	v_cmp_ne_u16_e32 vcc_lo, 0, v5
	v_cndmask_b32_e64 v5, 0, 1, vcc_lo
	global_store_b8 v[2:3], v5, off
.LBB175_2871:
	s_mov_b32 s0, 0
.LBB175_2872:
	s_delay_alu instid0(SALU_CYCLE_1)
	s_and_b32 vcc_lo, exec_lo, s0
	s_cbranch_vccz .LBB175_2911
; %bb.2873:
	v_cmp_lt_i16_e64 s0, s3, 5
	s_delay_alu instid0(VALU_DEP_1)
	s_and_b32 vcc_lo, exec_lo, s0
	s_mov_b32 s0, -1
	s_cbranch_vccnz .LBB175_2894
; %bb.2874:
	v_cmp_lt_i16_e64 s0, s3, 8
	s_delay_alu instid0(VALU_DEP_1)
	s_and_b32 vcc_lo, exec_lo, s0
	s_mov_b32 s0, -1
	s_cbranch_vccnz .LBB175_2884
	;; [unrolled: 6-line block ×3, first 2 shown]
; %bb.2876:
	v_cmp_gt_i16_e64 s0, s3, 9
	s_delay_alu instid0(VALU_DEP_1)
	s_and_b32 vcc_lo, exec_lo, s0
	s_mov_b32 s0, -1
	s_cbranch_vccz .LBB175_2878
; %bb.2877:
	v_dual_mov_b32 v16, 0 :: v_dual_lshlrev_b32 v5, 16, v4
	s_mov_b32 s0, 0
	s_delay_alu instid0(VALU_DEP_1) | instskip(NEXT) | instid1(VALU_DEP_2)
	v_cvt_f64_f32_e32 v[14:15], v5
	v_mov_b32_e32 v17, v16
	global_store_b128 v[2:3], v[14:17], off
.LBB175_2878:
	s_and_not1_b32 vcc_lo, exec_lo, s0
	s_cbranch_vccnz .LBB175_2880
; %bb.2879:
	v_dual_mov_b32 v8, 0 :: v_dual_lshlrev_b32 v7, 16, v4
	global_store_b64 v[2:3], v[7:8], off
.LBB175_2880:
	s_mov_b32 s0, 0
.LBB175_2881:
	s_delay_alu instid0(SALU_CYCLE_1)
	s_and_not1_b32 vcc_lo, exec_lo, s0
	s_cbranch_vccnz .LBB175_2883
; %bb.2882:
	v_lshlrev_b32_e32 v5, 16, v4
	s_delay_alu instid0(VALU_DEP_1) | instskip(NEXT) | instid1(VALU_DEP_1)
	v_cvt_f16_f32_e32 v5, v5
	v_and_b32_e32 v5, 0xffff, v5
	global_store_b32 v[2:3], v5, off
.LBB175_2883:
	s_mov_b32 s0, 0
.LBB175_2884:
	s_delay_alu instid0(SALU_CYCLE_1)
	s_and_not1_b32 vcc_lo, exec_lo, s0
	s_cbranch_vccnz .LBB175_2893
; %bb.2885:
	v_cmp_lt_i16_e64 s0, s3, 6
	s_delay_alu instid0(VALU_DEP_1)
	s_and_b32 vcc_lo, exec_lo, s0
	s_mov_b32 s0, -1
	s_cbranch_vccnz .LBB175_2891
; %bb.2886:
	v_cmp_gt_i16_e64 s0, s3, 6
	s_delay_alu instid0(VALU_DEP_1)
	s_and_b32 vcc_lo, exec_lo, s0
	s_mov_b32 s0, -1
	s_cbranch_vccz .LBB175_2888
; %bb.2887:
	v_lshlrev_b32_e32 v5, 16, v4
	s_mov_b32 s0, 0
	s_delay_alu instid0(VALU_DEP_1)
	v_cvt_f64_f32_e32 v[7:8], v5
	global_store_b64 v[2:3], v[7:8], off
.LBB175_2888:
	s_and_not1_b32 vcc_lo, exec_lo, s0
	s_cbranch_vccnz .LBB175_2890
; %bb.2889:
	v_lshlrev_b32_e32 v5, 16, v4
	global_store_b32 v[2:3], v5, off
.LBB175_2890:
	s_mov_b32 s0, 0
.LBB175_2891:
	s_delay_alu instid0(SALU_CYCLE_1)
	s_and_not1_b32 vcc_lo, exec_lo, s0
	s_cbranch_vccnz .LBB175_2893
; %bb.2892:
	v_lshlrev_b32_e32 v5, 16, v4
	s_delay_alu instid0(VALU_DEP_1)
	v_cvt_f16_f32_e32 v5, v5
	global_store_b16 v[2:3], v5, off
.LBB175_2893:
	s_mov_b32 s0, 0
.LBB175_2894:
	s_delay_alu instid0(SALU_CYCLE_1)
	s_and_not1_b32 vcc_lo, exec_lo, s0
	s_cbranch_vccnz .LBB175_2910
; %bb.2895:
	v_cmp_lt_i16_e64 s0, s3, 2
	s_delay_alu instid0(VALU_DEP_1)
	s_and_b32 vcc_lo, exec_lo, s0
	s_mov_b32 s0, -1
	s_cbranch_vccnz .LBB175_2905
; %bb.2896:
	v_cmp_lt_i16_e64 s0, s3, 3
	s_delay_alu instid0(VALU_DEP_1)
	s_and_b32 vcc_lo, exec_lo, s0
	s_mov_b32 s0, -1
	s_cbranch_vccnz .LBB175_2902
; %bb.2897:
	v_cmp_gt_i16_e64 s0, s3, 3
	s_delay_alu instid0(VALU_DEP_1)
	s_and_b32 vcc_lo, exec_lo, s0
	s_mov_b32 s0, -1
	s_cbranch_vccz .LBB175_2899
; %bb.2898:
	v_lshlrev_b32_e32 v5, 16, v4
	s_mov_b32 s0, 0
	s_delay_alu instid0(VALU_DEP_1) | instskip(NEXT) | instid1(VALU_DEP_1)
	v_trunc_f32_e32 v5, v5
	v_mul_f32_e64 v7, 0x2f800000, |v5|
	s_delay_alu instid0(VALU_DEP_1) | instskip(NEXT) | instid1(VALU_DEP_1)
	v_floor_f32_e32 v7, v7
	v_fma_f32 v8, 0xcf800000, v7, |v5|
	v_ashrrev_i32_e32 v5, 31, v5
	v_cvt_u32_f32_e32 v7, v7
	s_delay_alu instid0(VALU_DEP_3) | instskip(NEXT) | instid1(VALU_DEP_2)
	v_cvt_u32_f32_e32 v8, v8
	v_xor_b32_e32 v10, v7, v5
	s_delay_alu instid0(VALU_DEP_2) | instskip(NEXT) | instid1(VALU_DEP_1)
	v_xor_b32_e32 v8, v8, v5
	v_sub_co_u32 v7, vcc_lo, v8, v5
	s_delay_alu instid0(VALU_DEP_3)
	v_sub_co_ci_u32_e32 v8, vcc_lo, v10, v5, vcc_lo
	global_store_b64 v[2:3], v[7:8], off
.LBB175_2899:
	s_and_not1_b32 vcc_lo, exec_lo, s0
	s_cbranch_vccnz .LBB175_2901
; %bb.2900:
	v_lshlrev_b32_e32 v5, 16, v4
	s_delay_alu instid0(VALU_DEP_1)
	v_cvt_i32_f32_e32 v5, v5
	global_store_b32 v[2:3], v5, off
.LBB175_2901:
	s_mov_b32 s0, 0
.LBB175_2902:
	s_delay_alu instid0(SALU_CYCLE_1)
	s_and_not1_b32 vcc_lo, exec_lo, s0
	s_cbranch_vccnz .LBB175_2904
; %bb.2903:
	v_lshlrev_b32_e32 v5, 16, v4
	s_delay_alu instid0(VALU_DEP_1)
	v_cvt_i32_f32_e32 v5, v5
	global_store_b16 v[2:3], v5, off
.LBB175_2904:
	s_mov_b32 s0, 0
.LBB175_2905:
	s_delay_alu instid0(SALU_CYCLE_1)
	s_and_not1_b32 vcc_lo, exec_lo, s0
	s_cbranch_vccnz .LBB175_2910
; %bb.2906:
	v_cmp_gt_i16_e64 s0, s3, 0
	s_delay_alu instid0(VALU_DEP_1)
	s_and_b32 vcc_lo, exec_lo, s0
	s_mov_b32 s0, -1
	s_cbranch_vccz .LBB175_2908
; %bb.2907:
	v_lshlrev_b32_e32 v5, 16, v4
	s_mov_b32 s0, 0
	s_delay_alu instid0(VALU_DEP_1)
	v_cvt_i32_f32_e32 v5, v5
	global_store_b8 v[2:3], v5, off
.LBB175_2908:
	s_and_not1_b32 vcc_lo, exec_lo, s0
	s_cbranch_vccnz .LBB175_2910
; %bb.2909:
	v_lshlrev_b32_e32 v4, 16, v4
	s_delay_alu instid0(VALU_DEP_1) | instskip(NEXT) | instid1(VALU_DEP_1)
	v_trunc_f32_e32 v4, v4
	v_mul_f32_e64 v5, 0x2f800000, |v4|
	s_delay_alu instid0(VALU_DEP_1) | instskip(NEXT) | instid1(VALU_DEP_1)
	v_floor_f32_e32 v5, v5
	v_fma_f32 v5, 0xcf800000, v5, |v4|
	v_ashrrev_i32_e32 v4, 31, v4
	s_delay_alu instid0(VALU_DEP_2) | instskip(NEXT) | instid1(VALU_DEP_1)
	v_cvt_u32_f32_e32 v5, v5
	v_xor_b32_e32 v5, v5, v4
	s_delay_alu instid0(VALU_DEP_1)
	v_sub_nc_u32_e32 v4, v5, v4
	global_store_b8 v[2:3], v4, off
.LBB175_2910:
	s_mov_b32 s6, -1
.LBB175_2911:
	s_delay_alu instid0(SALU_CYCLE_1)
	s_and_not1_b32 vcc_lo, exec_lo, s6
	s_cbranch_vccnz .LBB175_3049
; %bb.2912:
	v_cvt_f32_ubyte0_e32 v2, v9
	v_lshlrev_b32_e32 v3, 16, v13
	v_cmp_lt_i16_e64 s0, s3, 11
	v_add_co_u32 v1, s1, s4, v1
	s_mov_b32 s6, 0
	s_delay_alu instid0(VALU_DEP_3) | instskip(NEXT) | instid1(VALU_DEP_1)
	v_mul_f32_e32 v2, v3, v2
	v_mul_f32_e32 v3, s2, v2
	s_delay_alu instid0(VALU_DEP_1) | instskip(SKIP_1) | instid1(VALU_DEP_2)
	v_bfe_u32 v2, v3, 16, 1
	v_cmp_o_f32_e32 vcc_lo, v3, v3
	v_add3_u32 v2, v3, v2, 0x7fff
	s_delay_alu instid0(VALU_DEP_1) | instskip(SKIP_1) | instid1(VALU_DEP_2)
	v_lshrrev_b32_e32 v4, 16, v2
	v_add_co_ci_u32_e64 v2, null, s5, 0, s1
	v_cndmask_b32_e32 v3, 0x7fc0, v4, vcc_lo
	s_and_b32 vcc_lo, exec_lo, s0
	s_mov_b32 s0, -1
	s_cbranch_vccnz .LBB175_3001
; %bb.2913:
	v_cmp_gt_i16_e64 s0, s3, 25
	s_mov_b32 s7, -1
	s_mov_b32 s1, 0
	s_delay_alu instid0(VALU_DEP_1)
	s_and_b32 vcc_lo, exec_lo, s0
	s_mov_b32 s0, 0
	s_cbranch_vccz .LBB175_2957
; %bb.2914:
	v_cmp_gt_i16_e64 s0, s3, 28
	s_delay_alu instid0(VALU_DEP_1)
	s_and_b32 vcc_lo, exec_lo, s0
	s_cbranch_vccz .LBB175_2919
; %bb.2915:
	v_cmp_gt_i16_e64 s0, s3, 43
	s_delay_alu instid0(VALU_DEP_1)
	s_and_b32 vcc_lo, exec_lo, s0
	;; [unrolled: 5-line block ×3, first 2 shown]
	s_cbranch_vccz .LBB175_2929
; %bb.2917:
	v_cmp_eq_u16_e64 s6, s3, 46
	s_mov_b32 s0, -1
	s_mov_b32 s7, 0
	s_delay_alu instid0(VALU_DEP_1)
	s_and_b32 vcc_lo, exec_lo, s6
	s_mov_b32 s6, 0
	s_cbranch_vccz .LBB175_2930
; %bb.2918:
	v_and_b32_e32 v4, 0xffff, v3
	s_mov_b32 s0, 0
	s_mov_b32 s6, -1
	global_store_b32 v[1:2], v4, off
	s_branch .LBB175_2930
.LBB175_2919:
	s_mov_b32 s0, 0
	s_branch .LBB175_2940
.LBB175_2920:
	s_or_saveexec_b32 s11, s11
                                        ; implicit-def: $sgpr12
	s_delay_alu instid0(SALU_CYCLE_1)
	s_xor_b32 exec_lo, exec_lo, s11
	s_cbranch_execz .LBB175_2822
.LBB175_2921:
	v_add_f32_e64 v7, 0x46000000, |v8|
	s_and_not1_b32 s7, s7, exec_lo
	s_mov_b32 s12, 0
	s_delay_alu instid0(VALU_DEP_1) | instskip(NEXT) | instid1(VALU_DEP_1)
	v_and_b32_e32 v7, 0xff, v7
	v_cmp_ne_u32_e32 vcc_lo, 0, v7
	s_and_b32 s13, vcc_lo, exec_lo
	s_delay_alu instid0(SALU_CYCLE_1)
	s_or_b32 s7, s7, s13
	s_or_b32 exec_lo, exec_lo, s11
	v_mov_b32_e32 v10, s12
	s_and_saveexec_b32 s11, s7
	s_cbranch_execnz .LBB175_2823
	s_branch .LBB175_2824
.LBB175_2922:
	s_mov_b32 s0, 0
	s_branch .LBB175_2936
.LBB175_2923:
	s_trap 2
	s_sendmsg_rtn_b32 s0, sendmsg(MSG_RTN_GET_DOORBELL)
	s_mov_b32 ttmp2, m0
	s_waitcnt lgkmcnt(0)
	s_and_b32 s0, s0, 0x3ff
	s_delay_alu instid0(SALU_CYCLE_1) | instskip(NEXT) | instid1(SALU_CYCLE_1)
	s_bitset1_b32 s0, 10
	s_mov_b32 m0, s0
	s_sendmsg sendmsg(MSG_INTERRUPT)
	s_mov_b32 m0, ttmp2
.LBB175_2924:                           ; =>This Inner Loop Header: Depth=1
	s_sethalt 5
	s_branch .LBB175_2924
.LBB175_2925:
	s_cbranch_execnz .LBB175_3098
; %bb.2926:
	s_or_b32 s10, s10, exec_lo
	s_cbranch_execz .LBB175_2870
	s_branch .LBB175_2871
.LBB175_2927:
	s_or_saveexec_b32 s7, s7
                                        ; implicit-def: $sgpr11
	s_delay_alu instid0(SALU_CYCLE_1)
	s_xor_b32 exec_lo, exec_lo, s7
	s_cbranch_execz .LBB175_2835
.LBB175_2928:
	v_add_f32_e64 v7, 0x42800000, |v8|
	s_and_not1_b32 s6, s6, exec_lo
	s_mov_b32 s11, 0
	s_delay_alu instid0(VALU_DEP_1) | instskip(NEXT) | instid1(VALU_DEP_1)
	v_and_b32_e32 v7, 0xff, v7
	v_cmp_ne_u32_e32 vcc_lo, 0, v7
	s_and_b32 s12, vcc_lo, exec_lo
	s_delay_alu instid0(SALU_CYCLE_1)
	s_or_b32 s6, s6, s12
	s_or_b32 exec_lo, exec_lo, s7
	v_mov_b32_e32 v10, s11
	s_and_saveexec_b32 s7, s6
	s_cbranch_execnz .LBB175_2836
	s_branch .LBB175_2837
.LBB175_2929:
	s_mov_b32 s0, 0
.LBB175_2930:
	s_and_b32 vcc_lo, exec_lo, s7
	s_cbranch_vccz .LBB175_2935
; %bb.2931:
	v_cmp_eq_u16_e64 s0, s3, 44
	s_delay_alu instid0(VALU_DEP_1)
	s_and_b32 vcc_lo, exec_lo, s0
	s_mov_b32 s0, -1
	s_cbranch_vccz .LBB175_2935
; %bb.2932:
	v_and_b32_e32 v4, 0xffff, v3
	v_mov_b32_e32 v5, 0xff
	s_mov_b32 s6, exec_lo
	s_delay_alu instid0(VALU_DEP_2) | instskip(NEXT) | instid1(VALU_DEP_1)
	v_bfe_u32 v7, v4, 7, 8
	v_cmpx_ne_u32_e32 0xff, v7
; %bb.2933:
	v_lshlrev_b32_e32 v5, 16, v4
	v_and_b32_e32 v8, 64, v4
	v_lshrrev_b32_e32 v4, 7, v4
	s_delay_alu instid0(VALU_DEP_3) | instskip(NEXT) | instid1(VALU_DEP_3)
	v_and_or_b32 v5, 0x3f0000, v5, v7
	v_cmp_ne_u32_e32 vcc_lo, 0, v8
	s_delay_alu instid0(VALU_DEP_2) | instskip(NEXT) | instid1(VALU_DEP_1)
	v_cmp_ne_u32_e64 s0, 0, v5
	s_and_b32 s0, vcc_lo, s0
	s_delay_alu instid0(SALU_CYCLE_1) | instskip(NEXT) | instid1(VALU_DEP_1)
	v_cndmask_b32_e64 v5, 0, 1, s0
	v_add_nc_u32_e32 v5, v4, v5
; %bb.2934:
	s_or_b32 exec_lo, exec_lo, s6
	s_mov_b32 s0, 0
	s_mov_b32 s6, -1
	global_store_b8 v[1:2], v5, off
.LBB175_2935:
	s_mov_b32 s7, 0
.LBB175_2936:
	s_delay_alu instid0(SALU_CYCLE_1)
	s_and_b32 vcc_lo, exec_lo, s7
	s_cbranch_vccz .LBB175_2939
; %bb.2937:
	v_cmp_eq_u16_e64 s0, s3, 29
	s_delay_alu instid0(VALU_DEP_1)
	s_and_b32 vcc_lo, exec_lo, s0
	s_mov_b32 s0, -1
	s_cbranch_vccz .LBB175_2939
; %bb.2938:
	v_lshlrev_b32_e32 v4, 16, v3
	s_mov_b32 s0, 0
	s_mov_b32 s6, -1
	s_mov_b32 s7, 0
	s_delay_alu instid0(VALU_DEP_1) | instskip(NEXT) | instid1(VALU_DEP_1)
	v_trunc_f32_e32 v4, v4
	v_mul_f32_e32 v5, 0x2f800000, v4
	s_delay_alu instid0(VALU_DEP_1) | instskip(NEXT) | instid1(VALU_DEP_1)
	v_floor_f32_e32 v5, v5
	v_fmamk_f32 v4, v5, 0xcf800000, v4
	v_cvt_u32_f32_e32 v5, v5
	s_delay_alu instid0(VALU_DEP_2)
	v_cvt_u32_f32_e32 v4, v4
	global_store_b64 v[1:2], v[4:5], off
	s_branch .LBB175_2940
.LBB175_2939:
	s_mov_b32 s7, 0
.LBB175_2940:
	s_delay_alu instid0(SALU_CYCLE_1)
	s_and_b32 vcc_lo, exec_lo, s7
	s_cbranch_vccz .LBB175_2956
; %bb.2941:
	v_cmp_lt_i16_e64 s6, s3, 27
	s_delay_alu instid0(VALU_DEP_1)
	s_and_b32 vcc_lo, exec_lo, s6
	s_mov_b32 s6, -1
	s_cbranch_vccnz .LBB175_2947
; %bb.2942:
	v_cmp_gt_i16_e64 s6, s3, 27
	s_delay_alu instid0(VALU_DEP_1)
	s_and_b32 vcc_lo, exec_lo, s6
	s_mov_b32 s6, -1
	s_cbranch_vccz .LBB175_2944
; %bb.2943:
	v_lshlrev_b32_e32 v4, 16, v3
	s_mov_b32 s6, 0
	s_delay_alu instid0(VALU_DEP_1)
	v_cvt_u32_f32_e32 v4, v4
	global_store_b32 v[1:2], v4, off
.LBB175_2944:
	s_and_not1_b32 vcc_lo, exec_lo, s6
	s_cbranch_vccnz .LBB175_2946
; %bb.2945:
	v_lshlrev_b32_e32 v4, 16, v3
	s_delay_alu instid0(VALU_DEP_1)
	v_cvt_u32_f32_e32 v4, v4
	global_store_b16 v[1:2], v4, off
.LBB175_2946:
	s_mov_b32 s6, 0
.LBB175_2947:
	s_delay_alu instid0(SALU_CYCLE_1)
	s_and_not1_b32 vcc_lo, exec_lo, s6
	s_cbranch_vccnz .LBB175_2955
; %bb.2948:
	v_dual_mov_b32 v8, 0x80 :: v_dual_lshlrev_b32 v7, 16, v3
	s_mov_b32 s6, exec_lo
	s_delay_alu instid0(VALU_DEP_1) | instskip(NEXT) | instid1(VALU_DEP_1)
	v_and_b32_e32 v5, 0x7fffffff, v7
	v_cmpx_gt_u32_e32 0x43800000, v5
	s_cbranch_execz .LBB175_2954
; %bb.2949:
	v_and_b32_e32 v4, 0xffff, v3
	v_cmp_lt_u32_e32 vcc_lo, 0x3bffffff, v5
	s_mov_b32 s7, 0
                                        ; implicit-def: $vgpr5
	s_and_saveexec_b32 s11, vcc_lo
	s_delay_alu instid0(SALU_CYCLE_1)
	s_xor_b32 s11, exec_lo, s11
	s_cbranch_execz .LBB175_3095
; %bb.2950:
	v_bfe_u32 v5, v4, 4, 1
	s_mov_b32 s7, exec_lo
	s_delay_alu instid0(VALU_DEP_1) | instskip(NEXT) | instid1(VALU_DEP_1)
	v_add3_u32 v5, v7, v5, 0x487ffff
                                        ; implicit-def: $vgpr7
	v_lshrrev_b32_e32 v5, 20, v5
	s_or_saveexec_b32 s11, s11
                                        ; implicit-def: $sgpr12
	s_delay_alu instid0(SALU_CYCLE_1)
	s_xor_b32 exec_lo, exec_lo, s11
	s_cbranch_execnz .LBB175_3096
.LBB175_2951:
	s_or_b32 exec_lo, exec_lo, s11
	v_mov_b32_e32 v8, s12
	s_and_saveexec_b32 s11, s7
.LBB175_2952:
	v_lshrrev_b32_e32 v4, 8, v4
	s_delay_alu instid0(VALU_DEP_1)
	v_and_or_b32 v8, 0x80, v4, v5
.LBB175_2953:
	s_or_b32 exec_lo, exec_lo, s11
.LBB175_2954:
	s_delay_alu instid0(SALU_CYCLE_1)
	s_or_b32 exec_lo, exec_lo, s6
	global_store_b8 v[1:2], v8, off
.LBB175_2955:
	s_mov_b32 s6, -1
.LBB175_2956:
	s_mov_b32 s7, 0
.LBB175_2957:
	s_delay_alu instid0(SALU_CYCLE_1)
	s_and_b32 vcc_lo, exec_lo, s7
	s_cbranch_vccz .LBB175_2997
; %bb.2958:
	v_cmp_gt_i16_e64 s1, s3, 22
	s_delay_alu instid0(VALU_DEP_1)
	s_and_b32 vcc_lo, exec_lo, s1
	s_mov_b32 s1, -1
	s_cbranch_vccz .LBB175_2990
; %bb.2959:
	v_cmp_lt_i16_e64 s1, s3, 24
	s_delay_alu instid0(VALU_DEP_1)
	s_and_b32 vcc_lo, exec_lo, s1
	s_mov_b32 s1, -1
	s_cbranch_vccnz .LBB175_2979
; %bb.2960:
	v_cmp_gt_i16_e64 s1, s3, 24
	s_delay_alu instid0(VALU_DEP_1)
	s_and_b32 vcc_lo, exec_lo, s1
	s_mov_b32 s1, -1
	s_cbranch_vccz .LBB175_2968
; %bb.2961:
	v_dual_mov_b32 v8, 0x80 :: v_dual_lshlrev_b32 v7, 16, v3
	s_mov_b32 s1, exec_lo
	s_delay_alu instid0(VALU_DEP_1) | instskip(NEXT) | instid1(VALU_DEP_1)
	v_and_b32_e32 v5, 0x7fffffff, v7
	v_cmpx_gt_u32_e32 0x47800000, v5
	s_cbranch_execz .LBB175_2967
; %bb.2962:
	v_and_b32_e32 v4, 0xffff, v3
	v_cmp_lt_u32_e32 vcc_lo, 0x37ffffff, v5
	s_mov_b32 s6, 0
                                        ; implicit-def: $vgpr5
	s_and_saveexec_b32 s7, vcc_lo
	s_delay_alu instid0(SALU_CYCLE_1)
	s_xor_b32 s7, exec_lo, s7
	s_cbranch_execz .LBB175_3102
; %bb.2963:
	v_bfe_u32 v5, v4, 5, 1
	s_mov_b32 s6, exec_lo
	s_delay_alu instid0(VALU_DEP_1) | instskip(NEXT) | instid1(VALU_DEP_1)
	v_add3_u32 v5, v7, v5, 0x88fffff
                                        ; implicit-def: $vgpr7
	v_lshrrev_b32_e32 v5, 21, v5
	s_or_saveexec_b32 s7, s7
                                        ; implicit-def: $sgpr11
	s_delay_alu instid0(SALU_CYCLE_1)
	s_xor_b32 exec_lo, exec_lo, s7
	s_cbranch_execnz .LBB175_3103
.LBB175_2964:
	s_or_b32 exec_lo, exec_lo, s7
	v_mov_b32_e32 v8, s11
	s_and_saveexec_b32 s7, s6
.LBB175_2965:
	v_lshrrev_b32_e32 v4, 8, v4
	s_delay_alu instid0(VALU_DEP_1)
	v_and_or_b32 v8, 0x80, v4, v5
.LBB175_2966:
	s_or_b32 exec_lo, exec_lo, s7
.LBB175_2967:
	s_delay_alu instid0(SALU_CYCLE_1)
	s_or_b32 exec_lo, exec_lo, s1
	s_mov_b32 s1, 0
	global_store_b8 v[1:2], v8, off
.LBB175_2968:
	s_and_b32 vcc_lo, exec_lo, s1
	s_cbranch_vccz .LBB175_2978
; %bb.2969:
	v_lshlrev_b32_e32 v7, 16, v3
	v_and_b32_e32 v4, 0xffff, v3
	s_mov_b32 s1, exec_lo
                                        ; implicit-def: $vgpr5
	s_delay_alu instid0(VALU_DEP_2) | instskip(NEXT) | instid1(VALU_DEP_1)
	v_and_b32_e32 v8, 0x7fffffff, v7
	v_cmpx_gt_u32_e32 0x43f00000, v8
	s_xor_b32 s1, exec_lo, s1
	s_cbranch_execz .LBB175_2975
; %bb.2970:
	s_mov_b32 s6, exec_lo
                                        ; implicit-def: $vgpr5
	v_cmpx_lt_u32_e32 0x3c7fffff, v8
	s_xor_b32 s6, exec_lo, s6
; %bb.2971:
	v_bfe_u32 v5, v4, 4, 1
	s_delay_alu instid0(VALU_DEP_1) | instskip(NEXT) | instid1(VALU_DEP_1)
	v_add3_u32 v5, v7, v5, 0x407ffff
	v_and_b32_e32 v7, 0xff00000, v5
	v_lshrrev_b32_e32 v5, 20, v5
	s_delay_alu instid0(VALU_DEP_2) | instskip(NEXT) | instid1(VALU_DEP_2)
	v_cmp_ne_u32_e32 vcc_lo, 0x7f00000, v7
                                        ; implicit-def: $vgpr7
	v_cndmask_b32_e32 v5, 0x7e, v5, vcc_lo
; %bb.2972:
	s_and_not1_saveexec_b32 s6, s6
; %bb.2973:
	v_add_f32_e64 v5, 0x46800000, |v7|
; %bb.2974:
	s_or_b32 exec_lo, exec_lo, s6
                                        ; implicit-def: $vgpr8
.LBB175_2975:
	s_and_not1_saveexec_b32 s1, s1
; %bb.2976:
	v_mov_b32_e32 v5, 0x7f
	v_cmp_lt_u32_e32 vcc_lo, 0x7f800000, v8
	s_delay_alu instid0(VALU_DEP_2)
	v_cndmask_b32_e32 v5, 0x7e, v5, vcc_lo
; %bb.2977:
	s_or_b32 exec_lo, exec_lo, s1
	v_lshrrev_b32_e32 v4, 8, v4
	s_delay_alu instid0(VALU_DEP_1)
	v_and_or_b32 v4, 0x80, v4, v5
	global_store_b8 v[1:2], v4, off
.LBB175_2978:
	s_mov_b32 s1, 0
.LBB175_2979:
	s_delay_alu instid0(SALU_CYCLE_1)
	s_and_not1_b32 vcc_lo, exec_lo, s1
	s_cbranch_vccnz .LBB175_2989
; %bb.2980:
	v_lshlrev_b32_e32 v7, 16, v3
	v_and_b32_e32 v4, 0xffff, v3
	s_mov_b32 s1, exec_lo
                                        ; implicit-def: $vgpr5
	s_delay_alu instid0(VALU_DEP_2) | instskip(NEXT) | instid1(VALU_DEP_1)
	v_and_b32_e32 v8, 0x7fffffff, v7
	v_cmpx_gt_u32_e32 0x47800000, v8
	s_xor_b32 s1, exec_lo, s1
	s_cbranch_execz .LBB175_2986
; %bb.2981:
	s_mov_b32 s6, exec_lo
                                        ; implicit-def: $vgpr5
	v_cmpx_lt_u32_e32 0x387fffff, v8
	s_xor_b32 s6, exec_lo, s6
; %bb.2982:
	v_bfe_u32 v5, v4, 5, 1
	s_delay_alu instid0(VALU_DEP_1) | instskip(NEXT) | instid1(VALU_DEP_1)
	v_add3_u32 v5, v7, v5, 0x80fffff
                                        ; implicit-def: $vgpr7
	v_lshrrev_b32_e32 v5, 21, v5
; %bb.2983:
	s_and_not1_saveexec_b32 s6, s6
; %bb.2984:
	v_add_f32_e64 v5, 0x43000000, |v7|
; %bb.2985:
	s_or_b32 exec_lo, exec_lo, s6
                                        ; implicit-def: $vgpr8
.LBB175_2986:
	s_and_not1_saveexec_b32 s1, s1
; %bb.2987:
	v_mov_b32_e32 v5, 0x7f
	v_cmp_lt_u32_e32 vcc_lo, 0x7f800000, v8
	s_delay_alu instid0(VALU_DEP_2)
	v_cndmask_b32_e32 v5, 0x7c, v5, vcc_lo
; %bb.2988:
	s_or_b32 exec_lo, exec_lo, s1
	v_lshrrev_b32_e32 v4, 8, v4
	s_delay_alu instid0(VALU_DEP_1)
	v_and_or_b32 v4, 0x80, v4, v5
	global_store_b8 v[1:2], v4, off
.LBB175_2989:
	s_mov_b32 s1, 0
	s_mov_b32 s6, -1
.LBB175_2990:
	s_and_not1_b32 vcc_lo, exec_lo, s1
	s_mov_b32 s1, 0
	s_cbranch_vccnz .LBB175_2997
; %bb.2991:
	v_cmp_gt_i16_e64 s1, s3, 14
	s_delay_alu instid0(VALU_DEP_1)
	s_and_b32 vcc_lo, exec_lo, s1
	s_mov_b32 s1, -1
	s_cbranch_vccz .LBB175_2995
; %bb.2992:
	v_cmp_eq_u16_e64 s0, s3, 15
	s_delay_alu instid0(VALU_DEP_1)
	s_and_b32 vcc_lo, exec_lo, s0
	s_mov_b32 s0, -1
	s_cbranch_vccz .LBB175_2994
; %bb.2993:
	s_mov_b32 s0, 0
	s_mov_b32 s6, -1
	global_store_b16 v[1:2], v3, off
.LBB175_2994:
	s_mov_b32 s1, 0
.LBB175_2995:
	s_delay_alu instid0(SALU_CYCLE_1)
	s_and_b32 vcc_lo, exec_lo, s1
	s_mov_b32 s1, 0
	s_cbranch_vccz .LBB175_2997
; %bb.2996:
	v_cmp_ne_u16_e64 s0, s3, 11
	s_mov_b32 s1, -1
.LBB175_2997:
	s_delay_alu instid0(VALU_DEP_1)
	s_and_b32 vcc_lo, exec_lo, s0
	s_cbranch_vccnz .LBB175_3100
; %bb.2998:
	s_and_not1_b32 vcc_lo, exec_lo, s1
	s_cbranch_vccnz .LBB175_3000
.LBB175_2999:
	v_and_b32_e32 v4, 0x7fff, v3
	s_mov_b32 s6, -1
	s_delay_alu instid0(VALU_DEP_1)
	v_cmp_ne_u16_e32 vcc_lo, 0, v4
	v_cndmask_b32_e64 v4, 0, 1, vcc_lo
	global_store_b8 v[1:2], v4, off
.LBB175_3000:
	s_mov_b32 s0, 0
.LBB175_3001:
	s_delay_alu instid0(SALU_CYCLE_1)
	s_and_b32 vcc_lo, exec_lo, s0
	s_cbranch_vccz .LBB175_3040
; %bb.3002:
	v_cmp_lt_i16_e64 s0, s3, 5
	s_delay_alu instid0(VALU_DEP_1)
	s_and_b32 vcc_lo, exec_lo, s0
	s_mov_b32 s0, -1
	s_cbranch_vccnz .LBB175_3023
; %bb.3003:
	v_cmp_lt_i16_e64 s0, s3, 8
	s_delay_alu instid0(VALU_DEP_1)
	s_and_b32 vcc_lo, exec_lo, s0
	s_mov_b32 s0, -1
	s_cbranch_vccnz .LBB175_3013
; %bb.3004:
	v_cmp_lt_i16_e64 s0, s3, 9
	s_delay_alu instid0(VALU_DEP_1)
	s_and_b32 vcc_lo, exec_lo, s0
	s_mov_b32 s0, -1
	s_cbranch_vccnz .LBB175_3010
; %bb.3005:
	v_cmp_gt_i16_e64 s0, s3, 9
	s_delay_alu instid0(VALU_DEP_1)
	s_and_b32 vcc_lo, exec_lo, s0
	s_mov_b32 s0, -1
	s_cbranch_vccz .LBB175_3007
; %bb.3006:
	v_dual_mov_b32 v9, 0 :: v_dual_lshlrev_b32 v4, 16, v3
	s_mov_b32 s0, 0
	s_delay_alu instid0(VALU_DEP_1) | instskip(NEXT) | instid1(VALU_DEP_2)
	v_cvt_f64_f32_e32 v[7:8], v4
	v_mov_b32_e32 v10, v9
	global_store_b128 v[1:2], v[7:10], off
.LBB175_3007:
	s_and_not1_b32 vcc_lo, exec_lo, s0
	s_cbranch_vccnz .LBB175_3009
; %bb.3008:
	v_dual_mov_b32 v5, 0 :: v_dual_lshlrev_b32 v4, 16, v3
	global_store_b64 v[1:2], v[4:5], off
.LBB175_3009:
	s_mov_b32 s0, 0
.LBB175_3010:
	s_delay_alu instid0(SALU_CYCLE_1)
	s_and_not1_b32 vcc_lo, exec_lo, s0
	s_cbranch_vccnz .LBB175_3012
; %bb.3011:
	v_lshlrev_b32_e32 v4, 16, v3
	s_delay_alu instid0(VALU_DEP_1) | instskip(NEXT) | instid1(VALU_DEP_1)
	v_cvt_f16_f32_e32 v4, v4
	v_and_b32_e32 v4, 0xffff, v4
	global_store_b32 v[1:2], v4, off
.LBB175_3012:
	s_mov_b32 s0, 0
.LBB175_3013:
	s_delay_alu instid0(SALU_CYCLE_1)
	s_and_not1_b32 vcc_lo, exec_lo, s0
	s_cbranch_vccnz .LBB175_3022
; %bb.3014:
	v_cmp_lt_i16_e64 s0, s3, 6
	s_delay_alu instid0(VALU_DEP_1)
	s_and_b32 vcc_lo, exec_lo, s0
	s_mov_b32 s0, -1
	s_cbranch_vccnz .LBB175_3020
; %bb.3015:
	v_cmp_gt_i16_e64 s0, s3, 6
	s_delay_alu instid0(VALU_DEP_1)
	s_and_b32 vcc_lo, exec_lo, s0
	s_mov_b32 s0, -1
	s_cbranch_vccz .LBB175_3017
; %bb.3016:
	v_lshlrev_b32_e32 v4, 16, v3
	s_mov_b32 s0, 0
	s_delay_alu instid0(VALU_DEP_1)
	v_cvt_f64_f32_e32 v[4:5], v4
	global_store_b64 v[1:2], v[4:5], off
.LBB175_3017:
	s_and_not1_b32 vcc_lo, exec_lo, s0
	s_cbranch_vccnz .LBB175_3019
; %bb.3018:
	v_lshlrev_b32_e32 v4, 16, v3
	global_store_b32 v[1:2], v4, off
.LBB175_3019:
	s_mov_b32 s0, 0
.LBB175_3020:
	s_delay_alu instid0(SALU_CYCLE_1)
	s_and_not1_b32 vcc_lo, exec_lo, s0
	s_cbranch_vccnz .LBB175_3022
; %bb.3021:
	v_lshlrev_b32_e32 v4, 16, v3
	s_delay_alu instid0(VALU_DEP_1)
	v_cvt_f16_f32_e32 v4, v4
	global_store_b16 v[1:2], v4, off
.LBB175_3022:
	s_mov_b32 s0, 0
.LBB175_3023:
	s_delay_alu instid0(SALU_CYCLE_1)
	s_and_not1_b32 vcc_lo, exec_lo, s0
	s_cbranch_vccnz .LBB175_3039
; %bb.3024:
	v_cmp_lt_i16_e64 s0, s3, 2
	s_delay_alu instid0(VALU_DEP_1)
	s_and_b32 vcc_lo, exec_lo, s0
	s_mov_b32 s0, -1
	s_cbranch_vccnz .LBB175_3034
; %bb.3025:
	v_cmp_lt_i16_e64 s0, s3, 3
	s_delay_alu instid0(VALU_DEP_1)
	s_and_b32 vcc_lo, exec_lo, s0
	s_mov_b32 s0, -1
	s_cbranch_vccnz .LBB175_3031
; %bb.3026:
	v_cmp_gt_i16_e64 s0, s3, 3
	s_delay_alu instid0(VALU_DEP_1)
	s_and_b32 vcc_lo, exec_lo, s0
	s_mov_b32 s0, -1
	s_cbranch_vccz .LBB175_3028
; %bb.3027:
	v_lshlrev_b32_e32 v4, 16, v3
	s_mov_b32 s0, 0
	s_delay_alu instid0(VALU_DEP_1) | instskip(NEXT) | instid1(VALU_DEP_1)
	v_trunc_f32_e32 v4, v4
	v_mul_f32_e64 v5, 0x2f800000, |v4|
	v_ashrrev_i32_e32 v8, 31, v4
	s_delay_alu instid0(VALU_DEP_2) | instskip(NEXT) | instid1(VALU_DEP_1)
	v_floor_f32_e32 v5, v5
	v_fma_f32 v7, 0xcf800000, v5, |v4|
	v_cvt_u32_f32_e32 v5, v5
	s_delay_alu instid0(VALU_DEP_2) | instskip(NEXT) | instid1(VALU_DEP_2)
	v_cvt_u32_f32_e32 v4, v7
	v_xor_b32_e32 v5, v5, v8
	s_delay_alu instid0(VALU_DEP_2) | instskip(NEXT) | instid1(VALU_DEP_1)
	v_xor_b32_e32 v4, v4, v8
	v_sub_co_u32 v4, vcc_lo, v4, v8
	s_delay_alu instid0(VALU_DEP_3)
	v_sub_co_ci_u32_e32 v5, vcc_lo, v5, v8, vcc_lo
	global_store_b64 v[1:2], v[4:5], off
.LBB175_3028:
	s_and_not1_b32 vcc_lo, exec_lo, s0
	s_cbranch_vccnz .LBB175_3030
; %bb.3029:
	v_lshlrev_b32_e32 v4, 16, v3
	s_delay_alu instid0(VALU_DEP_1)
	v_cvt_i32_f32_e32 v4, v4
	global_store_b32 v[1:2], v4, off
.LBB175_3030:
	s_mov_b32 s0, 0
.LBB175_3031:
	s_delay_alu instid0(SALU_CYCLE_1)
	s_and_not1_b32 vcc_lo, exec_lo, s0
	s_cbranch_vccnz .LBB175_3033
; %bb.3032:
	v_lshlrev_b32_e32 v4, 16, v3
	s_delay_alu instid0(VALU_DEP_1)
	v_cvt_i32_f32_e32 v4, v4
	global_store_b16 v[1:2], v4, off
.LBB175_3033:
	s_mov_b32 s0, 0
.LBB175_3034:
	s_delay_alu instid0(SALU_CYCLE_1)
	s_and_not1_b32 vcc_lo, exec_lo, s0
	s_cbranch_vccnz .LBB175_3039
; %bb.3035:
	v_cmp_gt_i16_e64 s0, s3, 0
	s_delay_alu instid0(VALU_DEP_1)
	s_and_b32 vcc_lo, exec_lo, s0
	s_mov_b32 s0, -1
	s_cbranch_vccz .LBB175_3037
; %bb.3036:
	v_lshlrev_b32_e32 v4, 16, v3
	s_mov_b32 s0, 0
	s_delay_alu instid0(VALU_DEP_1)
	v_cvt_i32_f32_e32 v4, v4
	global_store_b8 v[1:2], v4, off
.LBB175_3037:
	s_and_not1_b32 vcc_lo, exec_lo, s0
	s_cbranch_vccnz .LBB175_3039
; %bb.3038:
	v_lshlrev_b32_e32 v3, 16, v3
	s_delay_alu instid0(VALU_DEP_1) | instskip(NEXT) | instid1(VALU_DEP_1)
	v_trunc_f32_e32 v3, v3
	v_mul_f32_e64 v4, 0x2f800000, |v3|
	s_delay_alu instid0(VALU_DEP_1) | instskip(NEXT) | instid1(VALU_DEP_1)
	v_floor_f32_e32 v4, v4
	v_fma_f32 v4, 0xcf800000, v4, |v3|
	v_ashrrev_i32_e32 v3, 31, v3
	s_delay_alu instid0(VALU_DEP_2) | instskip(NEXT) | instid1(VALU_DEP_1)
	v_cvt_u32_f32_e32 v4, v4
	v_xor_b32_e32 v4, v4, v3
	s_delay_alu instid0(VALU_DEP_1)
	v_sub_nc_u32_e32 v3, v4, v3
	global_store_b8 v[1:2], v3, off
.LBB175_3039:
	s_mov_b32 s6, -1
.LBB175_3040:
	s_delay_alu instid0(SALU_CYCLE_1)
	s_and_not1_b32 vcc_lo, exec_lo, s6
	s_cbranch_vccnz .LBB175_3049
; %bb.3041:
	v_cvt_f32_ubyte0_e32 v1, v6
	v_lshlrev_b32_e32 v2, 16, v12
	v_cmp_lt_i16_e64 s0, s3, 11
	s_mov_b32 s1, 0
	s_delay_alu instid0(VALU_DEP_2) | instskip(NEXT) | instid1(VALU_DEP_1)
	v_mul_f32_e32 v1, v2, v1
	v_mul_f32_e32 v2, s2, v1
	v_add_co_u32 v0, s2, s4, v0
	s_delay_alu instid0(VALU_DEP_2) | instskip(SKIP_1) | instid1(VALU_DEP_2)
	v_bfe_u32 v1, v2, 16, 1
	v_cmp_o_f32_e32 vcc_lo, v2, v2
	v_add3_u32 v1, v2, v1, 0x7fff
	s_delay_alu instid0(VALU_DEP_1) | instskip(SKIP_1) | instid1(VALU_DEP_2)
	v_lshrrev_b32_e32 v3, 16, v1
	v_add_co_ci_u32_e64 v1, null, s5, 0, s2
	v_cndmask_b32_e32 v2, 0x7fc0, v3, vcc_lo
	s_and_b32 vcc_lo, exec_lo, s0
	s_mov_b32 s0, -1
	s_cbranch_vccnz .LBB175_3050
; %bb.3042:
	v_cmp_gt_i16_e64 s0, s3, 25
	s_mov_b32 s2, -1
	s_delay_alu instid0(VALU_DEP_1)
	s_and_b32 vcc_lo, exec_lo, s0
	s_mov_b32 s0, 0
	s_cbranch_vccz .LBB175_3131
; %bb.3043:
	v_cmp_gt_i16_e64 s0, s3, 28
	s_delay_alu instid0(VALU_DEP_1)
	s_and_b32 vcc_lo, exec_lo, s0
	s_cbranch_vccz .LBB175_3094
; %bb.3044:
	v_cmp_gt_i16_e64 s0, s3, 43
	s_delay_alu instid0(VALU_DEP_1)
	s_and_b32 vcc_lo, exec_lo, s0
	;; [unrolled: 5-line block ×3, first 2 shown]
	s_cbranch_vccz .LBB175_3104
; %bb.3046:
	v_cmp_eq_u16_e64 s0, s3, 46
	s_delay_alu instid0(VALU_DEP_1)
	s_and_b32 vcc_lo, exec_lo, s0
	s_mov_b32 s0, -1
	s_cbranch_vccz .LBB175_3048
; %bb.3047:
	v_and_b32_e32 v3, 0xffff, v2
	s_mov_b32 s0, 0
	global_store_b32 v[0:1], v3, off
.LBB175_3048:
	s_mov_b32 s2, 0
	s_branch .LBB175_3105
.LBB175_3049:
	s_mov_b32 s0, 0
	s_mov_b32 s1, 0
                                        ; implicit-def: $vgpr0_vgpr1
                                        ; implicit-def: $sgpr3
                                        ; implicit-def: $vgpr2
.LBB175_3050:
	s_and_b32 s2, s0, exec_lo
	s_and_not1_b32 s0, s8, exec_lo
	s_and_b32 s4, s10, exec_lo
	s_and_b32 s28, s1, exec_lo
	s_or_b32 s8, s0, s4
.LBB175_3051:
	s_or_b32 exec_lo, exec_lo, s9
	s_and_saveexec_b32 s0, s8
	s_cbranch_execz .LBB175_3054
; %bb.3052:
	; divergent unreachable
	s_or_b32 exec_lo, exec_lo, s0
	s_and_saveexec_b32 s0, s28
	s_delay_alu instid0(SALU_CYCLE_1)
	s_xor_b32 s0, exec_lo, s0
	s_cbranch_execnz .LBB175_3055
.LBB175_3053:
	s_or_b32 exec_lo, exec_lo, s0
	s_and_saveexec_b32 s0, s2
	s_cbranch_execnz .LBB175_3056
	s_branch .LBB175_3093
.LBB175_3054:
	s_or_b32 exec_lo, exec_lo, s0
	s_and_saveexec_b32 s0, s28
	s_delay_alu instid0(SALU_CYCLE_1)
	s_xor_b32 s0, exec_lo, s0
	s_cbranch_execz .LBB175_3053
.LBB175_3055:
	s_waitcnt vmcnt(0)
	v_and_b32_e32 v3, 0x7fff, v2
	s_delay_alu instid0(VALU_DEP_1)
	v_cmp_ne_u16_e32 vcc_lo, 0, v3
	v_cndmask_b32_e64 v3, 0, 1, vcc_lo
	global_store_b8 v[0:1], v3, off
	s_or_b32 exec_lo, exec_lo, s0
	s_and_saveexec_b32 s0, s2
	s_cbranch_execz .LBB175_3093
.LBB175_3056:
	v_cmp_lt_i16_e64 s0, s3, 5
	s_delay_alu instid0(VALU_DEP_1)
	s_and_b32 vcc_lo, exec_lo, s0
	s_mov_b32 s0, -1
	s_cbranch_vccnz .LBB175_3077
; %bb.3057:
	v_cmp_lt_i16_e64 s0, s3, 8
	s_delay_alu instid0(VALU_DEP_1)
	s_and_b32 vcc_lo, exec_lo, s0
	s_mov_b32 s0, -1
	s_cbranch_vccnz .LBB175_3067
; %bb.3058:
	;; [unrolled: 6-line block ×3, first 2 shown]
	v_cmp_gt_i16_e64 s0, s3, 9
	s_delay_alu instid0(VALU_DEP_1)
	s_and_b32 vcc_lo, exec_lo, s0
	s_mov_b32 s0, -1
	s_cbranch_vccz .LBB175_3061
; %bb.3060:
	s_waitcnt vmcnt(0)
	v_mov_b32_e32 v5, 0
	v_lshlrev_b32_e32 v3, 16, v2
	s_mov_b32 s0, 0
	s_delay_alu instid0(VALU_DEP_2) | instskip(NEXT) | instid1(VALU_DEP_2)
	v_mov_b32_e32 v6, v5
	v_cvt_f64_f32_e32 v[3:4], v3
	global_store_b128 v[0:1], v[3:6], off
.LBB175_3061:
	s_and_not1_b32 vcc_lo, exec_lo, s0
	s_cbranch_vccnz .LBB175_3063
; %bb.3062:
	s_waitcnt vmcnt(0)
	v_dual_mov_b32 v4, 0 :: v_dual_lshlrev_b32 v3, 16, v2
	global_store_b64 v[0:1], v[3:4], off
.LBB175_3063:
	s_mov_b32 s0, 0
.LBB175_3064:
	s_delay_alu instid0(SALU_CYCLE_1)
	s_and_not1_b32 vcc_lo, exec_lo, s0
	s_cbranch_vccnz .LBB175_3066
; %bb.3065:
	s_waitcnt vmcnt(0)
	v_lshlrev_b32_e32 v3, 16, v2
	s_delay_alu instid0(VALU_DEP_1) | instskip(NEXT) | instid1(VALU_DEP_1)
	v_cvt_f16_f32_e32 v3, v3
	v_and_b32_e32 v3, 0xffff, v3
	global_store_b32 v[0:1], v3, off
.LBB175_3066:
	s_mov_b32 s0, 0
.LBB175_3067:
	s_delay_alu instid0(SALU_CYCLE_1)
	s_and_not1_b32 vcc_lo, exec_lo, s0
	s_cbranch_vccnz .LBB175_3076
; %bb.3068:
	v_cmp_lt_i16_e64 s0, s3, 6
	s_delay_alu instid0(VALU_DEP_1)
	s_and_b32 vcc_lo, exec_lo, s0
	s_mov_b32 s0, -1
	s_cbranch_vccnz .LBB175_3074
; %bb.3069:
	v_cmp_gt_i16_e64 s0, s3, 6
	s_delay_alu instid0(VALU_DEP_1)
	s_and_b32 vcc_lo, exec_lo, s0
	s_mov_b32 s0, -1
	s_cbranch_vccz .LBB175_3071
; %bb.3070:
	s_waitcnt vmcnt(0)
	v_lshlrev_b32_e32 v3, 16, v2
	s_mov_b32 s0, 0
	s_delay_alu instid0(VALU_DEP_1)
	v_cvt_f64_f32_e32 v[3:4], v3
	global_store_b64 v[0:1], v[3:4], off
.LBB175_3071:
	s_and_not1_b32 vcc_lo, exec_lo, s0
	s_cbranch_vccnz .LBB175_3073
; %bb.3072:
	s_waitcnt vmcnt(0)
	v_lshlrev_b32_e32 v3, 16, v2
	global_store_b32 v[0:1], v3, off
.LBB175_3073:
	s_mov_b32 s0, 0
.LBB175_3074:
	s_delay_alu instid0(SALU_CYCLE_1)
	s_and_not1_b32 vcc_lo, exec_lo, s0
	s_cbranch_vccnz .LBB175_3076
; %bb.3075:
	s_waitcnt vmcnt(0)
	v_lshlrev_b32_e32 v3, 16, v2
	s_delay_alu instid0(VALU_DEP_1)
	v_cvt_f16_f32_e32 v3, v3
	global_store_b16 v[0:1], v3, off
.LBB175_3076:
	s_mov_b32 s0, 0
.LBB175_3077:
	s_delay_alu instid0(SALU_CYCLE_1)
	s_and_not1_b32 vcc_lo, exec_lo, s0
	s_cbranch_vccnz .LBB175_3093
; %bb.3078:
	v_cmp_lt_i16_e64 s0, s3, 2
	s_delay_alu instid0(VALU_DEP_1)
	s_and_b32 vcc_lo, exec_lo, s0
	s_mov_b32 s0, -1
	s_cbranch_vccnz .LBB175_3088
; %bb.3079:
	v_cmp_lt_i16_e64 s0, s3, 3
	s_delay_alu instid0(VALU_DEP_1)
	s_and_b32 vcc_lo, exec_lo, s0
	s_mov_b32 s0, -1
	s_cbranch_vccnz .LBB175_3085
; %bb.3080:
	v_cmp_gt_i16_e64 s0, s3, 3
	s_delay_alu instid0(VALU_DEP_1)
	s_and_b32 vcc_lo, exec_lo, s0
	s_mov_b32 s0, -1
	s_cbranch_vccz .LBB175_3082
; %bb.3081:
	s_waitcnt vmcnt(0)
	v_lshlrev_b32_e32 v3, 16, v2
	s_mov_b32 s0, 0
	s_delay_alu instid0(VALU_DEP_1) | instskip(NEXT) | instid1(VALU_DEP_1)
	v_trunc_f32_e32 v3, v3
	v_mul_f32_e64 v4, 0x2f800000, |v3|
	v_ashrrev_i32_e32 v6, 31, v3
	s_delay_alu instid0(VALU_DEP_2) | instskip(NEXT) | instid1(VALU_DEP_1)
	v_floor_f32_e32 v4, v4
	v_fma_f32 v5, 0xcf800000, v4, |v3|
	v_cvt_u32_f32_e32 v4, v4
	s_delay_alu instid0(VALU_DEP_2) | instskip(NEXT) | instid1(VALU_DEP_2)
	v_cvt_u32_f32_e32 v3, v5
	v_xor_b32_e32 v4, v4, v6
	s_delay_alu instid0(VALU_DEP_2) | instskip(NEXT) | instid1(VALU_DEP_1)
	v_xor_b32_e32 v3, v3, v6
	v_sub_co_u32 v3, vcc_lo, v3, v6
	s_delay_alu instid0(VALU_DEP_3)
	v_sub_co_ci_u32_e32 v4, vcc_lo, v4, v6, vcc_lo
	global_store_b64 v[0:1], v[3:4], off
.LBB175_3082:
	s_and_not1_b32 vcc_lo, exec_lo, s0
	s_cbranch_vccnz .LBB175_3084
; %bb.3083:
	s_waitcnt vmcnt(0)
	v_lshlrev_b32_e32 v3, 16, v2
	s_delay_alu instid0(VALU_DEP_1)
	v_cvt_i32_f32_e32 v3, v3
	global_store_b32 v[0:1], v3, off
.LBB175_3084:
	s_mov_b32 s0, 0
.LBB175_3085:
	s_delay_alu instid0(SALU_CYCLE_1)
	s_and_not1_b32 vcc_lo, exec_lo, s0
	s_cbranch_vccnz .LBB175_3087
; %bb.3086:
	s_waitcnt vmcnt(0)
	v_lshlrev_b32_e32 v3, 16, v2
	s_delay_alu instid0(VALU_DEP_1)
	v_cvt_i32_f32_e32 v3, v3
	global_store_b16 v[0:1], v3, off
.LBB175_3087:
	s_mov_b32 s0, 0
.LBB175_3088:
	s_delay_alu instid0(SALU_CYCLE_1)
	s_and_not1_b32 vcc_lo, exec_lo, s0
	s_cbranch_vccnz .LBB175_3093
; %bb.3089:
	v_cmp_gt_i16_e64 s0, s3, 0
	v_lshlrev_b32_e32 v2, 16, v2
	s_delay_alu instid0(VALU_DEP_2)
	s_and_b32 vcc_lo, exec_lo, s0
	s_mov_b32 s0, -1
	s_cbranch_vccz .LBB175_3091
; %bb.3090:
	s_waitcnt vmcnt(0)
	v_cvt_i32_f32_e32 v3, v2
	s_mov_b32 s0, 0
	global_store_b8 v[0:1], v3, off
.LBB175_3091:
	s_and_not1_b32 vcc_lo, exec_lo, s0
	s_cbranch_vccnz .LBB175_3093
; %bb.3092:
	v_trunc_f32_e32 v2, v2
	s_waitcnt vmcnt(0)
	s_delay_alu instid0(VALU_DEP_1) | instskip(NEXT) | instid1(VALU_DEP_1)
	v_mul_f32_e64 v3, 0x2f800000, |v2|
	v_floor_f32_e32 v3, v3
	s_delay_alu instid0(VALU_DEP_1) | instskip(SKIP_1) | instid1(VALU_DEP_2)
	v_fma_f32 v3, 0xcf800000, v3, |v2|
	v_ashrrev_i32_e32 v2, 31, v2
	v_cvt_u32_f32_e32 v3, v3
	s_delay_alu instid0(VALU_DEP_1) | instskip(NEXT) | instid1(VALU_DEP_1)
	v_xor_b32_e32 v3, v3, v2
	v_sub_nc_u32_e32 v2, v3, v2
	global_store_b8 v[0:1], v2, off
	s_nop 0
	s_sendmsg sendmsg(MSG_DEALLOC_VGPRS)
	s_endpgm
.LBB175_3093:
	s_nop 0
	s_sendmsg sendmsg(MSG_DEALLOC_VGPRS)
	s_endpgm
.LBB175_3094:
	s_mov_b32 s0, 0
	s_branch .LBB175_3115
.LBB175_3095:
	s_or_saveexec_b32 s11, s11
                                        ; implicit-def: $sgpr12
	s_delay_alu instid0(SALU_CYCLE_1)
	s_xor_b32 exec_lo, exec_lo, s11
	s_cbranch_execz .LBB175_2951
.LBB175_3096:
	v_add_f32_e64 v5, 0x46000000, |v7|
	s_and_not1_b32 s7, s7, exec_lo
	s_mov_b32 s12, 0
	s_delay_alu instid0(VALU_DEP_1) | instskip(NEXT) | instid1(VALU_DEP_1)
	v_and_b32_e32 v5, 0xff, v5
	v_cmp_ne_u32_e32 vcc_lo, 0, v5
	s_and_b32 s13, vcc_lo, exec_lo
	s_delay_alu instid0(SALU_CYCLE_1)
	s_or_b32 s7, s7, s13
	s_or_b32 exec_lo, exec_lo, s11
	v_mov_b32_e32 v8, s12
	s_and_saveexec_b32 s11, s7
	s_cbranch_execnz .LBB175_2952
	s_branch .LBB175_2953
.LBB175_3097:
	s_mov_b32 s0, 0
	s_branch .LBB175_3111
.LBB175_3098:
	s_trap 2
	s_sendmsg_rtn_b32 s0, sendmsg(MSG_RTN_GET_DOORBELL)
	s_mov_b32 ttmp2, m0
	s_waitcnt lgkmcnt(0)
	s_and_b32 s0, s0, 0x3ff
	s_delay_alu instid0(SALU_CYCLE_1) | instskip(NEXT) | instid1(SALU_CYCLE_1)
	s_bitset1_b32 s0, 10
	s_mov_b32 m0, s0
	s_sendmsg sendmsg(MSG_INTERRUPT)
	s_mov_b32 m0, ttmp2
.LBB175_3099:                           ; =>This Inner Loop Header: Depth=1
	s_sethalt 5
	s_branch .LBB175_3099
.LBB175_3100:
	s_cbranch_execnz .LBB175_3175
; %bb.3101:
	s_or_b32 s10, s10, exec_lo
	s_cbranch_execz .LBB175_2999
	s_branch .LBB175_3000
.LBB175_3102:
	s_or_saveexec_b32 s7, s7
                                        ; implicit-def: $sgpr11
	s_delay_alu instid0(SALU_CYCLE_1)
	s_xor_b32 exec_lo, exec_lo, s7
	s_cbranch_execz .LBB175_2964
.LBB175_3103:
	v_add_f32_e64 v5, 0x42800000, |v7|
	s_and_not1_b32 s6, s6, exec_lo
	s_mov_b32 s11, 0
	s_delay_alu instid0(VALU_DEP_1) | instskip(NEXT) | instid1(VALU_DEP_1)
	v_and_b32_e32 v5, 0xff, v5
	v_cmp_ne_u32_e32 vcc_lo, 0, v5
	s_and_b32 s12, vcc_lo, exec_lo
	s_delay_alu instid0(SALU_CYCLE_1)
	s_or_b32 s6, s6, s12
	s_or_b32 exec_lo, exec_lo, s7
	v_mov_b32_e32 v8, s11
	s_and_saveexec_b32 s7, s6
	s_cbranch_execnz .LBB175_2965
	s_branch .LBB175_2966
.LBB175_3104:
	s_mov_b32 s0, 0
.LBB175_3105:
	s_and_b32 vcc_lo, exec_lo, s2
	s_cbranch_vccz .LBB175_3110
; %bb.3106:
	v_cmp_eq_u16_e64 s0, s3, 44
	s_delay_alu instid0(VALU_DEP_1)
	s_and_b32 vcc_lo, exec_lo, s0
	s_mov_b32 s0, -1
	s_cbranch_vccz .LBB175_3110
; %bb.3107:
	v_and_b32_e32 v3, 0xffff, v2
	v_mov_b32_e32 v4, 0xff
	s_mov_b32 s2, exec_lo
	s_delay_alu instid0(VALU_DEP_2) | instskip(NEXT) | instid1(VALU_DEP_1)
	v_bfe_u32 v5, v3, 7, 8
	v_cmpx_ne_u32_e32 0xff, v5
; %bb.3108:
	v_lshlrev_b32_e32 v4, 16, v3
	v_and_b32_e32 v6, 64, v3
	v_lshrrev_b32_e32 v3, 7, v3
	s_delay_alu instid0(VALU_DEP_3) | instskip(NEXT) | instid1(VALU_DEP_3)
	v_and_or_b32 v4, 0x3f0000, v4, v5
	v_cmp_ne_u32_e32 vcc_lo, 0, v6
	s_delay_alu instid0(VALU_DEP_2) | instskip(NEXT) | instid1(VALU_DEP_1)
	v_cmp_ne_u32_e64 s0, 0, v4
	s_and_b32 s0, vcc_lo, s0
	s_delay_alu instid0(SALU_CYCLE_1) | instskip(NEXT) | instid1(VALU_DEP_1)
	v_cndmask_b32_e64 v4, 0, 1, s0
	v_add_nc_u32_e32 v4, v3, v4
; %bb.3109:
	s_or_b32 exec_lo, exec_lo, s2
	s_mov_b32 s0, 0
	global_store_b8 v[0:1], v4, off
.LBB175_3110:
	s_mov_b32 s2, 0
.LBB175_3111:
	s_delay_alu instid0(SALU_CYCLE_1)
	s_and_b32 vcc_lo, exec_lo, s2
	s_cbranch_vccz .LBB175_3114
; %bb.3112:
	v_cmp_eq_u16_e64 s0, s3, 29
	s_delay_alu instid0(VALU_DEP_1)
	s_and_b32 vcc_lo, exec_lo, s0
	s_mov_b32 s0, -1
	s_cbranch_vccz .LBB175_3114
; %bb.3113:
	v_lshlrev_b32_e32 v3, 16, v2
	s_mov_b32 s0, 0
	s_delay_alu instid0(VALU_DEP_1) | instskip(NEXT) | instid1(VALU_DEP_1)
	v_trunc_f32_e32 v3, v3
	v_mul_f32_e32 v4, 0x2f800000, v3
	s_delay_alu instid0(VALU_DEP_1) | instskip(NEXT) | instid1(VALU_DEP_1)
	v_floor_f32_e32 v4, v4
	v_fmamk_f32 v3, v4, 0xcf800000, v3
	v_cvt_u32_f32_e32 v4, v4
	s_delay_alu instid0(VALU_DEP_2)
	v_cvt_u32_f32_e32 v3, v3
	global_store_b64 v[0:1], v[3:4], off
.LBB175_3114:
	s_mov_b32 s2, 0
.LBB175_3115:
	s_delay_alu instid0(SALU_CYCLE_1)
	s_and_b32 vcc_lo, exec_lo, s2
	s_cbranch_vccz .LBB175_3130
; %bb.3116:
	v_cmp_lt_i16_e64 s2, s3, 27
	s_delay_alu instid0(VALU_DEP_1)
	s_and_b32 vcc_lo, exec_lo, s2
	s_mov_b32 s2, -1
	s_cbranch_vccnz .LBB175_3122
; %bb.3117:
	v_cmp_gt_i16_e64 s2, s3, 27
	s_delay_alu instid0(VALU_DEP_1)
	s_and_b32 vcc_lo, exec_lo, s2
	s_mov_b32 s2, -1
	s_cbranch_vccz .LBB175_3119
; %bb.3118:
	v_lshlrev_b32_e32 v3, 16, v2
	s_mov_b32 s2, 0
	s_delay_alu instid0(VALU_DEP_1)
	v_cvt_u32_f32_e32 v3, v3
	global_store_b32 v[0:1], v3, off
.LBB175_3119:
	s_and_not1_b32 vcc_lo, exec_lo, s2
	s_cbranch_vccnz .LBB175_3121
; %bb.3120:
	v_lshlrev_b32_e32 v3, 16, v2
	s_delay_alu instid0(VALU_DEP_1)
	v_cvt_u32_f32_e32 v3, v3
	global_store_b16 v[0:1], v3, off
.LBB175_3121:
	s_mov_b32 s2, 0
.LBB175_3122:
	s_delay_alu instid0(SALU_CYCLE_1)
	s_and_not1_b32 vcc_lo, exec_lo, s2
	s_cbranch_vccnz .LBB175_3130
; %bb.3123:
	v_dual_mov_b32 v6, 0x80 :: v_dual_lshlrev_b32 v5, 16, v2
	s_mov_b32 s2, exec_lo
	s_delay_alu instid0(VALU_DEP_1) | instskip(NEXT) | instid1(VALU_DEP_1)
	v_and_b32_e32 v4, 0x7fffffff, v5
	v_cmpx_gt_u32_e32 0x43800000, v4
	s_cbranch_execz .LBB175_3129
; %bb.3124:
	v_and_b32_e32 v3, 0xffff, v2
	v_cmp_lt_u32_e32 vcc_lo, 0x3bffffff, v4
	s_mov_b32 s4, 0
                                        ; implicit-def: $vgpr4
	s_and_saveexec_b32 s5, vcc_lo
	s_delay_alu instid0(SALU_CYCLE_1)
	s_xor_b32 s5, exec_lo, s5
	s_cbranch_execz .LBB175_3173
; %bb.3125:
	v_bfe_u32 v4, v3, 4, 1
	s_mov_b32 s4, exec_lo
	s_delay_alu instid0(VALU_DEP_1) | instskip(NEXT) | instid1(VALU_DEP_1)
	v_add3_u32 v4, v5, v4, 0x487ffff
                                        ; implicit-def: $vgpr5
	v_lshrrev_b32_e32 v4, 20, v4
	s_or_saveexec_b32 s5, s5
                                        ; implicit-def: $sgpr6
	s_delay_alu instid0(SALU_CYCLE_1)
	s_xor_b32 exec_lo, exec_lo, s5
	s_cbranch_execnz .LBB175_3174
.LBB175_3126:
	s_or_b32 exec_lo, exec_lo, s5
	v_mov_b32_e32 v6, s6
	s_and_saveexec_b32 s5, s4
.LBB175_3127:
	v_lshrrev_b32_e32 v3, 8, v3
	s_delay_alu instid0(VALU_DEP_1)
	v_and_or_b32 v6, 0x80, v3, v4
.LBB175_3128:
	s_or_b32 exec_lo, exec_lo, s5
.LBB175_3129:
	s_delay_alu instid0(SALU_CYCLE_1)
	s_or_b32 exec_lo, exec_lo, s2
	global_store_b8 v[0:1], v6, off
.LBB175_3130:
	s_mov_b32 s2, 0
.LBB175_3131:
	s_delay_alu instid0(SALU_CYCLE_1)
	s_and_b32 vcc_lo, exec_lo, s2
	s_cbranch_vccz .LBB175_3171
; %bb.3132:
	v_cmp_gt_i16_e64 s1, s3, 22
	s_delay_alu instid0(VALU_DEP_1)
	s_and_b32 vcc_lo, exec_lo, s1
	s_mov_b32 s1, -1
	s_cbranch_vccz .LBB175_3164
; %bb.3133:
	v_cmp_lt_i16_e64 s1, s3, 24
	s_delay_alu instid0(VALU_DEP_1)
	s_and_b32 vcc_lo, exec_lo, s1
	s_mov_b32 s1, -1
	s_cbranch_vccnz .LBB175_3153
; %bb.3134:
	v_cmp_gt_i16_e64 s1, s3, 24
	s_delay_alu instid0(VALU_DEP_1)
	s_and_b32 vcc_lo, exec_lo, s1
	s_mov_b32 s1, -1
	s_cbranch_vccz .LBB175_3142
; %bb.3135:
	v_dual_mov_b32 v6, 0x80 :: v_dual_lshlrev_b32 v5, 16, v2
	s_mov_b32 s1, exec_lo
	s_delay_alu instid0(VALU_DEP_1) | instskip(NEXT) | instid1(VALU_DEP_1)
	v_and_b32_e32 v4, 0x7fffffff, v5
	v_cmpx_gt_u32_e32 0x47800000, v4
	s_cbranch_execz .LBB175_3141
; %bb.3136:
	v_and_b32_e32 v3, 0xffff, v2
	v_cmp_lt_u32_e32 vcc_lo, 0x37ffffff, v4
	s_mov_b32 s2, 0
                                        ; implicit-def: $vgpr4
	s_and_saveexec_b32 s4, vcc_lo
	s_delay_alu instid0(SALU_CYCLE_1)
	s_xor_b32 s4, exec_lo, s4
	s_cbranch_execz .LBB175_3179
; %bb.3137:
	v_bfe_u32 v4, v3, 5, 1
	s_mov_b32 s2, exec_lo
	s_delay_alu instid0(VALU_DEP_1) | instskip(NEXT) | instid1(VALU_DEP_1)
	v_add3_u32 v4, v5, v4, 0x88fffff
                                        ; implicit-def: $vgpr5
	v_lshrrev_b32_e32 v4, 21, v4
	s_or_saveexec_b32 s4, s4
                                        ; implicit-def: $sgpr5
	s_delay_alu instid0(SALU_CYCLE_1)
	s_xor_b32 exec_lo, exec_lo, s4
	s_cbranch_execnz .LBB175_3180
.LBB175_3138:
	s_or_b32 exec_lo, exec_lo, s4
	v_mov_b32_e32 v6, s5
	s_and_saveexec_b32 s4, s2
.LBB175_3139:
	v_lshrrev_b32_e32 v3, 8, v3
	s_delay_alu instid0(VALU_DEP_1)
	v_and_or_b32 v6, 0x80, v3, v4
.LBB175_3140:
	s_or_b32 exec_lo, exec_lo, s4
.LBB175_3141:
	s_delay_alu instid0(SALU_CYCLE_1)
	s_or_b32 exec_lo, exec_lo, s1
	s_mov_b32 s1, 0
	global_store_b8 v[0:1], v6, off
.LBB175_3142:
	s_and_b32 vcc_lo, exec_lo, s1
	s_cbranch_vccz .LBB175_3152
; %bb.3143:
	v_lshlrev_b32_e32 v5, 16, v2
	v_and_b32_e32 v3, 0xffff, v2
	s_mov_b32 s1, exec_lo
                                        ; implicit-def: $vgpr4
	s_delay_alu instid0(VALU_DEP_2) | instskip(NEXT) | instid1(VALU_DEP_1)
	v_and_b32_e32 v6, 0x7fffffff, v5
	v_cmpx_gt_u32_e32 0x43f00000, v6
	s_xor_b32 s1, exec_lo, s1
	s_cbranch_execz .LBB175_3149
; %bb.3144:
	s_mov_b32 s2, exec_lo
                                        ; implicit-def: $vgpr4
	v_cmpx_lt_u32_e32 0x3c7fffff, v6
	s_xor_b32 s2, exec_lo, s2
; %bb.3145:
	v_bfe_u32 v4, v3, 4, 1
	s_delay_alu instid0(VALU_DEP_1) | instskip(NEXT) | instid1(VALU_DEP_1)
	v_add3_u32 v4, v5, v4, 0x407ffff
	v_and_b32_e32 v5, 0xff00000, v4
	v_lshrrev_b32_e32 v4, 20, v4
	s_delay_alu instid0(VALU_DEP_2) | instskip(NEXT) | instid1(VALU_DEP_2)
	v_cmp_ne_u32_e32 vcc_lo, 0x7f00000, v5
                                        ; implicit-def: $vgpr5
	v_cndmask_b32_e32 v4, 0x7e, v4, vcc_lo
; %bb.3146:
	s_and_not1_saveexec_b32 s2, s2
; %bb.3147:
	v_add_f32_e64 v4, 0x46800000, |v5|
; %bb.3148:
	s_or_b32 exec_lo, exec_lo, s2
                                        ; implicit-def: $vgpr6
.LBB175_3149:
	s_and_not1_saveexec_b32 s1, s1
; %bb.3150:
	v_mov_b32_e32 v4, 0x7f
	v_cmp_lt_u32_e32 vcc_lo, 0x7f800000, v6
	s_delay_alu instid0(VALU_DEP_2)
	v_cndmask_b32_e32 v4, 0x7e, v4, vcc_lo
; %bb.3151:
	s_or_b32 exec_lo, exec_lo, s1
	v_lshrrev_b32_e32 v3, 8, v3
	s_delay_alu instid0(VALU_DEP_1)
	v_and_or_b32 v3, 0x80, v3, v4
	global_store_b8 v[0:1], v3, off
.LBB175_3152:
	s_mov_b32 s1, 0
.LBB175_3153:
	s_delay_alu instid0(SALU_CYCLE_1)
	s_and_not1_b32 vcc_lo, exec_lo, s1
	s_cbranch_vccnz .LBB175_3163
; %bb.3154:
	v_lshlrev_b32_e32 v5, 16, v2
	v_and_b32_e32 v3, 0xffff, v2
	s_mov_b32 s1, exec_lo
                                        ; implicit-def: $vgpr4
	s_delay_alu instid0(VALU_DEP_2) | instskip(NEXT) | instid1(VALU_DEP_1)
	v_and_b32_e32 v6, 0x7fffffff, v5
	v_cmpx_gt_u32_e32 0x47800000, v6
	s_xor_b32 s1, exec_lo, s1
	s_cbranch_execz .LBB175_3160
; %bb.3155:
	s_mov_b32 s2, exec_lo
                                        ; implicit-def: $vgpr4
	v_cmpx_lt_u32_e32 0x387fffff, v6
	s_xor_b32 s2, exec_lo, s2
; %bb.3156:
	v_bfe_u32 v4, v3, 5, 1
	s_delay_alu instid0(VALU_DEP_1) | instskip(NEXT) | instid1(VALU_DEP_1)
	v_add3_u32 v4, v5, v4, 0x80fffff
                                        ; implicit-def: $vgpr5
	v_lshrrev_b32_e32 v4, 21, v4
; %bb.3157:
	s_and_not1_saveexec_b32 s2, s2
; %bb.3158:
	v_add_f32_e64 v4, 0x43000000, |v5|
; %bb.3159:
	s_or_b32 exec_lo, exec_lo, s2
                                        ; implicit-def: $vgpr6
.LBB175_3160:
	s_and_not1_saveexec_b32 s1, s1
; %bb.3161:
	v_mov_b32_e32 v4, 0x7f
	v_cmp_lt_u32_e32 vcc_lo, 0x7f800000, v6
	s_delay_alu instid0(VALU_DEP_2)
	v_cndmask_b32_e32 v4, 0x7c, v4, vcc_lo
; %bb.3162:
	s_or_b32 exec_lo, exec_lo, s1
	v_lshrrev_b32_e32 v3, 8, v3
	s_delay_alu instid0(VALU_DEP_1)
	v_and_or_b32 v3, 0x80, v3, v4
	global_store_b8 v[0:1], v3, off
.LBB175_3163:
	s_mov_b32 s1, 0
.LBB175_3164:
	s_delay_alu instid0(SALU_CYCLE_1)
	s_and_not1_b32 vcc_lo, exec_lo, s1
	s_mov_b32 s1, 0
	s_cbranch_vccnz .LBB175_3171
; %bb.3165:
	v_cmp_gt_i16_e64 s1, s3, 14
	s_delay_alu instid0(VALU_DEP_1)
	s_and_b32 vcc_lo, exec_lo, s1
	s_mov_b32 s1, -1
	s_cbranch_vccz .LBB175_3169
; %bb.3166:
	v_cmp_eq_u16_e64 s0, s3, 15
	s_delay_alu instid0(VALU_DEP_1)
	s_and_b32 vcc_lo, exec_lo, s0
	s_mov_b32 s0, -1
	s_cbranch_vccz .LBB175_3168
; %bb.3167:
	s_mov_b32 s0, 0
	global_store_b16 v[0:1], v2, off
.LBB175_3168:
	s_mov_b32 s1, 0
.LBB175_3169:
	s_delay_alu instid0(SALU_CYCLE_1)
	s_and_b32 vcc_lo, exec_lo, s1
	s_mov_b32 s1, 0
	s_cbranch_vccz .LBB175_3171
; %bb.3170:
	v_cmp_ne_u16_e64 s0, s3, 11
	s_mov_b32 s1, -1
.LBB175_3171:
	s_delay_alu instid0(VALU_DEP_1)
	s_and_b32 vcc_lo, exec_lo, s0
	s_cbranch_vccnz .LBB175_3177
.LBB175_3172:
	s_mov_b32 s0, 0
	s_branch .LBB175_3050
.LBB175_3173:
	s_or_saveexec_b32 s5, s5
                                        ; implicit-def: $sgpr6
	s_delay_alu instid0(SALU_CYCLE_1)
	s_xor_b32 exec_lo, exec_lo, s5
	s_cbranch_execz .LBB175_3126
.LBB175_3174:
	v_add_f32_e64 v4, 0x46000000, |v5|
	s_and_not1_b32 s4, s4, exec_lo
	s_mov_b32 s6, 0
	s_delay_alu instid0(VALU_DEP_1) | instskip(NEXT) | instid1(VALU_DEP_1)
	v_and_b32_e32 v4, 0xff, v4
	v_cmp_ne_u32_e32 vcc_lo, 0, v4
	s_and_b32 s7, vcc_lo, exec_lo
	s_delay_alu instid0(SALU_CYCLE_1)
	s_or_b32 s4, s4, s7
	s_or_b32 exec_lo, exec_lo, s5
	v_mov_b32_e32 v6, s6
	s_and_saveexec_b32 s5, s4
	s_cbranch_execnz .LBB175_3127
	s_branch .LBB175_3128
.LBB175_3175:
	s_trap 2
	s_sendmsg_rtn_b32 s0, sendmsg(MSG_RTN_GET_DOORBELL)
	s_mov_b32 ttmp2, m0
	s_waitcnt lgkmcnt(0)
	s_and_b32 s0, s0, 0x3ff
	s_delay_alu instid0(SALU_CYCLE_1) | instskip(NEXT) | instid1(SALU_CYCLE_1)
	s_bitset1_b32 s0, 10
	s_mov_b32 m0, s0
	s_sendmsg sendmsg(MSG_INTERRUPT)
	s_mov_b32 m0, ttmp2
.LBB175_3176:                           ; =>This Inner Loop Header: Depth=1
	s_sethalt 5
	s_branch .LBB175_3176
.LBB175_3177:
	s_cbranch_execnz .LBB175_3181
; %bb.3178:
	s_mov_b32 s1, 0
	s_or_b32 s10, s10, exec_lo
	s_branch .LBB175_3172
.LBB175_3179:
	s_or_saveexec_b32 s4, s4
                                        ; implicit-def: $sgpr5
	s_delay_alu instid0(SALU_CYCLE_1)
	s_xor_b32 exec_lo, exec_lo, s4
	s_cbranch_execz .LBB175_3138
.LBB175_3180:
	v_add_f32_e64 v4, 0x42800000, |v5|
	s_and_not1_b32 s2, s2, exec_lo
	s_mov_b32 s5, 0
	s_delay_alu instid0(VALU_DEP_1) | instskip(NEXT) | instid1(VALU_DEP_1)
	v_and_b32_e32 v4, 0xff, v4
	v_cmp_ne_u32_e32 vcc_lo, 0, v4
	s_and_b32 s6, vcc_lo, exec_lo
	s_delay_alu instid0(SALU_CYCLE_1)
	s_or_b32 s2, s2, s6
	s_or_b32 exec_lo, exec_lo, s4
	v_mov_b32_e32 v6, s5
	s_and_saveexec_b32 s4, s2
	s_cbranch_execnz .LBB175_3139
	s_branch .LBB175_3140
.LBB175_3181:
	s_trap 2
	s_sendmsg_rtn_b32 s0, sendmsg(MSG_RTN_GET_DOORBELL)
	s_mov_b32 ttmp2, m0
	s_waitcnt lgkmcnt(0)
	s_and_b32 s0, s0, 0x3ff
	s_delay_alu instid0(SALU_CYCLE_1) | instskip(NEXT) | instid1(SALU_CYCLE_1)
	s_bitset1_b32 s0, 10
	s_mov_b32 m0, s0
	s_sendmsg sendmsg(MSG_INTERRUPT)
	s_mov_b32 m0, ttmp2
.LBB175_3182:                           ; =>This Inner Loop Header: Depth=1
	s_sethalt 5
	s_branch .LBB175_3182
	.section	.rodata,"a",@progbits
	.p2align	6, 0x0
	.amdhsa_kernel _ZN2at6native32elementwise_kernel_manual_unrollILi128ELi4EZNS0_15gpu_kernel_implIZNS0_12_GLOBAL__N_119masked_scale_kernelIhN3c108BFloat16EfEEvRNS_6TensorERKS7_SA_T1_EUlS6_hE_EEvRNS_18TensorIteratorBaseERKT_EUlibE0_EEviSB_
		.amdhsa_group_segment_fixed_size 0
		.amdhsa_private_segment_fixed_size 0
		.amdhsa_kernarg_size 432
		.amdhsa_user_sgpr_count 15
		.amdhsa_user_sgpr_dispatch_ptr 0
		.amdhsa_user_sgpr_queue_ptr 0
		.amdhsa_user_sgpr_kernarg_segment_ptr 1
		.amdhsa_user_sgpr_dispatch_id 0
		.amdhsa_user_sgpr_private_segment_size 0
		.amdhsa_wavefront_size32 1
		.amdhsa_uses_dynamic_stack 0
		.amdhsa_enable_private_segment 0
		.amdhsa_system_sgpr_workgroup_id_x 1
		.amdhsa_system_sgpr_workgroup_id_y 0
		.amdhsa_system_sgpr_workgroup_id_z 0
		.amdhsa_system_sgpr_workgroup_info 0
		.amdhsa_system_vgpr_workitem_id 0
		.amdhsa_next_free_vgpr 22
		.amdhsa_next_free_sgpr 62
		.amdhsa_reserve_vcc 1
		.amdhsa_float_round_mode_32 0
		.amdhsa_float_round_mode_16_64 0
		.amdhsa_float_denorm_mode_32 3
		.amdhsa_float_denorm_mode_16_64 3
		.amdhsa_dx10_clamp 1
		.amdhsa_ieee_mode 1
		.amdhsa_fp16_overflow 0
		.amdhsa_workgroup_processor_mode 1
		.amdhsa_memory_ordered 1
		.amdhsa_forward_progress 0
		.amdhsa_shared_vgpr_count 0
		.amdhsa_exception_fp_ieee_invalid_op 0
		.amdhsa_exception_fp_denorm_src 0
		.amdhsa_exception_fp_ieee_div_zero 0
		.amdhsa_exception_fp_ieee_overflow 0
		.amdhsa_exception_fp_ieee_underflow 0
		.amdhsa_exception_fp_ieee_inexact 0
		.amdhsa_exception_int_div_zero 0
	.end_amdhsa_kernel
	.section	.text._ZN2at6native32elementwise_kernel_manual_unrollILi128ELi4EZNS0_15gpu_kernel_implIZNS0_12_GLOBAL__N_119masked_scale_kernelIhN3c108BFloat16EfEEvRNS_6TensorERKS7_SA_T1_EUlS6_hE_EEvRNS_18TensorIteratorBaseERKT_EUlibE0_EEviSB_,"axG",@progbits,_ZN2at6native32elementwise_kernel_manual_unrollILi128ELi4EZNS0_15gpu_kernel_implIZNS0_12_GLOBAL__N_119masked_scale_kernelIhN3c108BFloat16EfEEvRNS_6TensorERKS7_SA_T1_EUlS6_hE_EEvRNS_18TensorIteratorBaseERKT_EUlibE0_EEviSB_,comdat
.Lfunc_end175:
	.size	_ZN2at6native32elementwise_kernel_manual_unrollILi128ELi4EZNS0_15gpu_kernel_implIZNS0_12_GLOBAL__N_119masked_scale_kernelIhN3c108BFloat16EfEEvRNS_6TensorERKS7_SA_T1_EUlS6_hE_EEvRNS_18TensorIteratorBaseERKT_EUlibE0_EEviSB_, .Lfunc_end175-_ZN2at6native32elementwise_kernel_manual_unrollILi128ELi4EZNS0_15gpu_kernel_implIZNS0_12_GLOBAL__N_119masked_scale_kernelIhN3c108BFloat16EfEEvRNS_6TensorERKS7_SA_T1_EUlS6_hE_EEvRNS_18TensorIteratorBaseERKT_EUlibE0_EEviSB_
                                        ; -- End function
	.section	.AMDGPU.csdata,"",@progbits
; Kernel info:
; codeLenInByte = 69352
; NumSgprs: 64
; NumVgprs: 22
; ScratchSize: 0
; MemoryBound: 1
; FloatMode: 240
; IeeeMode: 1
; LDSByteSize: 0 bytes/workgroup (compile time only)
; SGPRBlocks: 7
; VGPRBlocks: 2
; NumSGPRsForWavesPerEU: 64
; NumVGPRsForWavesPerEU: 22
; Occupancy: 16
; WaveLimiterHint : 1
; COMPUTE_PGM_RSRC2:SCRATCH_EN: 0
; COMPUTE_PGM_RSRC2:USER_SGPR: 15
; COMPUTE_PGM_RSRC2:TRAP_HANDLER: 0
; COMPUTE_PGM_RSRC2:TGID_X_EN: 1
; COMPUTE_PGM_RSRC2:TGID_Y_EN: 0
; COMPUTE_PGM_RSRC2:TGID_Z_EN: 0
; COMPUTE_PGM_RSRC2:TIDIG_COMP_CNT: 0
	.text
	.p2alignl 7, 3214868480
	.fill 96, 4, 3214868480
	.type	__hip_cuid_37b9349aa1e883c7,@object ; @__hip_cuid_37b9349aa1e883c7
	.section	.bss,"aw",@nobits
	.globl	__hip_cuid_37b9349aa1e883c7
__hip_cuid_37b9349aa1e883c7:
	.byte	0                               ; 0x0
	.size	__hip_cuid_37b9349aa1e883c7, 1

	.ident	"AMD clang version 19.0.0git (https://github.com/RadeonOpenCompute/llvm-project roc-6.4.0 25133 c7fe45cf4b819c5991fe208aaa96edf142730f1d)"
	.section	".note.GNU-stack","",@progbits
	.addrsig
	.addrsig_sym __hip_cuid_37b9349aa1e883c7
	.amdgpu_metadata
---
amdhsa.kernels:
  - .args:
      - .offset:         0
        .size:           216
        .value_kind:     by_value
      - .offset:         216
        .size:           216
        .value_kind:     by_value
      - .offset:         432
        .size:           216
        .value_kind:     by_value
      - .offset:         648
        .size:           4
        .value_kind:     by_value
      - .offset:         656
        .size:           8
        .value_kind:     by_value
      - .offset:         664
        .size:           32
        .value_kind:     by_value
      - .offset:         696
        .size:           4
        .value_kind:     hidden_block_count_x
      - .offset:         700
        .size:           4
        .value_kind:     hidden_block_count_y
      - .offset:         704
        .size:           4
        .value_kind:     hidden_block_count_z
      - .offset:         708
        .size:           2
        .value_kind:     hidden_group_size_x
      - .offset:         710
        .size:           2
        .value_kind:     hidden_group_size_y
      - .offset:         712
        .size:           2
        .value_kind:     hidden_group_size_z
      - .offset:         714
        .size:           2
        .value_kind:     hidden_remainder_x
      - .offset:         716
        .size:           2
        .value_kind:     hidden_remainder_y
      - .offset:         718
        .size:           2
        .value_kind:     hidden_remainder_z
      - .offset:         736
        .size:           8
        .value_kind:     hidden_global_offset_x
      - .offset:         744
        .size:           8
        .value_kind:     hidden_global_offset_y
      - .offset:         752
        .size:           8
        .value_kind:     hidden_global_offset_z
      - .offset:         760
        .size:           2
        .value_kind:     hidden_grid_dims
    .group_segment_fixed_size: 0
    .kernarg_segment_align: 8
    .kernarg_segment_size: 952
    .language:       OpenCL C
    .language_version:
      - 2
      - 0
    .max_flat_workgroup_size: 256
    .name:           _ZN2at6native12_GLOBAL__N_124fused_dropout_kernel_vecIddjLi1ELi16EbEEvNS_4cuda6detail10TensorInfoIKT_T1_EENS5_IS6_S8_EENS5_IT4_S8_EES8_T0_NS_15PhiloxCudaStateE
    .private_segment_fixed_size: 0
    .sgpr_count:     28
    .sgpr_spill_count: 0
    .symbol:         _ZN2at6native12_GLOBAL__N_124fused_dropout_kernel_vecIddjLi1ELi16EbEEvNS_4cuda6detail10TensorInfoIKT_T1_EENS5_IS6_S8_EENS5_IT4_S8_EES8_T0_NS_15PhiloxCudaStateE.kd
    .uniform_work_group_size: 1
    .uses_dynamic_stack: false
    .vgpr_count:     130
    .vgpr_spill_count: 0
    .wavefront_size: 32
    .workgroup_processor_mode: 1
  - .args:
      - .offset:         0
        .size:           216
        .value_kind:     by_value
      - .offset:         216
        .size:           216
        .value_kind:     by_value
      - .offset:         432
        .size:           216
        .value_kind:     by_value
      - .offset:         648
        .size:           4
        .value_kind:     by_value
      - .offset:         656
        .size:           8
        .value_kind:     by_value
      - .offset:         664
        .size:           32
        .value_kind:     by_value
      - .offset:         696
        .size:           4
        .value_kind:     hidden_block_count_x
      - .offset:         700
        .size:           4
        .value_kind:     hidden_block_count_y
      - .offset:         704
        .size:           4
        .value_kind:     hidden_block_count_z
      - .offset:         708
        .size:           2
        .value_kind:     hidden_group_size_x
      - .offset:         710
        .size:           2
        .value_kind:     hidden_group_size_y
      - .offset:         712
        .size:           2
        .value_kind:     hidden_group_size_z
      - .offset:         714
        .size:           2
        .value_kind:     hidden_remainder_x
      - .offset:         716
        .size:           2
        .value_kind:     hidden_remainder_y
      - .offset:         718
        .size:           2
        .value_kind:     hidden_remainder_z
      - .offset:         736
        .size:           8
        .value_kind:     hidden_global_offset_x
      - .offset:         744
        .size:           8
        .value_kind:     hidden_global_offset_y
      - .offset:         752
        .size:           8
        .value_kind:     hidden_global_offset_z
      - .offset:         760
        .size:           2
        .value_kind:     hidden_grid_dims
    .group_segment_fixed_size: 0
    .kernarg_segment_align: 8
    .kernarg_segment_size: 952
    .language:       OpenCL C
    .language_version:
      - 2
      - 0
    .max_flat_workgroup_size: 256
    .name:           _ZN2at6native12_GLOBAL__N_124fused_dropout_kernel_vecIddjLi1ELi8EbEEvNS_4cuda6detail10TensorInfoIKT_T1_EENS5_IS6_S8_EENS5_IT4_S8_EES8_T0_NS_15PhiloxCudaStateE
    .private_segment_fixed_size: 0
    .sgpr_count:     20
    .sgpr_spill_count: 0
    .symbol:         _ZN2at6native12_GLOBAL__N_124fused_dropout_kernel_vecIddjLi1ELi8EbEEvNS_4cuda6detail10TensorInfoIKT_T1_EENS5_IS6_S8_EENS5_IT4_S8_EES8_T0_NS_15PhiloxCudaStateE.kd
    .uniform_work_group_size: 1
    .uses_dynamic_stack: false
    .vgpr_count:     84
    .vgpr_spill_count: 0
    .wavefront_size: 32
    .workgroup_processor_mode: 1
  - .args:
      - .offset:         0
        .size:           216
        .value_kind:     by_value
      - .offset:         216
        .size:           216
        .value_kind:     by_value
      - .offset:         432
        .size:           216
        .value_kind:     by_value
      - .offset:         648
        .size:           4
        .value_kind:     by_value
      - .offset:         656
        .size:           8
        .value_kind:     by_value
      - .offset:         664
        .size:           32
        .value_kind:     by_value
      - .offset:         696
        .size:           4
        .value_kind:     hidden_block_count_x
      - .offset:         700
        .size:           4
        .value_kind:     hidden_block_count_y
      - .offset:         704
        .size:           4
        .value_kind:     hidden_block_count_z
      - .offset:         708
        .size:           2
        .value_kind:     hidden_group_size_x
      - .offset:         710
        .size:           2
        .value_kind:     hidden_group_size_y
      - .offset:         712
        .size:           2
        .value_kind:     hidden_group_size_z
      - .offset:         714
        .size:           2
        .value_kind:     hidden_remainder_x
      - .offset:         716
        .size:           2
        .value_kind:     hidden_remainder_y
      - .offset:         718
        .size:           2
        .value_kind:     hidden_remainder_z
      - .offset:         736
        .size:           8
        .value_kind:     hidden_global_offset_x
      - .offset:         744
        .size:           8
        .value_kind:     hidden_global_offset_y
      - .offset:         752
        .size:           8
        .value_kind:     hidden_global_offset_z
      - .offset:         760
        .size:           2
        .value_kind:     hidden_grid_dims
    .group_segment_fixed_size: 0
    .kernarg_segment_align: 8
    .kernarg_segment_size: 952
    .language:       OpenCL C
    .language_version:
      - 2
      - 0
    .max_flat_workgroup_size: 256
    .name:           _ZN2at6native12_GLOBAL__N_124fused_dropout_kernel_vecIddjLi1ELi4EbEEvNS_4cuda6detail10TensorInfoIKT_T1_EENS5_IS6_S8_EENS5_IT4_S8_EES8_T0_NS_15PhiloxCudaStateE
    .private_segment_fixed_size: 0
    .sgpr_count:     18
    .sgpr_spill_count: 0
    .symbol:         _ZN2at6native12_GLOBAL__N_124fused_dropout_kernel_vecIddjLi1ELi4EbEEvNS_4cuda6detail10TensorInfoIKT_T1_EENS5_IS6_S8_EENS5_IT4_S8_EES8_T0_NS_15PhiloxCudaStateE.kd
    .uniform_work_group_size: 1
    .uses_dynamic_stack: false
    .vgpr_count:     61
    .vgpr_spill_count: 0
    .wavefront_size: 32
    .workgroup_processor_mode: 1
  - .args:
      - .offset:         0
        .size:           216
        .value_kind:     by_value
      - .offset:         216
        .size:           216
        .value_kind:     by_value
      - .offset:         432
        .size:           216
        .value_kind:     by_value
      - .offset:         648
        .size:           4
        .value_kind:     by_value
      - .offset:         656
        .size:           8
        .value_kind:     by_value
      - .offset:         664
        .size:           32
        .value_kind:     by_value
      - .offset:         696
        .size:           4
        .value_kind:     hidden_block_count_x
      - .offset:         700
        .size:           4
        .value_kind:     hidden_block_count_y
      - .offset:         704
        .size:           4
        .value_kind:     hidden_block_count_z
      - .offset:         708
        .size:           2
        .value_kind:     hidden_group_size_x
      - .offset:         710
        .size:           2
        .value_kind:     hidden_group_size_y
      - .offset:         712
        .size:           2
        .value_kind:     hidden_group_size_z
      - .offset:         714
        .size:           2
        .value_kind:     hidden_remainder_x
      - .offset:         716
        .size:           2
        .value_kind:     hidden_remainder_y
      - .offset:         718
        .size:           2
        .value_kind:     hidden_remainder_z
      - .offset:         736
        .size:           8
        .value_kind:     hidden_global_offset_x
      - .offset:         744
        .size:           8
        .value_kind:     hidden_global_offset_y
      - .offset:         752
        .size:           8
        .value_kind:     hidden_global_offset_z
      - .offset:         760
        .size:           2
        .value_kind:     hidden_grid_dims
    .group_segment_fixed_size: 0
    .kernarg_segment_align: 8
    .kernarg_segment_size: 952
    .language:       OpenCL C
    .language_version:
      - 2
      - 0
    .max_flat_workgroup_size: 256
    .name:           _ZN2at6native12_GLOBAL__N_124fused_dropout_kernel_vecIddjLi1ELi2EbEEvNS_4cuda6detail10TensorInfoIKT_T1_EENS5_IS6_S8_EENS5_IT4_S8_EES8_T0_NS_15PhiloxCudaStateE
    .private_segment_fixed_size: 0
    .sgpr_count:     18
    .sgpr_spill_count: 0
    .symbol:         _ZN2at6native12_GLOBAL__N_124fused_dropout_kernel_vecIddjLi1ELi2EbEEvNS_4cuda6detail10TensorInfoIKT_T1_EENS5_IS6_S8_EENS5_IT4_S8_EES8_T0_NS_15PhiloxCudaStateE.kd
    .uniform_work_group_size: 1
    .uses_dynamic_stack: false
    .vgpr_count:     49
    .vgpr_spill_count: 0
    .wavefront_size: 32
    .workgroup_processor_mode: 1
  - .args:
      - .offset:         0
        .size:           216
        .value_kind:     by_value
      - .offset:         216
        .size:           216
        .value_kind:     by_value
      - .offset:         432
        .size:           216
        .value_kind:     by_value
      - .offset:         648
        .size:           4
        .value_kind:     by_value
      - .offset:         656
        .size:           8
        .value_kind:     by_value
      - .offset:         664
        .size:           32
        .value_kind:     by_value
      - .offset:         696
        .size:           4
        .value_kind:     hidden_block_count_x
      - .offset:         700
        .size:           4
        .value_kind:     hidden_block_count_y
      - .offset:         704
        .size:           4
        .value_kind:     hidden_block_count_z
      - .offset:         708
        .size:           2
        .value_kind:     hidden_group_size_x
      - .offset:         710
        .size:           2
        .value_kind:     hidden_group_size_y
      - .offset:         712
        .size:           2
        .value_kind:     hidden_group_size_z
      - .offset:         714
        .size:           2
        .value_kind:     hidden_remainder_x
      - .offset:         716
        .size:           2
        .value_kind:     hidden_remainder_y
      - .offset:         718
        .size:           2
        .value_kind:     hidden_remainder_z
      - .offset:         736
        .size:           8
        .value_kind:     hidden_global_offset_x
      - .offset:         744
        .size:           8
        .value_kind:     hidden_global_offset_y
      - .offset:         752
        .size:           8
        .value_kind:     hidden_global_offset_z
      - .offset:         760
        .size:           2
        .value_kind:     hidden_grid_dims
    .group_segment_fixed_size: 0
    .kernarg_segment_align: 8
    .kernarg_segment_size: 952
    .language:       OpenCL C
    .language_version:
      - 2
      - 0
    .max_flat_workgroup_size: 256
    .name:           _ZN2at6native12_GLOBAL__N_120fused_dropout_kernelIddjLi1ELi1EbEEvNS_4cuda6detail10TensorInfoIKT_T1_EENS5_IS6_S8_EENS5_IT4_S8_EES8_T0_NS_15PhiloxCudaStateE
    .private_segment_fixed_size: 0
    .sgpr_count:     27
    .sgpr_spill_count: 0
    .symbol:         _ZN2at6native12_GLOBAL__N_120fused_dropout_kernelIddjLi1ELi1EbEEvNS_4cuda6detail10TensorInfoIKT_T1_EENS5_IS6_S8_EENS5_IT4_S8_EES8_T0_NS_15PhiloxCudaStateE.kd
    .uniform_work_group_size: 1
    .uses_dynamic_stack: false
    .vgpr_count:     59
    .vgpr_spill_count: 0
    .wavefront_size: 32
    .workgroup_processor_mode: 1
  - .args:
      - .offset:         0
        .size:           216
        .value_kind:     by_value
      - .offset:         216
        .size:           216
        .value_kind:     by_value
      - .offset:         432
        .size:           216
        .value_kind:     by_value
      - .offset:         648
        .size:           4
        .value_kind:     by_value
      - .offset:         656
        .size:           8
        .value_kind:     by_value
      - .offset:         664
        .size:           32
        .value_kind:     by_value
      - .offset:         696
        .size:           4
        .value_kind:     hidden_block_count_x
      - .offset:         700
        .size:           4
        .value_kind:     hidden_block_count_y
      - .offset:         704
        .size:           4
        .value_kind:     hidden_block_count_z
      - .offset:         708
        .size:           2
        .value_kind:     hidden_group_size_x
      - .offset:         710
        .size:           2
        .value_kind:     hidden_group_size_y
      - .offset:         712
        .size:           2
        .value_kind:     hidden_group_size_z
      - .offset:         714
        .size:           2
        .value_kind:     hidden_remainder_x
      - .offset:         716
        .size:           2
        .value_kind:     hidden_remainder_y
      - .offset:         718
        .size:           2
        .value_kind:     hidden_remainder_z
      - .offset:         736
        .size:           8
        .value_kind:     hidden_global_offset_x
      - .offset:         744
        .size:           8
        .value_kind:     hidden_global_offset_y
      - .offset:         752
        .size:           8
        .value_kind:     hidden_global_offset_z
      - .offset:         760
        .size:           2
        .value_kind:     hidden_grid_dims
    .group_segment_fixed_size: 0
    .kernarg_segment_align: 8
    .kernarg_segment_size: 952
    .language:       OpenCL C
    .language_version:
      - 2
      - 0
    .max_flat_workgroup_size: 256
    .name:           _ZN2at6native12_GLOBAL__N_120fused_dropout_kernelIddjLin1ELi1EbEEvNS_4cuda6detail10TensorInfoIKT_T1_EENS5_IS6_S8_EENS5_IT4_S8_EES8_T0_NS_15PhiloxCudaStateE
    .private_segment_fixed_size: 0
    .sgpr_count:     31
    .sgpr_spill_count: 0
    .symbol:         _ZN2at6native12_GLOBAL__N_120fused_dropout_kernelIddjLin1ELi1EbEEvNS_4cuda6detail10TensorInfoIKT_T1_EENS5_IS6_S8_EENS5_IT4_S8_EES8_T0_NS_15PhiloxCudaStateE.kd
    .uniform_work_group_size: 1
    .uses_dynamic_stack: false
    .vgpr_count:     56
    .vgpr_spill_count: 0
    .wavefront_size: 32
    .workgroup_processor_mode: 1
  - .args:
      - .offset:         0
        .size:           216
        .value_kind:     by_value
      - .offset:         216
        .size:           216
        .value_kind:     by_value
      - .offset:         432
        .size:           216
        .value_kind:     by_value
      - .offset:         648
        .size:           4
        .value_kind:     by_value
      - .offset:         656
        .size:           8
        .value_kind:     by_value
      - .offset:         664
        .size:           32
        .value_kind:     by_value
      - .offset:         696
        .size:           4
        .value_kind:     hidden_block_count_x
      - .offset:         700
        .size:           4
        .value_kind:     hidden_block_count_y
      - .offset:         704
        .size:           4
        .value_kind:     hidden_block_count_z
      - .offset:         708
        .size:           2
        .value_kind:     hidden_group_size_x
      - .offset:         710
        .size:           2
        .value_kind:     hidden_group_size_y
      - .offset:         712
        .size:           2
        .value_kind:     hidden_group_size_z
      - .offset:         714
        .size:           2
        .value_kind:     hidden_remainder_x
      - .offset:         716
        .size:           2
        .value_kind:     hidden_remainder_y
      - .offset:         718
        .size:           2
        .value_kind:     hidden_remainder_z
      - .offset:         736
        .size:           8
        .value_kind:     hidden_global_offset_x
      - .offset:         744
        .size:           8
        .value_kind:     hidden_global_offset_y
      - .offset:         752
        .size:           8
        .value_kind:     hidden_global_offset_z
      - .offset:         760
        .size:           2
        .value_kind:     hidden_grid_dims
    .group_segment_fixed_size: 0
    .kernarg_segment_align: 8
    .kernarg_segment_size: 952
    .language:       OpenCL C
    .language_version:
      - 2
      - 0
    .max_flat_workgroup_size: 256
    .name:           _ZN2at6native12_GLOBAL__N_120fused_dropout_kernelIddjLin1ELin1EbEEvNS_4cuda6detail10TensorInfoIKT_T1_EENS5_IS6_S8_EENS5_IT4_S8_EES8_T0_NS_15PhiloxCudaStateE
    .private_segment_fixed_size: 0
    .sgpr_count:     37
    .sgpr_spill_count: 0
    .symbol:         _ZN2at6native12_GLOBAL__N_120fused_dropout_kernelIddjLin1ELin1EbEEvNS_4cuda6detail10TensorInfoIKT_T1_EENS5_IS6_S8_EENS5_IT4_S8_EES8_T0_NS_15PhiloxCudaStateE.kd
    .uniform_work_group_size: 1
    .uses_dynamic_stack: false
    .vgpr_count:     56
    .vgpr_spill_count: 0
    .wavefront_size: 32
    .workgroup_processor_mode: 1
  - .args:
      - .offset:         0
        .size:           216
        .value_kind:     by_value
      - .offset:         216
        .size:           216
        .value_kind:     by_value
      - .offset:         432
        .size:           216
        .value_kind:     by_value
      - .offset:         648
        .size:           4
        .value_kind:     by_value
      - .offset:         652
        .size:           4
        .value_kind:     by_value
      - .offset:         656
        .size:           32
        .value_kind:     by_value
      - .offset:         688
        .size:           4
        .value_kind:     hidden_block_count_x
      - .offset:         692
        .size:           4
        .value_kind:     hidden_block_count_y
      - .offset:         696
        .size:           4
        .value_kind:     hidden_block_count_z
      - .offset:         700
        .size:           2
        .value_kind:     hidden_group_size_x
      - .offset:         702
        .size:           2
        .value_kind:     hidden_group_size_y
      - .offset:         704
        .size:           2
        .value_kind:     hidden_group_size_z
      - .offset:         706
        .size:           2
        .value_kind:     hidden_remainder_x
      - .offset:         708
        .size:           2
        .value_kind:     hidden_remainder_y
      - .offset:         710
        .size:           2
        .value_kind:     hidden_remainder_z
      - .offset:         728
        .size:           8
        .value_kind:     hidden_global_offset_x
      - .offset:         736
        .size:           8
        .value_kind:     hidden_global_offset_y
      - .offset:         744
        .size:           8
        .value_kind:     hidden_global_offset_z
      - .offset:         752
        .size:           2
        .value_kind:     hidden_grid_dims
    .group_segment_fixed_size: 0
    .kernarg_segment_align: 8
    .kernarg_segment_size: 944
    .language:       OpenCL C
    .language_version:
      - 2
      - 0
    .max_flat_workgroup_size: 256
    .name:           _ZN2at6native12_GLOBAL__N_124fused_dropout_kernel_vecIffjLi1ELi16EbEEvNS_4cuda6detail10TensorInfoIKT_T1_EENS5_IS6_S8_EENS5_IT4_S8_EES8_T0_NS_15PhiloxCudaStateE
    .private_segment_fixed_size: 0
    .sgpr_count:     27
    .sgpr_spill_count: 0
    .symbol:         _ZN2at6native12_GLOBAL__N_124fused_dropout_kernel_vecIffjLi1ELi16EbEEvNS_4cuda6detail10TensorInfoIKT_T1_EENS5_IS6_S8_EENS5_IT4_S8_EES8_T0_NS_15PhiloxCudaStateE.kd
    .uniform_work_group_size: 1
    .uses_dynamic_stack: false
    .vgpr_count:     82
    .vgpr_spill_count: 0
    .wavefront_size: 32
    .workgroup_processor_mode: 1
  - .args:
      - .offset:         0
        .size:           216
        .value_kind:     by_value
      - .offset:         216
        .size:           216
        .value_kind:     by_value
      - .offset:         432
        .size:           216
        .value_kind:     by_value
      - .offset:         648
        .size:           4
        .value_kind:     by_value
      - .offset:         652
        .size:           4
        .value_kind:     by_value
      - .offset:         656
        .size:           32
        .value_kind:     by_value
      - .offset:         688
        .size:           4
        .value_kind:     hidden_block_count_x
      - .offset:         692
        .size:           4
        .value_kind:     hidden_block_count_y
      - .offset:         696
        .size:           4
        .value_kind:     hidden_block_count_z
      - .offset:         700
        .size:           2
        .value_kind:     hidden_group_size_x
      - .offset:         702
        .size:           2
        .value_kind:     hidden_group_size_y
      - .offset:         704
        .size:           2
        .value_kind:     hidden_group_size_z
      - .offset:         706
        .size:           2
        .value_kind:     hidden_remainder_x
      - .offset:         708
        .size:           2
        .value_kind:     hidden_remainder_y
      - .offset:         710
        .size:           2
        .value_kind:     hidden_remainder_z
      - .offset:         728
        .size:           8
        .value_kind:     hidden_global_offset_x
      - .offset:         736
        .size:           8
        .value_kind:     hidden_global_offset_y
      - .offset:         744
        .size:           8
        .value_kind:     hidden_global_offset_z
      - .offset:         752
        .size:           2
        .value_kind:     hidden_grid_dims
    .group_segment_fixed_size: 0
    .kernarg_segment_align: 8
    .kernarg_segment_size: 944
    .language:       OpenCL C
    .language_version:
      - 2
      - 0
    .max_flat_workgroup_size: 256
    .name:           _ZN2at6native12_GLOBAL__N_124fused_dropout_kernel_vecIffjLi1ELi8EbEEvNS_4cuda6detail10TensorInfoIKT_T1_EENS5_IS6_S8_EENS5_IT4_S8_EES8_T0_NS_15PhiloxCudaStateE
    .private_segment_fixed_size: 0
    .sgpr_count:     19
    .sgpr_spill_count: 0
    .symbol:         _ZN2at6native12_GLOBAL__N_124fused_dropout_kernel_vecIffjLi1ELi8EbEEvNS_4cuda6detail10TensorInfoIKT_T1_EENS5_IS6_S8_EENS5_IT4_S8_EES8_T0_NS_15PhiloxCudaStateE.kd
    .uniform_work_group_size: 1
    .uses_dynamic_stack: false
    .vgpr_count:     58
    .vgpr_spill_count: 0
    .wavefront_size: 32
    .workgroup_processor_mode: 1
  - .args:
      - .offset:         0
        .size:           216
        .value_kind:     by_value
      - .offset:         216
        .size:           216
        .value_kind:     by_value
      - .offset:         432
        .size:           216
        .value_kind:     by_value
      - .offset:         648
        .size:           4
        .value_kind:     by_value
      - .offset:         652
        .size:           4
        .value_kind:     by_value
      - .offset:         656
        .size:           32
        .value_kind:     by_value
      - .offset:         688
        .size:           4
        .value_kind:     hidden_block_count_x
      - .offset:         692
        .size:           4
        .value_kind:     hidden_block_count_y
      - .offset:         696
        .size:           4
        .value_kind:     hidden_block_count_z
      - .offset:         700
        .size:           2
        .value_kind:     hidden_group_size_x
      - .offset:         702
        .size:           2
        .value_kind:     hidden_group_size_y
      - .offset:         704
        .size:           2
        .value_kind:     hidden_group_size_z
      - .offset:         706
        .size:           2
        .value_kind:     hidden_remainder_x
      - .offset:         708
        .size:           2
        .value_kind:     hidden_remainder_y
      - .offset:         710
        .size:           2
        .value_kind:     hidden_remainder_z
      - .offset:         728
        .size:           8
        .value_kind:     hidden_global_offset_x
      - .offset:         736
        .size:           8
        .value_kind:     hidden_global_offset_y
      - .offset:         744
        .size:           8
        .value_kind:     hidden_global_offset_z
      - .offset:         752
        .size:           2
        .value_kind:     hidden_grid_dims
    .group_segment_fixed_size: 0
    .kernarg_segment_align: 8
    .kernarg_segment_size: 944
    .language:       OpenCL C
    .language_version:
      - 2
      - 0
    .max_flat_workgroup_size: 256
    .name:           _ZN2at6native12_GLOBAL__N_124fused_dropout_kernel_vecIffjLi1ELi4EbEEvNS_4cuda6detail10TensorInfoIKT_T1_EENS5_IS6_S8_EENS5_IT4_S8_EES8_T0_NS_15PhiloxCudaStateE
    .private_segment_fixed_size: 0
    .sgpr_count:     18
    .sgpr_spill_count: 0
    .symbol:         _ZN2at6native12_GLOBAL__N_124fused_dropout_kernel_vecIffjLi1ELi4EbEEvNS_4cuda6detail10TensorInfoIKT_T1_EENS5_IS6_S8_EENS5_IT4_S8_EES8_T0_NS_15PhiloxCudaStateE.kd
    .uniform_work_group_size: 1
    .uses_dynamic_stack: false
    .vgpr_count:     46
    .vgpr_spill_count: 0
    .wavefront_size: 32
    .workgroup_processor_mode: 1
  - .args:
      - .offset:         0
        .size:           216
        .value_kind:     by_value
      - .offset:         216
        .size:           216
        .value_kind:     by_value
      - .offset:         432
        .size:           216
        .value_kind:     by_value
      - .offset:         648
        .size:           4
        .value_kind:     by_value
      - .offset:         652
        .size:           4
        .value_kind:     by_value
      - .offset:         656
        .size:           32
        .value_kind:     by_value
      - .offset:         688
        .size:           4
        .value_kind:     hidden_block_count_x
      - .offset:         692
        .size:           4
        .value_kind:     hidden_block_count_y
      - .offset:         696
        .size:           4
        .value_kind:     hidden_block_count_z
      - .offset:         700
        .size:           2
        .value_kind:     hidden_group_size_x
      - .offset:         702
        .size:           2
        .value_kind:     hidden_group_size_y
      - .offset:         704
        .size:           2
        .value_kind:     hidden_group_size_z
      - .offset:         706
        .size:           2
        .value_kind:     hidden_remainder_x
      - .offset:         708
        .size:           2
        .value_kind:     hidden_remainder_y
      - .offset:         710
        .size:           2
        .value_kind:     hidden_remainder_z
      - .offset:         728
        .size:           8
        .value_kind:     hidden_global_offset_x
      - .offset:         736
        .size:           8
        .value_kind:     hidden_global_offset_y
      - .offset:         744
        .size:           8
        .value_kind:     hidden_global_offset_z
      - .offset:         752
        .size:           2
        .value_kind:     hidden_grid_dims
    .group_segment_fixed_size: 0
    .kernarg_segment_align: 8
    .kernarg_segment_size: 944
    .language:       OpenCL C
    .language_version:
      - 2
      - 0
    .max_flat_workgroup_size: 256
    .name:           _ZN2at6native12_GLOBAL__N_124fused_dropout_kernel_vecIffjLi1ELi2EbEEvNS_4cuda6detail10TensorInfoIKT_T1_EENS5_IS6_S8_EENS5_IT4_S8_EES8_T0_NS_15PhiloxCudaStateE
    .private_segment_fixed_size: 0
    .sgpr_count:     18
    .sgpr_spill_count: 0
    .symbol:         _ZN2at6native12_GLOBAL__N_124fused_dropout_kernel_vecIffjLi1ELi2EbEEvNS_4cuda6detail10TensorInfoIKT_T1_EENS5_IS6_S8_EENS5_IT4_S8_EES8_T0_NS_15PhiloxCudaStateE.kd
    .uniform_work_group_size: 1
    .uses_dynamic_stack: false
    .vgpr_count:     41
    .vgpr_spill_count: 0
    .wavefront_size: 32
    .workgroup_processor_mode: 1
  - .args:
      - .offset:         0
        .size:           216
        .value_kind:     by_value
      - .offset:         216
        .size:           216
        .value_kind:     by_value
      - .offset:         432
        .size:           216
        .value_kind:     by_value
      - .offset:         648
        .size:           4
        .value_kind:     by_value
      - .offset:         652
        .size:           4
        .value_kind:     by_value
      - .offset:         656
        .size:           32
        .value_kind:     by_value
      - .offset:         688
        .size:           4
        .value_kind:     hidden_block_count_x
      - .offset:         692
        .size:           4
        .value_kind:     hidden_block_count_y
      - .offset:         696
        .size:           4
        .value_kind:     hidden_block_count_z
      - .offset:         700
        .size:           2
        .value_kind:     hidden_group_size_x
      - .offset:         702
        .size:           2
        .value_kind:     hidden_group_size_y
      - .offset:         704
        .size:           2
        .value_kind:     hidden_group_size_z
      - .offset:         706
        .size:           2
        .value_kind:     hidden_remainder_x
      - .offset:         708
        .size:           2
        .value_kind:     hidden_remainder_y
      - .offset:         710
        .size:           2
        .value_kind:     hidden_remainder_z
      - .offset:         728
        .size:           8
        .value_kind:     hidden_global_offset_x
      - .offset:         736
        .size:           8
        .value_kind:     hidden_global_offset_y
      - .offset:         744
        .size:           8
        .value_kind:     hidden_global_offset_z
      - .offset:         752
        .size:           2
        .value_kind:     hidden_grid_dims
    .group_segment_fixed_size: 0
    .kernarg_segment_align: 8
    .kernarg_segment_size: 944
    .language:       OpenCL C
    .language_version:
      - 2
      - 0
    .max_flat_workgroup_size: 256
    .name:           _ZN2at6native12_GLOBAL__N_120fused_dropout_kernelIffjLi1ELi1EbEEvNS_4cuda6detail10TensorInfoIKT_T1_EENS5_IS6_S8_EENS5_IT4_S8_EES8_T0_NS_15PhiloxCudaStateE
    .private_segment_fixed_size: 0
    .sgpr_count:     26
    .sgpr_spill_count: 0
    .symbol:         _ZN2at6native12_GLOBAL__N_120fused_dropout_kernelIffjLi1ELi1EbEEvNS_4cuda6detail10TensorInfoIKT_T1_EENS5_IS6_S8_EENS5_IT4_S8_EES8_T0_NS_15PhiloxCudaStateE.kd
    .uniform_work_group_size: 1
    .uses_dynamic_stack: false
    .vgpr_count:     54
    .vgpr_spill_count: 0
    .wavefront_size: 32
    .workgroup_processor_mode: 1
  - .args:
      - .offset:         0
        .size:           216
        .value_kind:     by_value
      - .offset:         216
        .size:           216
        .value_kind:     by_value
      - .offset:         432
        .size:           216
        .value_kind:     by_value
      - .offset:         648
        .size:           4
        .value_kind:     by_value
      - .offset:         652
        .size:           4
        .value_kind:     by_value
      - .offset:         656
        .size:           32
        .value_kind:     by_value
      - .offset:         688
        .size:           4
        .value_kind:     hidden_block_count_x
      - .offset:         692
        .size:           4
        .value_kind:     hidden_block_count_y
      - .offset:         696
        .size:           4
        .value_kind:     hidden_block_count_z
      - .offset:         700
        .size:           2
        .value_kind:     hidden_group_size_x
      - .offset:         702
        .size:           2
        .value_kind:     hidden_group_size_y
      - .offset:         704
        .size:           2
        .value_kind:     hidden_group_size_z
      - .offset:         706
        .size:           2
        .value_kind:     hidden_remainder_x
      - .offset:         708
        .size:           2
        .value_kind:     hidden_remainder_y
      - .offset:         710
        .size:           2
        .value_kind:     hidden_remainder_z
      - .offset:         728
        .size:           8
        .value_kind:     hidden_global_offset_x
      - .offset:         736
        .size:           8
        .value_kind:     hidden_global_offset_y
      - .offset:         744
        .size:           8
        .value_kind:     hidden_global_offset_z
      - .offset:         752
        .size:           2
        .value_kind:     hidden_grid_dims
    .group_segment_fixed_size: 0
    .kernarg_segment_align: 8
    .kernarg_segment_size: 944
    .language:       OpenCL C
    .language_version:
      - 2
      - 0
    .max_flat_workgroup_size: 256
    .name:           _ZN2at6native12_GLOBAL__N_120fused_dropout_kernelIffjLin1ELi1EbEEvNS_4cuda6detail10TensorInfoIKT_T1_EENS5_IS6_S8_EENS5_IT4_S8_EES8_T0_NS_15PhiloxCudaStateE
    .private_segment_fixed_size: 0
    .sgpr_count:     30
    .sgpr_spill_count: 0
    .symbol:         _ZN2at6native12_GLOBAL__N_120fused_dropout_kernelIffjLin1ELi1EbEEvNS_4cuda6detail10TensorInfoIKT_T1_EENS5_IS6_S8_EENS5_IT4_S8_EES8_T0_NS_15PhiloxCudaStateE.kd
    .uniform_work_group_size: 1
    .uses_dynamic_stack: false
    .vgpr_count:     48
    .vgpr_spill_count: 0
    .wavefront_size: 32
    .workgroup_processor_mode: 1
  - .args:
      - .offset:         0
        .size:           216
        .value_kind:     by_value
      - .offset:         216
        .size:           216
        .value_kind:     by_value
      - .offset:         432
        .size:           216
        .value_kind:     by_value
      - .offset:         648
        .size:           4
        .value_kind:     by_value
      - .offset:         652
        .size:           4
        .value_kind:     by_value
      - .offset:         656
        .size:           32
        .value_kind:     by_value
      - .offset:         688
        .size:           4
        .value_kind:     hidden_block_count_x
      - .offset:         692
        .size:           4
        .value_kind:     hidden_block_count_y
      - .offset:         696
        .size:           4
        .value_kind:     hidden_block_count_z
      - .offset:         700
        .size:           2
        .value_kind:     hidden_group_size_x
      - .offset:         702
        .size:           2
        .value_kind:     hidden_group_size_y
      - .offset:         704
        .size:           2
        .value_kind:     hidden_group_size_z
      - .offset:         706
        .size:           2
        .value_kind:     hidden_remainder_x
      - .offset:         708
        .size:           2
        .value_kind:     hidden_remainder_y
      - .offset:         710
        .size:           2
        .value_kind:     hidden_remainder_z
      - .offset:         728
        .size:           8
        .value_kind:     hidden_global_offset_x
      - .offset:         736
        .size:           8
        .value_kind:     hidden_global_offset_y
      - .offset:         744
        .size:           8
        .value_kind:     hidden_global_offset_z
      - .offset:         752
        .size:           2
        .value_kind:     hidden_grid_dims
    .group_segment_fixed_size: 0
    .kernarg_segment_align: 8
    .kernarg_segment_size: 944
    .language:       OpenCL C
    .language_version:
      - 2
      - 0
    .max_flat_workgroup_size: 256
    .name:           _ZN2at6native12_GLOBAL__N_120fused_dropout_kernelIffjLin1ELin1EbEEvNS_4cuda6detail10TensorInfoIKT_T1_EENS5_IS6_S8_EENS5_IT4_S8_EES8_T0_NS_15PhiloxCudaStateE
    .private_segment_fixed_size: 0
    .sgpr_count:     36
    .sgpr_spill_count: 0
    .symbol:         _ZN2at6native12_GLOBAL__N_120fused_dropout_kernelIffjLin1ELin1EbEEvNS_4cuda6detail10TensorInfoIKT_T1_EENS5_IS6_S8_EENS5_IT4_S8_EES8_T0_NS_15PhiloxCudaStateE.kd
    .uniform_work_group_size: 1
    .uses_dynamic_stack: false
    .vgpr_count:     49
    .vgpr_spill_count: 0
    .wavefront_size: 32
    .workgroup_processor_mode: 1
  - .args:
      - .offset:         0
        .size:           216
        .value_kind:     by_value
      - .offset:         216
        .size:           216
        .value_kind:     by_value
      - .offset:         432
        .size:           216
        .value_kind:     by_value
      - .offset:         648
        .size:           4
        .value_kind:     by_value
      - .offset:         652
        .size:           4
        .value_kind:     by_value
      - .offset:         656
        .size:           32
        .value_kind:     by_value
      - .offset:         688
        .size:           4
        .value_kind:     hidden_block_count_x
      - .offset:         692
        .size:           4
        .value_kind:     hidden_block_count_y
      - .offset:         696
        .size:           4
        .value_kind:     hidden_block_count_z
      - .offset:         700
        .size:           2
        .value_kind:     hidden_group_size_x
      - .offset:         702
        .size:           2
        .value_kind:     hidden_group_size_y
      - .offset:         704
        .size:           2
        .value_kind:     hidden_group_size_z
      - .offset:         706
        .size:           2
        .value_kind:     hidden_remainder_x
      - .offset:         708
        .size:           2
        .value_kind:     hidden_remainder_y
      - .offset:         710
        .size:           2
        .value_kind:     hidden_remainder_z
      - .offset:         728
        .size:           8
        .value_kind:     hidden_global_offset_x
      - .offset:         736
        .size:           8
        .value_kind:     hidden_global_offset_y
      - .offset:         744
        .size:           8
        .value_kind:     hidden_global_offset_z
      - .offset:         752
        .size:           2
        .value_kind:     hidden_grid_dims
    .group_segment_fixed_size: 0
    .kernarg_segment_align: 8
    .kernarg_segment_size: 944
    .language:       OpenCL C
    .language_version:
      - 2
      - 0
    .max_flat_workgroup_size: 256
    .name:           _ZN2at6native12_GLOBAL__N_124fused_dropout_kernel_vecIN3c104HalfEfjLi1ELi16EbEEvNS_4cuda6detail10TensorInfoIKT_T1_EENS7_IS8_SA_EENS7_IT4_SA_EESA_T0_NS_15PhiloxCudaStateE
    .private_segment_fixed_size: 0
    .sgpr_count:     27
    .sgpr_spill_count: 0
    .symbol:         _ZN2at6native12_GLOBAL__N_124fused_dropout_kernel_vecIN3c104HalfEfjLi1ELi16EbEEvNS_4cuda6detail10TensorInfoIKT_T1_EENS7_IS8_SA_EENS7_IT4_SA_EESA_T0_NS_15PhiloxCudaStateE.kd
    .uniform_work_group_size: 1
    .uses_dynamic_stack: false
    .vgpr_count:     74
    .vgpr_spill_count: 0
    .wavefront_size: 32
    .workgroup_processor_mode: 1
  - .args:
      - .offset:         0
        .size:           216
        .value_kind:     by_value
      - .offset:         216
        .size:           216
        .value_kind:     by_value
      - .offset:         432
        .size:           216
        .value_kind:     by_value
      - .offset:         648
        .size:           4
        .value_kind:     by_value
      - .offset:         652
        .size:           4
        .value_kind:     by_value
      - .offset:         656
        .size:           32
        .value_kind:     by_value
      - .offset:         688
        .size:           4
        .value_kind:     hidden_block_count_x
      - .offset:         692
        .size:           4
        .value_kind:     hidden_block_count_y
      - .offset:         696
        .size:           4
        .value_kind:     hidden_block_count_z
      - .offset:         700
        .size:           2
        .value_kind:     hidden_group_size_x
      - .offset:         702
        .size:           2
        .value_kind:     hidden_group_size_y
      - .offset:         704
        .size:           2
        .value_kind:     hidden_group_size_z
      - .offset:         706
        .size:           2
        .value_kind:     hidden_remainder_x
      - .offset:         708
        .size:           2
        .value_kind:     hidden_remainder_y
      - .offset:         710
        .size:           2
        .value_kind:     hidden_remainder_z
      - .offset:         728
        .size:           8
        .value_kind:     hidden_global_offset_x
      - .offset:         736
        .size:           8
        .value_kind:     hidden_global_offset_y
      - .offset:         744
        .size:           8
        .value_kind:     hidden_global_offset_z
      - .offset:         752
        .size:           2
        .value_kind:     hidden_grid_dims
    .group_segment_fixed_size: 0
    .kernarg_segment_align: 8
    .kernarg_segment_size: 944
    .language:       OpenCL C
    .language_version:
      - 2
      - 0
    .max_flat_workgroup_size: 256
    .name:           _ZN2at6native12_GLOBAL__N_124fused_dropout_kernel_vecIN3c104HalfEfjLi1ELi8EbEEvNS_4cuda6detail10TensorInfoIKT_T1_EENS7_IS8_SA_EENS7_IT4_SA_EESA_T0_NS_15PhiloxCudaStateE
    .private_segment_fixed_size: 0
    .sgpr_count:     19
    .sgpr_spill_count: 0
    .symbol:         _ZN2at6native12_GLOBAL__N_124fused_dropout_kernel_vecIN3c104HalfEfjLi1ELi8EbEEvNS_4cuda6detail10TensorInfoIKT_T1_EENS7_IS8_SA_EENS7_IT4_SA_EESA_T0_NS_15PhiloxCudaStateE.kd
    .uniform_work_group_size: 1
    .uses_dynamic_stack: false
    .vgpr_count:     54
    .vgpr_spill_count: 0
    .wavefront_size: 32
    .workgroup_processor_mode: 1
  - .args:
      - .offset:         0
        .size:           216
        .value_kind:     by_value
      - .offset:         216
        .size:           216
        .value_kind:     by_value
      - .offset:         432
        .size:           216
        .value_kind:     by_value
      - .offset:         648
        .size:           4
        .value_kind:     by_value
      - .offset:         652
        .size:           4
        .value_kind:     by_value
      - .offset:         656
        .size:           32
        .value_kind:     by_value
      - .offset:         688
        .size:           4
        .value_kind:     hidden_block_count_x
      - .offset:         692
        .size:           4
        .value_kind:     hidden_block_count_y
      - .offset:         696
        .size:           4
        .value_kind:     hidden_block_count_z
      - .offset:         700
        .size:           2
        .value_kind:     hidden_group_size_x
      - .offset:         702
        .size:           2
        .value_kind:     hidden_group_size_y
      - .offset:         704
        .size:           2
        .value_kind:     hidden_group_size_z
      - .offset:         706
        .size:           2
        .value_kind:     hidden_remainder_x
      - .offset:         708
        .size:           2
        .value_kind:     hidden_remainder_y
      - .offset:         710
        .size:           2
        .value_kind:     hidden_remainder_z
      - .offset:         728
        .size:           8
        .value_kind:     hidden_global_offset_x
      - .offset:         736
        .size:           8
        .value_kind:     hidden_global_offset_y
      - .offset:         744
        .size:           8
        .value_kind:     hidden_global_offset_z
      - .offset:         752
        .size:           2
        .value_kind:     hidden_grid_dims
    .group_segment_fixed_size: 0
    .kernarg_segment_align: 8
    .kernarg_segment_size: 944
    .language:       OpenCL C
    .language_version:
      - 2
      - 0
    .max_flat_workgroup_size: 256
    .name:           _ZN2at6native12_GLOBAL__N_124fused_dropout_kernel_vecIN3c104HalfEfjLi1ELi4EbEEvNS_4cuda6detail10TensorInfoIKT_T1_EENS7_IS8_SA_EENS7_IT4_SA_EESA_T0_NS_15PhiloxCudaStateE
    .private_segment_fixed_size: 0
    .sgpr_count:     18
    .sgpr_spill_count: 0
    .symbol:         _ZN2at6native12_GLOBAL__N_124fused_dropout_kernel_vecIN3c104HalfEfjLi1ELi4EbEEvNS_4cuda6detail10TensorInfoIKT_T1_EENS7_IS8_SA_EENS7_IT4_SA_EESA_T0_NS_15PhiloxCudaStateE.kd
    .uniform_work_group_size: 1
    .uses_dynamic_stack: false
    .vgpr_count:     45
    .vgpr_spill_count: 0
    .wavefront_size: 32
    .workgroup_processor_mode: 1
  - .args:
      - .offset:         0
        .size:           216
        .value_kind:     by_value
      - .offset:         216
        .size:           216
        .value_kind:     by_value
      - .offset:         432
        .size:           216
        .value_kind:     by_value
      - .offset:         648
        .size:           4
        .value_kind:     by_value
      - .offset:         652
        .size:           4
        .value_kind:     by_value
      - .offset:         656
        .size:           32
        .value_kind:     by_value
      - .offset:         688
        .size:           4
        .value_kind:     hidden_block_count_x
      - .offset:         692
        .size:           4
        .value_kind:     hidden_block_count_y
      - .offset:         696
        .size:           4
        .value_kind:     hidden_block_count_z
      - .offset:         700
        .size:           2
        .value_kind:     hidden_group_size_x
      - .offset:         702
        .size:           2
        .value_kind:     hidden_group_size_y
      - .offset:         704
        .size:           2
        .value_kind:     hidden_group_size_z
      - .offset:         706
        .size:           2
        .value_kind:     hidden_remainder_x
      - .offset:         708
        .size:           2
        .value_kind:     hidden_remainder_y
      - .offset:         710
        .size:           2
        .value_kind:     hidden_remainder_z
      - .offset:         728
        .size:           8
        .value_kind:     hidden_global_offset_x
      - .offset:         736
        .size:           8
        .value_kind:     hidden_global_offset_y
      - .offset:         744
        .size:           8
        .value_kind:     hidden_global_offset_z
      - .offset:         752
        .size:           2
        .value_kind:     hidden_grid_dims
    .group_segment_fixed_size: 0
    .kernarg_segment_align: 8
    .kernarg_segment_size: 944
    .language:       OpenCL C
    .language_version:
      - 2
      - 0
    .max_flat_workgroup_size: 256
    .name:           _ZN2at6native12_GLOBAL__N_124fused_dropout_kernel_vecIN3c104HalfEfjLi1ELi2EbEEvNS_4cuda6detail10TensorInfoIKT_T1_EENS7_IS8_SA_EENS7_IT4_SA_EESA_T0_NS_15PhiloxCudaStateE
    .private_segment_fixed_size: 0
    .sgpr_count:     18
    .sgpr_spill_count: 0
    .symbol:         _ZN2at6native12_GLOBAL__N_124fused_dropout_kernel_vecIN3c104HalfEfjLi1ELi2EbEEvNS_4cuda6detail10TensorInfoIKT_T1_EENS7_IS8_SA_EENS7_IT4_SA_EESA_T0_NS_15PhiloxCudaStateE.kd
    .uniform_work_group_size: 1
    .uses_dynamic_stack: false
    .vgpr_count:     41
    .vgpr_spill_count: 0
    .wavefront_size: 32
    .workgroup_processor_mode: 1
  - .args:
      - .offset:         0
        .size:           216
        .value_kind:     by_value
      - .offset:         216
        .size:           216
        .value_kind:     by_value
      - .offset:         432
        .size:           216
        .value_kind:     by_value
      - .offset:         648
        .size:           4
        .value_kind:     by_value
      - .offset:         652
        .size:           4
        .value_kind:     by_value
      - .offset:         656
        .size:           32
        .value_kind:     by_value
      - .offset:         688
        .size:           4
        .value_kind:     hidden_block_count_x
      - .offset:         692
        .size:           4
        .value_kind:     hidden_block_count_y
      - .offset:         696
        .size:           4
        .value_kind:     hidden_block_count_z
      - .offset:         700
        .size:           2
        .value_kind:     hidden_group_size_x
      - .offset:         702
        .size:           2
        .value_kind:     hidden_group_size_y
      - .offset:         704
        .size:           2
        .value_kind:     hidden_group_size_z
      - .offset:         706
        .size:           2
        .value_kind:     hidden_remainder_x
      - .offset:         708
        .size:           2
        .value_kind:     hidden_remainder_y
      - .offset:         710
        .size:           2
        .value_kind:     hidden_remainder_z
      - .offset:         728
        .size:           8
        .value_kind:     hidden_global_offset_x
      - .offset:         736
        .size:           8
        .value_kind:     hidden_global_offset_y
      - .offset:         744
        .size:           8
        .value_kind:     hidden_global_offset_z
      - .offset:         752
        .size:           2
        .value_kind:     hidden_grid_dims
    .group_segment_fixed_size: 0
    .kernarg_segment_align: 8
    .kernarg_segment_size: 944
    .language:       OpenCL C
    .language_version:
      - 2
      - 0
    .max_flat_workgroup_size: 256
    .name:           _ZN2at6native12_GLOBAL__N_120fused_dropout_kernelIN3c104HalfEfjLi1ELi1EbEEvNS_4cuda6detail10TensorInfoIKT_T1_EENS7_IS8_SA_EENS7_IT4_SA_EESA_T0_NS_15PhiloxCudaStateE
    .private_segment_fixed_size: 0
    .sgpr_count:     26
    .sgpr_spill_count: 0
    .symbol:         _ZN2at6native12_GLOBAL__N_120fused_dropout_kernelIN3c104HalfEfjLi1ELi1EbEEvNS_4cuda6detail10TensorInfoIKT_T1_EENS7_IS8_SA_EENS7_IT4_SA_EESA_T0_NS_15PhiloxCudaStateE.kd
    .uniform_work_group_size: 1
    .uses_dynamic_stack: false
    .vgpr_count:     54
    .vgpr_spill_count: 0
    .wavefront_size: 32
    .workgroup_processor_mode: 1
  - .args:
      - .offset:         0
        .size:           216
        .value_kind:     by_value
      - .offset:         216
        .size:           216
        .value_kind:     by_value
      - .offset:         432
        .size:           216
        .value_kind:     by_value
      - .offset:         648
        .size:           4
        .value_kind:     by_value
      - .offset:         652
        .size:           4
        .value_kind:     by_value
      - .offset:         656
        .size:           32
        .value_kind:     by_value
      - .offset:         688
        .size:           4
        .value_kind:     hidden_block_count_x
      - .offset:         692
        .size:           4
        .value_kind:     hidden_block_count_y
      - .offset:         696
        .size:           4
        .value_kind:     hidden_block_count_z
      - .offset:         700
        .size:           2
        .value_kind:     hidden_group_size_x
      - .offset:         702
        .size:           2
        .value_kind:     hidden_group_size_y
      - .offset:         704
        .size:           2
        .value_kind:     hidden_group_size_z
      - .offset:         706
        .size:           2
        .value_kind:     hidden_remainder_x
      - .offset:         708
        .size:           2
        .value_kind:     hidden_remainder_y
      - .offset:         710
        .size:           2
        .value_kind:     hidden_remainder_z
      - .offset:         728
        .size:           8
        .value_kind:     hidden_global_offset_x
      - .offset:         736
        .size:           8
        .value_kind:     hidden_global_offset_y
      - .offset:         744
        .size:           8
        .value_kind:     hidden_global_offset_z
      - .offset:         752
        .size:           2
        .value_kind:     hidden_grid_dims
    .group_segment_fixed_size: 0
    .kernarg_segment_align: 8
    .kernarg_segment_size: 944
    .language:       OpenCL C
    .language_version:
      - 2
      - 0
    .max_flat_workgroup_size: 256
    .name:           _ZN2at6native12_GLOBAL__N_120fused_dropout_kernelIN3c104HalfEfjLin1ELi1EbEEvNS_4cuda6detail10TensorInfoIKT_T1_EENS7_IS8_SA_EENS7_IT4_SA_EESA_T0_NS_15PhiloxCudaStateE
    .private_segment_fixed_size: 0
    .sgpr_count:     30
    .sgpr_spill_count: 0
    .symbol:         _ZN2at6native12_GLOBAL__N_120fused_dropout_kernelIN3c104HalfEfjLin1ELi1EbEEvNS_4cuda6detail10TensorInfoIKT_T1_EENS7_IS8_SA_EENS7_IT4_SA_EESA_T0_NS_15PhiloxCudaStateE.kd
    .uniform_work_group_size: 1
    .uses_dynamic_stack: false
    .vgpr_count:     48
    .vgpr_spill_count: 0
    .wavefront_size: 32
    .workgroup_processor_mode: 1
  - .args:
      - .offset:         0
        .size:           216
        .value_kind:     by_value
      - .offset:         216
        .size:           216
        .value_kind:     by_value
      - .offset:         432
        .size:           216
        .value_kind:     by_value
      - .offset:         648
        .size:           4
        .value_kind:     by_value
      - .offset:         652
        .size:           4
        .value_kind:     by_value
      - .offset:         656
        .size:           32
        .value_kind:     by_value
      - .offset:         688
        .size:           4
        .value_kind:     hidden_block_count_x
      - .offset:         692
        .size:           4
        .value_kind:     hidden_block_count_y
      - .offset:         696
        .size:           4
        .value_kind:     hidden_block_count_z
      - .offset:         700
        .size:           2
        .value_kind:     hidden_group_size_x
      - .offset:         702
        .size:           2
        .value_kind:     hidden_group_size_y
      - .offset:         704
        .size:           2
        .value_kind:     hidden_group_size_z
      - .offset:         706
        .size:           2
        .value_kind:     hidden_remainder_x
      - .offset:         708
        .size:           2
        .value_kind:     hidden_remainder_y
      - .offset:         710
        .size:           2
        .value_kind:     hidden_remainder_z
      - .offset:         728
        .size:           8
        .value_kind:     hidden_global_offset_x
      - .offset:         736
        .size:           8
        .value_kind:     hidden_global_offset_y
      - .offset:         744
        .size:           8
        .value_kind:     hidden_global_offset_z
      - .offset:         752
        .size:           2
        .value_kind:     hidden_grid_dims
    .group_segment_fixed_size: 0
    .kernarg_segment_align: 8
    .kernarg_segment_size: 944
    .language:       OpenCL C
    .language_version:
      - 2
      - 0
    .max_flat_workgroup_size: 256
    .name:           _ZN2at6native12_GLOBAL__N_120fused_dropout_kernelIN3c104HalfEfjLin1ELin1EbEEvNS_4cuda6detail10TensorInfoIKT_T1_EENS7_IS8_SA_EENS7_IT4_SA_EESA_T0_NS_15PhiloxCudaStateE
    .private_segment_fixed_size: 0
    .sgpr_count:     36
    .sgpr_spill_count: 0
    .symbol:         _ZN2at6native12_GLOBAL__N_120fused_dropout_kernelIN3c104HalfEfjLin1ELin1EbEEvNS_4cuda6detail10TensorInfoIKT_T1_EENS7_IS8_SA_EENS7_IT4_SA_EESA_T0_NS_15PhiloxCudaStateE.kd
    .uniform_work_group_size: 1
    .uses_dynamic_stack: false
    .vgpr_count:     49
    .vgpr_spill_count: 0
    .wavefront_size: 32
    .workgroup_processor_mode: 1
  - .args:
      - .offset:         0
        .size:           216
        .value_kind:     by_value
      - .offset:         216
        .size:           216
        .value_kind:     by_value
      - .offset:         432
        .size:           216
        .value_kind:     by_value
      - .offset:         648
        .size:           4
        .value_kind:     by_value
      - .offset:         652
        .size:           4
        .value_kind:     by_value
      - .offset:         656
        .size:           32
        .value_kind:     by_value
      - .offset:         688
        .size:           4
        .value_kind:     hidden_block_count_x
      - .offset:         692
        .size:           4
        .value_kind:     hidden_block_count_y
      - .offset:         696
        .size:           4
        .value_kind:     hidden_block_count_z
      - .offset:         700
        .size:           2
        .value_kind:     hidden_group_size_x
      - .offset:         702
        .size:           2
        .value_kind:     hidden_group_size_y
      - .offset:         704
        .size:           2
        .value_kind:     hidden_group_size_z
      - .offset:         706
        .size:           2
        .value_kind:     hidden_remainder_x
      - .offset:         708
        .size:           2
        .value_kind:     hidden_remainder_y
      - .offset:         710
        .size:           2
        .value_kind:     hidden_remainder_z
      - .offset:         728
        .size:           8
        .value_kind:     hidden_global_offset_x
      - .offset:         736
        .size:           8
        .value_kind:     hidden_global_offset_y
      - .offset:         744
        .size:           8
        .value_kind:     hidden_global_offset_z
      - .offset:         752
        .size:           2
        .value_kind:     hidden_grid_dims
    .group_segment_fixed_size: 0
    .kernarg_segment_align: 8
    .kernarg_segment_size: 944
    .language:       OpenCL C
    .language_version:
      - 2
      - 0
    .max_flat_workgroup_size: 256
    .name:           _ZN2at6native12_GLOBAL__N_124fused_dropout_kernel_vecIN3c108BFloat16EfjLi1ELi16EbEEvNS_4cuda6detail10TensorInfoIKT_T1_EENS7_IS8_SA_EENS7_IT4_SA_EESA_T0_NS_15PhiloxCudaStateE
    .private_segment_fixed_size: 0
    .sgpr_count:     28
    .sgpr_spill_count: 0
    .symbol:         _ZN2at6native12_GLOBAL__N_124fused_dropout_kernel_vecIN3c108BFloat16EfjLi1ELi16EbEEvNS_4cuda6detail10TensorInfoIKT_T1_EENS7_IS8_SA_EENS7_IT4_SA_EESA_T0_NS_15PhiloxCudaStateE.kd
    .uniform_work_group_size: 1
    .uses_dynamic_stack: false
    .vgpr_count:     74
    .vgpr_spill_count: 0
    .wavefront_size: 32
    .workgroup_processor_mode: 1
  - .args:
      - .offset:         0
        .size:           216
        .value_kind:     by_value
      - .offset:         216
        .size:           216
        .value_kind:     by_value
      - .offset:         432
        .size:           216
        .value_kind:     by_value
      - .offset:         648
        .size:           4
        .value_kind:     by_value
      - .offset:         652
        .size:           4
        .value_kind:     by_value
      - .offset:         656
        .size:           32
        .value_kind:     by_value
      - .offset:         688
        .size:           4
        .value_kind:     hidden_block_count_x
      - .offset:         692
        .size:           4
        .value_kind:     hidden_block_count_y
      - .offset:         696
        .size:           4
        .value_kind:     hidden_block_count_z
      - .offset:         700
        .size:           2
        .value_kind:     hidden_group_size_x
      - .offset:         702
        .size:           2
        .value_kind:     hidden_group_size_y
      - .offset:         704
        .size:           2
        .value_kind:     hidden_group_size_z
      - .offset:         706
        .size:           2
        .value_kind:     hidden_remainder_x
      - .offset:         708
        .size:           2
        .value_kind:     hidden_remainder_y
      - .offset:         710
        .size:           2
        .value_kind:     hidden_remainder_z
      - .offset:         728
        .size:           8
        .value_kind:     hidden_global_offset_x
      - .offset:         736
        .size:           8
        .value_kind:     hidden_global_offset_y
      - .offset:         744
        .size:           8
        .value_kind:     hidden_global_offset_z
      - .offset:         752
        .size:           2
        .value_kind:     hidden_grid_dims
    .group_segment_fixed_size: 0
    .kernarg_segment_align: 8
    .kernarg_segment_size: 944
    .language:       OpenCL C
    .language_version:
      - 2
      - 0
    .max_flat_workgroup_size: 256
    .name:           _ZN2at6native12_GLOBAL__N_124fused_dropout_kernel_vecIN3c108BFloat16EfjLi1ELi8EbEEvNS_4cuda6detail10TensorInfoIKT_T1_EENS7_IS8_SA_EENS7_IT4_SA_EESA_T0_NS_15PhiloxCudaStateE
    .private_segment_fixed_size: 0
    .sgpr_count:     20
    .sgpr_spill_count: 0
    .symbol:         _ZN2at6native12_GLOBAL__N_124fused_dropout_kernel_vecIN3c108BFloat16EfjLi1ELi8EbEEvNS_4cuda6detail10TensorInfoIKT_T1_EENS7_IS8_SA_EENS7_IT4_SA_EESA_T0_NS_15PhiloxCudaStateE.kd
    .uniform_work_group_size: 1
    .uses_dynamic_stack: false
    .vgpr_count:     54
    .vgpr_spill_count: 0
    .wavefront_size: 32
    .workgroup_processor_mode: 1
  - .args:
      - .offset:         0
        .size:           216
        .value_kind:     by_value
      - .offset:         216
        .size:           216
        .value_kind:     by_value
      - .offset:         432
        .size:           216
        .value_kind:     by_value
      - .offset:         648
        .size:           4
        .value_kind:     by_value
      - .offset:         652
        .size:           4
        .value_kind:     by_value
      - .offset:         656
        .size:           32
        .value_kind:     by_value
      - .offset:         688
        .size:           4
        .value_kind:     hidden_block_count_x
      - .offset:         692
        .size:           4
        .value_kind:     hidden_block_count_y
      - .offset:         696
        .size:           4
        .value_kind:     hidden_block_count_z
      - .offset:         700
        .size:           2
        .value_kind:     hidden_group_size_x
      - .offset:         702
        .size:           2
        .value_kind:     hidden_group_size_y
      - .offset:         704
        .size:           2
        .value_kind:     hidden_group_size_z
      - .offset:         706
        .size:           2
        .value_kind:     hidden_remainder_x
      - .offset:         708
        .size:           2
        .value_kind:     hidden_remainder_y
      - .offset:         710
        .size:           2
        .value_kind:     hidden_remainder_z
      - .offset:         728
        .size:           8
        .value_kind:     hidden_global_offset_x
      - .offset:         736
        .size:           8
        .value_kind:     hidden_global_offset_y
      - .offset:         744
        .size:           8
        .value_kind:     hidden_global_offset_z
      - .offset:         752
        .size:           2
        .value_kind:     hidden_grid_dims
    .group_segment_fixed_size: 0
    .kernarg_segment_align: 8
    .kernarg_segment_size: 944
    .language:       OpenCL C
    .language_version:
      - 2
      - 0
    .max_flat_workgroup_size: 256
    .name:           _ZN2at6native12_GLOBAL__N_124fused_dropout_kernel_vecIN3c108BFloat16EfjLi1ELi4EbEEvNS_4cuda6detail10TensorInfoIKT_T1_EENS7_IS8_SA_EENS7_IT4_SA_EESA_T0_NS_15PhiloxCudaStateE
    .private_segment_fixed_size: 0
    .sgpr_count:     18
    .sgpr_spill_count: 0
    .symbol:         _ZN2at6native12_GLOBAL__N_124fused_dropout_kernel_vecIN3c108BFloat16EfjLi1ELi4EbEEvNS_4cuda6detail10TensorInfoIKT_T1_EENS7_IS8_SA_EENS7_IT4_SA_EESA_T0_NS_15PhiloxCudaStateE.kd
    .uniform_work_group_size: 1
    .uses_dynamic_stack: false
    .vgpr_count:     46
    .vgpr_spill_count: 0
    .wavefront_size: 32
    .workgroup_processor_mode: 1
  - .args:
      - .offset:         0
        .size:           216
        .value_kind:     by_value
      - .offset:         216
        .size:           216
        .value_kind:     by_value
      - .offset:         432
        .size:           216
        .value_kind:     by_value
      - .offset:         648
        .size:           4
        .value_kind:     by_value
      - .offset:         652
        .size:           4
        .value_kind:     by_value
      - .offset:         656
        .size:           32
        .value_kind:     by_value
      - .offset:         688
        .size:           4
        .value_kind:     hidden_block_count_x
      - .offset:         692
        .size:           4
        .value_kind:     hidden_block_count_y
      - .offset:         696
        .size:           4
        .value_kind:     hidden_block_count_z
      - .offset:         700
        .size:           2
        .value_kind:     hidden_group_size_x
      - .offset:         702
        .size:           2
        .value_kind:     hidden_group_size_y
      - .offset:         704
        .size:           2
        .value_kind:     hidden_group_size_z
      - .offset:         706
        .size:           2
        .value_kind:     hidden_remainder_x
      - .offset:         708
        .size:           2
        .value_kind:     hidden_remainder_y
      - .offset:         710
        .size:           2
        .value_kind:     hidden_remainder_z
      - .offset:         728
        .size:           8
        .value_kind:     hidden_global_offset_x
      - .offset:         736
        .size:           8
        .value_kind:     hidden_global_offset_y
      - .offset:         744
        .size:           8
        .value_kind:     hidden_global_offset_z
      - .offset:         752
        .size:           2
        .value_kind:     hidden_grid_dims
    .group_segment_fixed_size: 0
    .kernarg_segment_align: 8
    .kernarg_segment_size: 944
    .language:       OpenCL C
    .language_version:
      - 2
      - 0
    .max_flat_workgroup_size: 256
    .name:           _ZN2at6native12_GLOBAL__N_124fused_dropout_kernel_vecIN3c108BFloat16EfjLi1ELi2EbEEvNS_4cuda6detail10TensorInfoIKT_T1_EENS7_IS8_SA_EENS7_IT4_SA_EESA_T0_NS_15PhiloxCudaStateE
    .private_segment_fixed_size: 0
    .sgpr_count:     18
    .sgpr_spill_count: 0
    .symbol:         _ZN2at6native12_GLOBAL__N_124fused_dropout_kernel_vecIN3c108BFloat16EfjLi1ELi2EbEEvNS_4cuda6detail10TensorInfoIKT_T1_EENS7_IS8_SA_EENS7_IT4_SA_EESA_T0_NS_15PhiloxCudaStateE.kd
    .uniform_work_group_size: 1
    .uses_dynamic_stack: false
    .vgpr_count:     41
    .vgpr_spill_count: 0
    .wavefront_size: 32
    .workgroup_processor_mode: 1
  - .args:
      - .offset:         0
        .size:           216
        .value_kind:     by_value
      - .offset:         216
        .size:           216
        .value_kind:     by_value
      - .offset:         432
        .size:           216
        .value_kind:     by_value
      - .offset:         648
        .size:           4
        .value_kind:     by_value
      - .offset:         652
        .size:           4
        .value_kind:     by_value
      - .offset:         656
        .size:           32
        .value_kind:     by_value
      - .offset:         688
        .size:           4
        .value_kind:     hidden_block_count_x
      - .offset:         692
        .size:           4
        .value_kind:     hidden_block_count_y
      - .offset:         696
        .size:           4
        .value_kind:     hidden_block_count_z
      - .offset:         700
        .size:           2
        .value_kind:     hidden_group_size_x
      - .offset:         702
        .size:           2
        .value_kind:     hidden_group_size_y
      - .offset:         704
        .size:           2
        .value_kind:     hidden_group_size_z
      - .offset:         706
        .size:           2
        .value_kind:     hidden_remainder_x
      - .offset:         708
        .size:           2
        .value_kind:     hidden_remainder_y
      - .offset:         710
        .size:           2
        .value_kind:     hidden_remainder_z
      - .offset:         728
        .size:           8
        .value_kind:     hidden_global_offset_x
      - .offset:         736
        .size:           8
        .value_kind:     hidden_global_offset_y
      - .offset:         744
        .size:           8
        .value_kind:     hidden_global_offset_z
      - .offset:         752
        .size:           2
        .value_kind:     hidden_grid_dims
    .group_segment_fixed_size: 0
    .kernarg_segment_align: 8
    .kernarg_segment_size: 944
    .language:       OpenCL C
    .language_version:
      - 2
      - 0
    .max_flat_workgroup_size: 256
    .name:           _ZN2at6native12_GLOBAL__N_120fused_dropout_kernelIN3c108BFloat16EfjLi1ELi1EbEEvNS_4cuda6detail10TensorInfoIKT_T1_EENS7_IS8_SA_EENS7_IT4_SA_EESA_T0_NS_15PhiloxCudaStateE
    .private_segment_fixed_size: 0
    .sgpr_count:     26
    .sgpr_spill_count: 0
    .symbol:         _ZN2at6native12_GLOBAL__N_120fused_dropout_kernelIN3c108BFloat16EfjLi1ELi1EbEEvNS_4cuda6detail10TensorInfoIKT_T1_EENS7_IS8_SA_EENS7_IT4_SA_EESA_T0_NS_15PhiloxCudaStateE.kd
    .uniform_work_group_size: 1
    .uses_dynamic_stack: false
    .vgpr_count:     54
    .vgpr_spill_count: 0
    .wavefront_size: 32
    .workgroup_processor_mode: 1
  - .args:
      - .offset:         0
        .size:           216
        .value_kind:     by_value
      - .offset:         216
        .size:           216
        .value_kind:     by_value
      - .offset:         432
        .size:           216
        .value_kind:     by_value
      - .offset:         648
        .size:           4
        .value_kind:     by_value
      - .offset:         652
        .size:           4
        .value_kind:     by_value
      - .offset:         656
        .size:           32
        .value_kind:     by_value
      - .offset:         688
        .size:           4
        .value_kind:     hidden_block_count_x
      - .offset:         692
        .size:           4
        .value_kind:     hidden_block_count_y
      - .offset:         696
        .size:           4
        .value_kind:     hidden_block_count_z
      - .offset:         700
        .size:           2
        .value_kind:     hidden_group_size_x
      - .offset:         702
        .size:           2
        .value_kind:     hidden_group_size_y
      - .offset:         704
        .size:           2
        .value_kind:     hidden_group_size_z
      - .offset:         706
        .size:           2
        .value_kind:     hidden_remainder_x
      - .offset:         708
        .size:           2
        .value_kind:     hidden_remainder_y
      - .offset:         710
        .size:           2
        .value_kind:     hidden_remainder_z
      - .offset:         728
        .size:           8
        .value_kind:     hidden_global_offset_x
      - .offset:         736
        .size:           8
        .value_kind:     hidden_global_offset_y
      - .offset:         744
        .size:           8
        .value_kind:     hidden_global_offset_z
      - .offset:         752
        .size:           2
        .value_kind:     hidden_grid_dims
    .group_segment_fixed_size: 0
    .kernarg_segment_align: 8
    .kernarg_segment_size: 944
    .language:       OpenCL C
    .language_version:
      - 2
      - 0
    .max_flat_workgroup_size: 256
    .name:           _ZN2at6native12_GLOBAL__N_120fused_dropout_kernelIN3c108BFloat16EfjLin1ELi1EbEEvNS_4cuda6detail10TensorInfoIKT_T1_EENS7_IS8_SA_EENS7_IT4_SA_EESA_T0_NS_15PhiloxCudaStateE
    .private_segment_fixed_size: 0
    .sgpr_count:     31
    .sgpr_spill_count: 0
    .symbol:         _ZN2at6native12_GLOBAL__N_120fused_dropout_kernelIN3c108BFloat16EfjLin1ELi1EbEEvNS_4cuda6detail10TensorInfoIKT_T1_EENS7_IS8_SA_EENS7_IT4_SA_EESA_T0_NS_15PhiloxCudaStateE.kd
    .uniform_work_group_size: 1
    .uses_dynamic_stack: false
    .vgpr_count:     48
    .vgpr_spill_count: 0
    .wavefront_size: 32
    .workgroup_processor_mode: 1
  - .args:
      - .offset:         0
        .size:           216
        .value_kind:     by_value
      - .offset:         216
        .size:           216
        .value_kind:     by_value
      - .offset:         432
        .size:           216
        .value_kind:     by_value
      - .offset:         648
        .size:           4
        .value_kind:     by_value
      - .offset:         652
        .size:           4
        .value_kind:     by_value
      - .offset:         656
        .size:           32
        .value_kind:     by_value
      - .offset:         688
        .size:           4
        .value_kind:     hidden_block_count_x
      - .offset:         692
        .size:           4
        .value_kind:     hidden_block_count_y
      - .offset:         696
        .size:           4
        .value_kind:     hidden_block_count_z
      - .offset:         700
        .size:           2
        .value_kind:     hidden_group_size_x
      - .offset:         702
        .size:           2
        .value_kind:     hidden_group_size_y
      - .offset:         704
        .size:           2
        .value_kind:     hidden_group_size_z
      - .offset:         706
        .size:           2
        .value_kind:     hidden_remainder_x
      - .offset:         708
        .size:           2
        .value_kind:     hidden_remainder_y
      - .offset:         710
        .size:           2
        .value_kind:     hidden_remainder_z
      - .offset:         728
        .size:           8
        .value_kind:     hidden_global_offset_x
      - .offset:         736
        .size:           8
        .value_kind:     hidden_global_offset_y
      - .offset:         744
        .size:           8
        .value_kind:     hidden_global_offset_z
      - .offset:         752
        .size:           2
        .value_kind:     hidden_grid_dims
    .group_segment_fixed_size: 0
    .kernarg_segment_align: 8
    .kernarg_segment_size: 944
    .language:       OpenCL C
    .language_version:
      - 2
      - 0
    .max_flat_workgroup_size: 256
    .name:           _ZN2at6native12_GLOBAL__N_120fused_dropout_kernelIN3c108BFloat16EfjLin1ELin1EbEEvNS_4cuda6detail10TensorInfoIKT_T1_EENS7_IS8_SA_EENS7_IT4_SA_EESA_T0_NS_15PhiloxCudaStateE
    .private_segment_fixed_size: 0
    .sgpr_count:     36
    .sgpr_spill_count: 0
    .symbol:         _ZN2at6native12_GLOBAL__N_120fused_dropout_kernelIN3c108BFloat16EfjLin1ELin1EbEEvNS_4cuda6detail10TensorInfoIKT_T1_EENS7_IS8_SA_EENS7_IT4_SA_EESA_T0_NS_15PhiloxCudaStateE.kd
    .uniform_work_group_size: 1
    .uses_dynamic_stack: false
    .vgpr_count:     49
    .vgpr_spill_count: 0
    .wavefront_size: 32
    .workgroup_processor_mode: 1
  - .args:
      - .offset:         0
        .size:           416
        .value_kind:     by_value
      - .offset:         416
        .size:           416
        .value_kind:     by_value
      - .offset:         832
        .size:           416
        .value_kind:     by_value
      - .offset:         1248
        .size:           8
        .value_kind:     by_value
      - .offset:         1256
        .size:           8
        .value_kind:     by_value
      - .offset:         1264
        .size:           32
        .value_kind:     by_value
      - .offset:         1296
        .size:           4
        .value_kind:     hidden_block_count_x
      - .offset:         1300
        .size:           4
        .value_kind:     hidden_block_count_y
      - .offset:         1304
        .size:           4
        .value_kind:     hidden_block_count_z
      - .offset:         1308
        .size:           2
        .value_kind:     hidden_group_size_x
      - .offset:         1310
        .size:           2
        .value_kind:     hidden_group_size_y
      - .offset:         1312
        .size:           2
        .value_kind:     hidden_group_size_z
      - .offset:         1314
        .size:           2
        .value_kind:     hidden_remainder_x
      - .offset:         1316
        .size:           2
        .value_kind:     hidden_remainder_y
      - .offset:         1318
        .size:           2
        .value_kind:     hidden_remainder_z
      - .offset:         1336
        .size:           8
        .value_kind:     hidden_global_offset_x
      - .offset:         1344
        .size:           8
        .value_kind:     hidden_global_offset_y
      - .offset:         1352
        .size:           8
        .value_kind:     hidden_global_offset_z
      - .offset:         1360
        .size:           2
        .value_kind:     hidden_grid_dims
    .group_segment_fixed_size: 0
    .kernarg_segment_align: 8
    .kernarg_segment_size: 1552
    .language:       OpenCL C
    .language_version:
      - 2
      - 0
    .max_flat_workgroup_size: 256
    .name:           _ZN2at6native12_GLOBAL__N_124fused_dropout_kernel_vecIddmLi1ELi16EbEEvNS_4cuda6detail10TensorInfoIKT_T1_EENS5_IS6_S8_EENS5_IT4_S8_EES8_T0_NS_15PhiloxCudaStateE
    .private_segment_fixed_size: 0
    .sgpr_count:     32
    .sgpr_spill_count: 0
    .symbol:         _ZN2at6native12_GLOBAL__N_124fused_dropout_kernel_vecIddmLi1ELi16EbEEvNS_4cuda6detail10TensorInfoIKT_T1_EENS5_IS6_S8_EENS5_IT4_S8_EES8_T0_NS_15PhiloxCudaStateE.kd
    .uniform_work_group_size: 1
    .uses_dynamic_stack: false
    .vgpr_count:     93
    .vgpr_spill_count: 0
    .wavefront_size: 32
    .workgroup_processor_mode: 1
  - .args:
      - .offset:         0
        .size:           416
        .value_kind:     by_value
      - .offset:         416
        .size:           416
        .value_kind:     by_value
      - .offset:         832
        .size:           416
        .value_kind:     by_value
      - .offset:         1248
        .size:           8
        .value_kind:     by_value
      - .offset:         1256
        .size:           8
        .value_kind:     by_value
      - .offset:         1264
        .size:           32
        .value_kind:     by_value
      - .offset:         1296
        .size:           4
        .value_kind:     hidden_block_count_x
      - .offset:         1300
        .size:           4
        .value_kind:     hidden_block_count_y
      - .offset:         1304
        .size:           4
        .value_kind:     hidden_block_count_z
      - .offset:         1308
        .size:           2
        .value_kind:     hidden_group_size_x
      - .offset:         1310
        .size:           2
        .value_kind:     hidden_group_size_y
      - .offset:         1312
        .size:           2
        .value_kind:     hidden_group_size_z
      - .offset:         1314
        .size:           2
        .value_kind:     hidden_remainder_x
      - .offset:         1316
        .size:           2
        .value_kind:     hidden_remainder_y
      - .offset:         1318
        .size:           2
        .value_kind:     hidden_remainder_z
      - .offset:         1336
        .size:           8
        .value_kind:     hidden_global_offset_x
      - .offset:         1344
        .size:           8
        .value_kind:     hidden_global_offset_y
      - .offset:         1352
        .size:           8
        .value_kind:     hidden_global_offset_z
      - .offset:         1360
        .size:           2
        .value_kind:     hidden_grid_dims
    .group_segment_fixed_size: 0
    .kernarg_segment_align: 8
    .kernarg_segment_size: 1552
    .language:       OpenCL C
    .language_version:
      - 2
      - 0
    .max_flat_workgroup_size: 256
    .name:           _ZN2at6native12_GLOBAL__N_124fused_dropout_kernel_vecIddmLi1ELi8EbEEvNS_4cuda6detail10TensorInfoIKT_T1_EENS5_IS6_S8_EENS5_IT4_S8_EES8_T0_NS_15PhiloxCudaStateE
    .private_segment_fixed_size: 0
    .sgpr_count:     26
    .sgpr_spill_count: 0
    .symbol:         _ZN2at6native12_GLOBAL__N_124fused_dropout_kernel_vecIddmLi1ELi8EbEEvNS_4cuda6detail10TensorInfoIKT_T1_EENS5_IS6_S8_EENS5_IT4_S8_EES8_T0_NS_15PhiloxCudaStateE.kd
    .uniform_work_group_size: 1
    .uses_dynamic_stack: false
    .vgpr_count:     69
    .vgpr_spill_count: 0
    .wavefront_size: 32
    .workgroup_processor_mode: 1
  - .args:
      - .offset:         0
        .size:           416
        .value_kind:     by_value
      - .offset:         416
        .size:           416
        .value_kind:     by_value
      - .offset:         832
        .size:           416
        .value_kind:     by_value
      - .offset:         1248
        .size:           8
        .value_kind:     by_value
      - .offset:         1256
        .size:           8
        .value_kind:     by_value
      - .offset:         1264
        .size:           32
        .value_kind:     by_value
      - .offset:         1296
        .size:           4
        .value_kind:     hidden_block_count_x
      - .offset:         1300
        .size:           4
        .value_kind:     hidden_block_count_y
      - .offset:         1304
        .size:           4
        .value_kind:     hidden_block_count_z
      - .offset:         1308
        .size:           2
        .value_kind:     hidden_group_size_x
      - .offset:         1310
        .size:           2
        .value_kind:     hidden_group_size_y
      - .offset:         1312
        .size:           2
        .value_kind:     hidden_group_size_z
      - .offset:         1314
        .size:           2
        .value_kind:     hidden_remainder_x
      - .offset:         1316
        .size:           2
        .value_kind:     hidden_remainder_y
      - .offset:         1318
        .size:           2
        .value_kind:     hidden_remainder_z
      - .offset:         1336
        .size:           8
        .value_kind:     hidden_global_offset_x
      - .offset:         1344
        .size:           8
        .value_kind:     hidden_global_offset_y
      - .offset:         1352
        .size:           8
        .value_kind:     hidden_global_offset_z
      - .offset:         1360
        .size:           2
        .value_kind:     hidden_grid_dims
    .group_segment_fixed_size: 0
    .kernarg_segment_align: 8
    .kernarg_segment_size: 1552
    .language:       OpenCL C
    .language_version:
      - 2
      - 0
    .max_flat_workgroup_size: 256
    .name:           _ZN2at6native12_GLOBAL__N_124fused_dropout_kernel_vecIddmLi1ELi4EbEEvNS_4cuda6detail10TensorInfoIKT_T1_EENS5_IS6_S8_EENS5_IT4_S8_EES8_T0_NS_15PhiloxCudaStateE
    .private_segment_fixed_size: 0
    .sgpr_count:     20
    .sgpr_spill_count: 0
    .symbol:         _ZN2at6native12_GLOBAL__N_124fused_dropout_kernel_vecIddmLi1ELi4EbEEvNS_4cuda6detail10TensorInfoIKT_T1_EENS5_IS6_S8_EENS5_IT4_S8_EES8_T0_NS_15PhiloxCudaStateE.kd
    .uniform_work_group_size: 1
    .uses_dynamic_stack: false
    .vgpr_count:     55
    .vgpr_spill_count: 0
    .wavefront_size: 32
    .workgroup_processor_mode: 1
  - .args:
      - .offset:         0
        .size:           416
        .value_kind:     by_value
      - .offset:         416
        .size:           416
        .value_kind:     by_value
      - .offset:         832
        .size:           416
        .value_kind:     by_value
      - .offset:         1248
        .size:           8
        .value_kind:     by_value
      - .offset:         1256
        .size:           8
        .value_kind:     by_value
      - .offset:         1264
        .size:           32
        .value_kind:     by_value
      - .offset:         1296
        .size:           4
        .value_kind:     hidden_block_count_x
      - .offset:         1300
        .size:           4
        .value_kind:     hidden_block_count_y
      - .offset:         1304
        .size:           4
        .value_kind:     hidden_block_count_z
      - .offset:         1308
        .size:           2
        .value_kind:     hidden_group_size_x
      - .offset:         1310
        .size:           2
        .value_kind:     hidden_group_size_y
      - .offset:         1312
        .size:           2
        .value_kind:     hidden_group_size_z
      - .offset:         1314
        .size:           2
        .value_kind:     hidden_remainder_x
      - .offset:         1316
        .size:           2
        .value_kind:     hidden_remainder_y
      - .offset:         1318
        .size:           2
        .value_kind:     hidden_remainder_z
      - .offset:         1336
        .size:           8
        .value_kind:     hidden_global_offset_x
      - .offset:         1344
        .size:           8
        .value_kind:     hidden_global_offset_y
      - .offset:         1352
        .size:           8
        .value_kind:     hidden_global_offset_z
      - .offset:         1360
        .size:           2
        .value_kind:     hidden_grid_dims
    .group_segment_fixed_size: 0
    .kernarg_segment_align: 8
    .kernarg_segment_size: 1552
    .language:       OpenCL C
    .language_version:
      - 2
      - 0
    .max_flat_workgroup_size: 256
    .name:           _ZN2at6native12_GLOBAL__N_124fused_dropout_kernel_vecIddmLi1ELi2EbEEvNS_4cuda6detail10TensorInfoIKT_T1_EENS5_IS6_S8_EENS5_IT4_S8_EES8_T0_NS_15PhiloxCudaStateE
    .private_segment_fixed_size: 0
    .sgpr_count:     18
    .sgpr_spill_count: 0
    .symbol:         _ZN2at6native12_GLOBAL__N_124fused_dropout_kernel_vecIddmLi1ELi2EbEEvNS_4cuda6detail10TensorInfoIKT_T1_EENS5_IS6_S8_EENS5_IT4_S8_EES8_T0_NS_15PhiloxCudaStateE.kd
    .uniform_work_group_size: 1
    .uses_dynamic_stack: false
    .vgpr_count:     49
    .vgpr_spill_count: 0
    .wavefront_size: 32
    .workgroup_processor_mode: 1
  - .args:
      - .offset:         0
        .size:           416
        .value_kind:     by_value
      - .offset:         416
        .size:           416
        .value_kind:     by_value
      - .offset:         832
        .size:           416
        .value_kind:     by_value
      - .offset:         1248
        .size:           8
        .value_kind:     by_value
      - .offset:         1256
        .size:           8
        .value_kind:     by_value
      - .offset:         1264
        .size:           32
        .value_kind:     by_value
      - .offset:         1296
        .size:           4
        .value_kind:     hidden_block_count_x
      - .offset:         1300
        .size:           4
        .value_kind:     hidden_block_count_y
      - .offset:         1304
        .size:           4
        .value_kind:     hidden_block_count_z
      - .offset:         1308
        .size:           2
        .value_kind:     hidden_group_size_x
      - .offset:         1310
        .size:           2
        .value_kind:     hidden_group_size_y
      - .offset:         1312
        .size:           2
        .value_kind:     hidden_group_size_z
      - .offset:         1314
        .size:           2
        .value_kind:     hidden_remainder_x
      - .offset:         1316
        .size:           2
        .value_kind:     hidden_remainder_y
      - .offset:         1318
        .size:           2
        .value_kind:     hidden_remainder_z
      - .offset:         1336
        .size:           8
        .value_kind:     hidden_global_offset_x
      - .offset:         1344
        .size:           8
        .value_kind:     hidden_global_offset_y
      - .offset:         1352
        .size:           8
        .value_kind:     hidden_global_offset_z
      - .offset:         1360
        .size:           2
        .value_kind:     hidden_grid_dims
    .group_segment_fixed_size: 0
    .kernarg_segment_align: 8
    .kernarg_segment_size: 1552
    .language:       OpenCL C
    .language_version:
      - 2
      - 0
    .max_flat_workgroup_size: 256
    .name:           _ZN2at6native12_GLOBAL__N_120fused_dropout_kernelIddmLi1ELi1EbEEvNS_4cuda6detail10TensorInfoIKT_T1_EENS5_IS6_S8_EENS5_IT4_S8_EES8_T0_NS_15PhiloxCudaStateE
    .private_segment_fixed_size: 0
    .sgpr_count:     30
    .sgpr_spill_count: 0
    .symbol:         _ZN2at6native12_GLOBAL__N_120fused_dropout_kernelIddmLi1ELi1EbEEvNS_4cuda6detail10TensorInfoIKT_T1_EENS5_IS6_S8_EENS5_IT4_S8_EES8_T0_NS_15PhiloxCudaStateE.kd
    .uniform_work_group_size: 1
    .uses_dynamic_stack: false
    .vgpr_count:     78
    .vgpr_spill_count: 0
    .wavefront_size: 32
    .workgroup_processor_mode: 1
  - .args:
      - .offset:         0
        .size:           416
        .value_kind:     by_value
      - .offset:         416
        .size:           416
        .value_kind:     by_value
      - .offset:         832
        .size:           416
        .value_kind:     by_value
      - .offset:         1248
        .size:           8
        .value_kind:     by_value
      - .offset:         1256
        .size:           8
        .value_kind:     by_value
      - .offset:         1264
        .size:           32
        .value_kind:     by_value
      - .offset:         1296
        .size:           4
        .value_kind:     hidden_block_count_x
      - .offset:         1300
        .size:           4
        .value_kind:     hidden_block_count_y
      - .offset:         1304
        .size:           4
        .value_kind:     hidden_block_count_z
      - .offset:         1308
        .size:           2
        .value_kind:     hidden_group_size_x
      - .offset:         1310
        .size:           2
        .value_kind:     hidden_group_size_y
      - .offset:         1312
        .size:           2
        .value_kind:     hidden_group_size_z
      - .offset:         1314
        .size:           2
        .value_kind:     hidden_remainder_x
      - .offset:         1316
        .size:           2
        .value_kind:     hidden_remainder_y
      - .offset:         1318
        .size:           2
        .value_kind:     hidden_remainder_z
      - .offset:         1336
        .size:           8
        .value_kind:     hidden_global_offset_x
      - .offset:         1344
        .size:           8
        .value_kind:     hidden_global_offset_y
      - .offset:         1352
        .size:           8
        .value_kind:     hidden_global_offset_z
      - .offset:         1360
        .size:           2
        .value_kind:     hidden_grid_dims
    .group_segment_fixed_size: 0
    .kernarg_segment_align: 8
    .kernarg_segment_size: 1552
    .language:       OpenCL C
    .language_version:
      - 2
      - 0
    .max_flat_workgroup_size: 256
    .name:           _ZN2at6native12_GLOBAL__N_120fused_dropout_kernelIddmLin1ELi1EbEEvNS_4cuda6detail10TensorInfoIKT_T1_EENS5_IS6_S8_EENS5_IT4_S8_EES8_T0_NS_15PhiloxCudaStateE
    .private_segment_fixed_size: 0
    .sgpr_count:     42
    .sgpr_spill_count: 0
    .symbol:         _ZN2at6native12_GLOBAL__N_120fused_dropout_kernelIddmLin1ELi1EbEEvNS_4cuda6detail10TensorInfoIKT_T1_EENS5_IS6_S8_EENS5_IT4_S8_EES8_T0_NS_15PhiloxCudaStateE.kd
    .uniform_work_group_size: 1
    .uses_dynamic_stack: false
    .vgpr_count:     64
    .vgpr_spill_count: 0
    .wavefront_size: 32
    .workgroup_processor_mode: 1
  - .args:
      - .offset:         0
        .size:           416
        .value_kind:     by_value
      - .offset:         416
        .size:           416
        .value_kind:     by_value
      - .offset:         832
        .size:           416
        .value_kind:     by_value
      - .offset:         1248
        .size:           8
        .value_kind:     by_value
      - .offset:         1256
        .size:           8
        .value_kind:     by_value
      - .offset:         1264
        .size:           32
        .value_kind:     by_value
      - .offset:         1296
        .size:           4
        .value_kind:     hidden_block_count_x
      - .offset:         1300
        .size:           4
        .value_kind:     hidden_block_count_y
      - .offset:         1304
        .size:           4
        .value_kind:     hidden_block_count_z
      - .offset:         1308
        .size:           2
        .value_kind:     hidden_group_size_x
      - .offset:         1310
        .size:           2
        .value_kind:     hidden_group_size_y
      - .offset:         1312
        .size:           2
        .value_kind:     hidden_group_size_z
      - .offset:         1314
        .size:           2
        .value_kind:     hidden_remainder_x
      - .offset:         1316
        .size:           2
        .value_kind:     hidden_remainder_y
      - .offset:         1318
        .size:           2
        .value_kind:     hidden_remainder_z
      - .offset:         1336
        .size:           8
        .value_kind:     hidden_global_offset_x
      - .offset:         1344
        .size:           8
        .value_kind:     hidden_global_offset_y
      - .offset:         1352
        .size:           8
        .value_kind:     hidden_global_offset_z
      - .offset:         1360
        .size:           2
        .value_kind:     hidden_grid_dims
    .group_segment_fixed_size: 0
    .kernarg_segment_align: 8
    .kernarg_segment_size: 1552
    .language:       OpenCL C
    .language_version:
      - 2
      - 0
    .max_flat_workgroup_size: 256
    .name:           _ZN2at6native12_GLOBAL__N_120fused_dropout_kernelIddmLin1ELin1EbEEvNS_4cuda6detail10TensorInfoIKT_T1_EENS5_IS6_S8_EENS5_IT4_S8_EES8_T0_NS_15PhiloxCudaStateE
    .private_segment_fixed_size: 0
    .sgpr_count:     46
    .sgpr_spill_count: 0
    .symbol:         _ZN2at6native12_GLOBAL__N_120fused_dropout_kernelIddmLin1ELin1EbEEvNS_4cuda6detail10TensorInfoIKT_T1_EENS5_IS6_S8_EENS5_IT4_S8_EES8_T0_NS_15PhiloxCudaStateE.kd
    .uniform_work_group_size: 1
    .uses_dynamic_stack: false
    .vgpr_count:     66
    .vgpr_spill_count: 0
    .wavefront_size: 32
    .workgroup_processor_mode: 1
  - .args:
      - .offset:         0
        .size:           416
        .value_kind:     by_value
      - .offset:         416
        .size:           416
        .value_kind:     by_value
      - .offset:         832
        .size:           416
        .value_kind:     by_value
      - .offset:         1248
        .size:           8
        .value_kind:     by_value
      - .offset:         1256
        .size:           4
        .value_kind:     by_value
      - .offset:         1264
        .size:           32
        .value_kind:     by_value
      - .offset:         1296
        .size:           4
        .value_kind:     hidden_block_count_x
      - .offset:         1300
        .size:           4
        .value_kind:     hidden_block_count_y
      - .offset:         1304
        .size:           4
        .value_kind:     hidden_block_count_z
      - .offset:         1308
        .size:           2
        .value_kind:     hidden_group_size_x
      - .offset:         1310
        .size:           2
        .value_kind:     hidden_group_size_y
      - .offset:         1312
        .size:           2
        .value_kind:     hidden_group_size_z
      - .offset:         1314
        .size:           2
        .value_kind:     hidden_remainder_x
      - .offset:         1316
        .size:           2
        .value_kind:     hidden_remainder_y
      - .offset:         1318
        .size:           2
        .value_kind:     hidden_remainder_z
      - .offset:         1336
        .size:           8
        .value_kind:     hidden_global_offset_x
      - .offset:         1344
        .size:           8
        .value_kind:     hidden_global_offset_y
      - .offset:         1352
        .size:           8
        .value_kind:     hidden_global_offset_z
      - .offset:         1360
        .size:           2
        .value_kind:     hidden_grid_dims
    .group_segment_fixed_size: 0
    .kernarg_segment_align: 8
    .kernarg_segment_size: 1552
    .language:       OpenCL C
    .language_version:
      - 2
      - 0
    .max_flat_workgroup_size: 256
    .name:           _ZN2at6native12_GLOBAL__N_124fused_dropout_kernel_vecIffmLi1ELi16EbEEvNS_4cuda6detail10TensorInfoIKT_T1_EENS5_IS6_S8_EENS5_IT4_S8_EES8_T0_NS_15PhiloxCudaStateE
    .private_segment_fixed_size: 0
    .sgpr_count:     31
    .sgpr_spill_count: 0
    .symbol:         _ZN2at6native12_GLOBAL__N_124fused_dropout_kernel_vecIffmLi1ELi16EbEEvNS_4cuda6detail10TensorInfoIKT_T1_EENS5_IS6_S8_EENS5_IT4_S8_EES8_T0_NS_15PhiloxCudaStateE.kd
    .uniform_work_group_size: 1
    .uses_dynamic_stack: false
    .vgpr_count:     86
    .vgpr_spill_count: 0
    .wavefront_size: 32
    .workgroup_processor_mode: 1
  - .args:
      - .offset:         0
        .size:           416
        .value_kind:     by_value
      - .offset:         416
        .size:           416
        .value_kind:     by_value
      - .offset:         832
        .size:           416
        .value_kind:     by_value
      - .offset:         1248
        .size:           8
        .value_kind:     by_value
      - .offset:         1256
        .size:           4
        .value_kind:     by_value
      - .offset:         1264
        .size:           32
        .value_kind:     by_value
      - .offset:         1296
        .size:           4
        .value_kind:     hidden_block_count_x
      - .offset:         1300
        .size:           4
        .value_kind:     hidden_block_count_y
      - .offset:         1304
        .size:           4
        .value_kind:     hidden_block_count_z
      - .offset:         1308
        .size:           2
        .value_kind:     hidden_group_size_x
      - .offset:         1310
        .size:           2
        .value_kind:     hidden_group_size_y
      - .offset:         1312
        .size:           2
        .value_kind:     hidden_group_size_z
      - .offset:         1314
        .size:           2
        .value_kind:     hidden_remainder_x
      - .offset:         1316
        .size:           2
        .value_kind:     hidden_remainder_y
      - .offset:         1318
        .size:           2
        .value_kind:     hidden_remainder_z
      - .offset:         1336
        .size:           8
        .value_kind:     hidden_global_offset_x
      - .offset:         1344
        .size:           8
        .value_kind:     hidden_global_offset_y
      - .offset:         1352
        .size:           8
        .value_kind:     hidden_global_offset_z
      - .offset:         1360
        .size:           2
        .value_kind:     hidden_grid_dims
    .group_segment_fixed_size: 0
    .kernarg_segment_align: 8
    .kernarg_segment_size: 1552
    .language:       OpenCL C
    .language_version:
      - 2
      - 0
    .max_flat_workgroup_size: 256
    .name:           _ZN2at6native12_GLOBAL__N_124fused_dropout_kernel_vecIffmLi1ELi8EbEEvNS_4cuda6detail10TensorInfoIKT_T1_EENS5_IS6_S8_EENS5_IT4_S8_EES8_T0_NS_15PhiloxCudaStateE
    .private_segment_fixed_size: 0
    .sgpr_count:     22
    .sgpr_spill_count: 0
    .symbol:         _ZN2at6native12_GLOBAL__N_124fused_dropout_kernel_vecIffmLi1ELi8EbEEvNS_4cuda6detail10TensorInfoIKT_T1_EENS5_IS6_S8_EENS5_IT4_S8_EES8_T0_NS_15PhiloxCudaStateE.kd
    .uniform_work_group_size: 1
    .uses_dynamic_stack: false
    .vgpr_count:     62
    .vgpr_spill_count: 0
    .wavefront_size: 32
    .workgroup_processor_mode: 1
  - .args:
      - .offset:         0
        .size:           416
        .value_kind:     by_value
      - .offset:         416
        .size:           416
        .value_kind:     by_value
      - .offset:         832
        .size:           416
        .value_kind:     by_value
      - .offset:         1248
        .size:           8
        .value_kind:     by_value
      - .offset:         1256
        .size:           4
        .value_kind:     by_value
      - .offset:         1264
        .size:           32
        .value_kind:     by_value
      - .offset:         1296
        .size:           4
        .value_kind:     hidden_block_count_x
      - .offset:         1300
        .size:           4
        .value_kind:     hidden_block_count_y
      - .offset:         1304
        .size:           4
        .value_kind:     hidden_block_count_z
      - .offset:         1308
        .size:           2
        .value_kind:     hidden_group_size_x
      - .offset:         1310
        .size:           2
        .value_kind:     hidden_group_size_y
      - .offset:         1312
        .size:           2
        .value_kind:     hidden_group_size_z
      - .offset:         1314
        .size:           2
        .value_kind:     hidden_remainder_x
      - .offset:         1316
        .size:           2
        .value_kind:     hidden_remainder_y
      - .offset:         1318
        .size:           2
        .value_kind:     hidden_remainder_z
      - .offset:         1336
        .size:           8
        .value_kind:     hidden_global_offset_x
      - .offset:         1344
        .size:           8
        .value_kind:     hidden_global_offset_y
      - .offset:         1352
        .size:           8
        .value_kind:     hidden_global_offset_z
      - .offset:         1360
        .size:           2
        .value_kind:     hidden_grid_dims
    .group_segment_fixed_size: 0
    .kernarg_segment_align: 8
    .kernarg_segment_size: 1552
    .language:       OpenCL C
    .language_version:
      - 2
      - 0
    .max_flat_workgroup_size: 256
    .name:           _ZN2at6native12_GLOBAL__N_124fused_dropout_kernel_vecIffmLi1ELi4EbEEvNS_4cuda6detail10TensorInfoIKT_T1_EENS5_IS6_S8_EENS5_IT4_S8_EES8_T0_NS_15PhiloxCudaStateE
    .private_segment_fixed_size: 0
    .sgpr_count:     18
    .sgpr_spill_count: 0
    .symbol:         _ZN2at6native12_GLOBAL__N_124fused_dropout_kernel_vecIffmLi1ELi4EbEEvNS_4cuda6detail10TensorInfoIKT_T1_EENS5_IS6_S8_EENS5_IT4_S8_EES8_T0_NS_15PhiloxCudaStateE.kd
    .uniform_work_group_size: 1
    .uses_dynamic_stack: false
    .vgpr_count:     50
    .vgpr_spill_count: 0
    .wavefront_size: 32
    .workgroup_processor_mode: 1
  - .args:
      - .offset:         0
        .size:           416
        .value_kind:     by_value
      - .offset:         416
        .size:           416
        .value_kind:     by_value
      - .offset:         832
        .size:           416
        .value_kind:     by_value
      - .offset:         1248
        .size:           8
        .value_kind:     by_value
      - .offset:         1256
        .size:           4
        .value_kind:     by_value
      - .offset:         1264
        .size:           32
        .value_kind:     by_value
      - .offset:         1296
        .size:           4
        .value_kind:     hidden_block_count_x
      - .offset:         1300
        .size:           4
        .value_kind:     hidden_block_count_y
      - .offset:         1304
        .size:           4
        .value_kind:     hidden_block_count_z
      - .offset:         1308
        .size:           2
        .value_kind:     hidden_group_size_x
      - .offset:         1310
        .size:           2
        .value_kind:     hidden_group_size_y
      - .offset:         1312
        .size:           2
        .value_kind:     hidden_group_size_z
      - .offset:         1314
        .size:           2
        .value_kind:     hidden_remainder_x
      - .offset:         1316
        .size:           2
        .value_kind:     hidden_remainder_y
      - .offset:         1318
        .size:           2
        .value_kind:     hidden_remainder_z
      - .offset:         1336
        .size:           8
        .value_kind:     hidden_global_offset_x
      - .offset:         1344
        .size:           8
        .value_kind:     hidden_global_offset_y
      - .offset:         1352
        .size:           8
        .value_kind:     hidden_global_offset_z
      - .offset:         1360
        .size:           2
        .value_kind:     hidden_grid_dims
    .group_segment_fixed_size: 0
    .kernarg_segment_align: 8
    .kernarg_segment_size: 1552
    .language:       OpenCL C
    .language_version:
      - 2
      - 0
    .max_flat_workgroup_size: 256
    .name:           _ZN2at6native12_GLOBAL__N_124fused_dropout_kernel_vecIffmLi1ELi2EbEEvNS_4cuda6detail10TensorInfoIKT_T1_EENS5_IS6_S8_EENS5_IT4_S8_EES8_T0_NS_15PhiloxCudaStateE
    .private_segment_fixed_size: 0
    .sgpr_count:     18
    .sgpr_spill_count: 0
    .symbol:         _ZN2at6native12_GLOBAL__N_124fused_dropout_kernel_vecIffmLi1ELi2EbEEvNS_4cuda6detail10TensorInfoIKT_T1_EENS5_IS6_S8_EENS5_IT4_S8_EES8_T0_NS_15PhiloxCudaStateE.kd
    .uniform_work_group_size: 1
    .uses_dynamic_stack: false
    .vgpr_count:     45
    .vgpr_spill_count: 0
    .wavefront_size: 32
    .workgroup_processor_mode: 1
  - .args:
      - .offset:         0
        .size:           416
        .value_kind:     by_value
      - .offset:         416
        .size:           416
        .value_kind:     by_value
      - .offset:         832
        .size:           416
        .value_kind:     by_value
      - .offset:         1248
        .size:           8
        .value_kind:     by_value
      - .offset:         1256
        .size:           4
        .value_kind:     by_value
      - .offset:         1264
        .size:           32
        .value_kind:     by_value
      - .offset:         1296
        .size:           4
        .value_kind:     hidden_block_count_x
      - .offset:         1300
        .size:           4
        .value_kind:     hidden_block_count_y
      - .offset:         1304
        .size:           4
        .value_kind:     hidden_block_count_z
      - .offset:         1308
        .size:           2
        .value_kind:     hidden_group_size_x
      - .offset:         1310
        .size:           2
        .value_kind:     hidden_group_size_y
      - .offset:         1312
        .size:           2
        .value_kind:     hidden_group_size_z
      - .offset:         1314
        .size:           2
        .value_kind:     hidden_remainder_x
      - .offset:         1316
        .size:           2
        .value_kind:     hidden_remainder_y
      - .offset:         1318
        .size:           2
        .value_kind:     hidden_remainder_z
      - .offset:         1336
        .size:           8
        .value_kind:     hidden_global_offset_x
      - .offset:         1344
        .size:           8
        .value_kind:     hidden_global_offset_y
      - .offset:         1352
        .size:           8
        .value_kind:     hidden_global_offset_z
      - .offset:         1360
        .size:           2
        .value_kind:     hidden_grid_dims
    .group_segment_fixed_size: 0
    .kernarg_segment_align: 8
    .kernarg_segment_size: 1552
    .language:       OpenCL C
    .language_version:
      - 2
      - 0
    .max_flat_workgroup_size: 256
    .name:           _ZN2at6native12_GLOBAL__N_120fused_dropout_kernelIffmLi1ELi1EbEEvNS_4cuda6detail10TensorInfoIKT_T1_EENS5_IS6_S8_EENS5_IT4_S8_EES8_T0_NS_15PhiloxCudaStateE
    .private_segment_fixed_size: 0
    .sgpr_count:     29
    .sgpr_spill_count: 0
    .symbol:         _ZN2at6native12_GLOBAL__N_120fused_dropout_kernelIffmLi1ELi1EbEEvNS_4cuda6detail10TensorInfoIKT_T1_EENS5_IS6_S8_EENS5_IT4_S8_EES8_T0_NS_15PhiloxCudaStateE.kd
    .uniform_work_group_size: 1
    .uses_dynamic_stack: false
    .vgpr_count:     69
    .vgpr_spill_count: 0
    .wavefront_size: 32
    .workgroup_processor_mode: 1
  - .args:
      - .offset:         0
        .size:           416
        .value_kind:     by_value
      - .offset:         416
        .size:           416
        .value_kind:     by_value
      - .offset:         832
        .size:           416
        .value_kind:     by_value
      - .offset:         1248
        .size:           8
        .value_kind:     by_value
      - .offset:         1256
        .size:           4
        .value_kind:     by_value
      - .offset:         1264
        .size:           32
        .value_kind:     by_value
      - .offset:         1296
        .size:           4
        .value_kind:     hidden_block_count_x
      - .offset:         1300
        .size:           4
        .value_kind:     hidden_block_count_y
      - .offset:         1304
        .size:           4
        .value_kind:     hidden_block_count_z
      - .offset:         1308
        .size:           2
        .value_kind:     hidden_group_size_x
      - .offset:         1310
        .size:           2
        .value_kind:     hidden_group_size_y
      - .offset:         1312
        .size:           2
        .value_kind:     hidden_group_size_z
      - .offset:         1314
        .size:           2
        .value_kind:     hidden_remainder_x
      - .offset:         1316
        .size:           2
        .value_kind:     hidden_remainder_y
      - .offset:         1318
        .size:           2
        .value_kind:     hidden_remainder_z
      - .offset:         1336
        .size:           8
        .value_kind:     hidden_global_offset_x
      - .offset:         1344
        .size:           8
        .value_kind:     hidden_global_offset_y
      - .offset:         1352
        .size:           8
        .value_kind:     hidden_global_offset_z
      - .offset:         1360
        .size:           2
        .value_kind:     hidden_grid_dims
    .group_segment_fixed_size: 0
    .kernarg_segment_align: 8
    .kernarg_segment_size: 1552
    .language:       OpenCL C
    .language_version:
      - 2
      - 0
    .max_flat_workgroup_size: 256
    .name:           _ZN2at6native12_GLOBAL__N_120fused_dropout_kernelIffmLin1ELi1EbEEvNS_4cuda6detail10TensorInfoIKT_T1_EENS5_IS6_S8_EENS5_IT4_S8_EES8_T0_NS_15PhiloxCudaStateE
    .private_segment_fixed_size: 0
    .sgpr_count:     40
    .sgpr_spill_count: 0
    .symbol:         _ZN2at6native12_GLOBAL__N_120fused_dropout_kernelIffmLin1ELi1EbEEvNS_4cuda6detail10TensorInfoIKT_T1_EENS5_IS6_S8_EENS5_IT4_S8_EES8_T0_NS_15PhiloxCudaStateE.kd
    .uniform_work_group_size: 1
    .uses_dynamic_stack: false
    .vgpr_count:     60
    .vgpr_spill_count: 0
    .wavefront_size: 32
    .workgroup_processor_mode: 1
  - .args:
      - .offset:         0
        .size:           416
        .value_kind:     by_value
      - .offset:         416
        .size:           416
        .value_kind:     by_value
      - .offset:         832
        .size:           416
        .value_kind:     by_value
      - .offset:         1248
        .size:           8
        .value_kind:     by_value
      - .offset:         1256
        .size:           4
        .value_kind:     by_value
      - .offset:         1264
        .size:           32
        .value_kind:     by_value
      - .offset:         1296
        .size:           4
        .value_kind:     hidden_block_count_x
      - .offset:         1300
        .size:           4
        .value_kind:     hidden_block_count_y
      - .offset:         1304
        .size:           4
        .value_kind:     hidden_block_count_z
      - .offset:         1308
        .size:           2
        .value_kind:     hidden_group_size_x
      - .offset:         1310
        .size:           2
        .value_kind:     hidden_group_size_y
      - .offset:         1312
        .size:           2
        .value_kind:     hidden_group_size_z
      - .offset:         1314
        .size:           2
        .value_kind:     hidden_remainder_x
      - .offset:         1316
        .size:           2
        .value_kind:     hidden_remainder_y
      - .offset:         1318
        .size:           2
        .value_kind:     hidden_remainder_z
      - .offset:         1336
        .size:           8
        .value_kind:     hidden_global_offset_x
      - .offset:         1344
        .size:           8
        .value_kind:     hidden_global_offset_y
      - .offset:         1352
        .size:           8
        .value_kind:     hidden_global_offset_z
      - .offset:         1360
        .size:           2
        .value_kind:     hidden_grid_dims
    .group_segment_fixed_size: 0
    .kernarg_segment_align: 8
    .kernarg_segment_size: 1552
    .language:       OpenCL C
    .language_version:
      - 2
      - 0
    .max_flat_workgroup_size: 256
    .name:           _ZN2at6native12_GLOBAL__N_120fused_dropout_kernelIffmLin1ELin1EbEEvNS_4cuda6detail10TensorInfoIKT_T1_EENS5_IS6_S8_EENS5_IT4_S8_EES8_T0_NS_15PhiloxCudaStateE
    .private_segment_fixed_size: 0
    .sgpr_count:     44
    .sgpr_spill_count: 0
    .symbol:         _ZN2at6native12_GLOBAL__N_120fused_dropout_kernelIffmLin1ELin1EbEEvNS_4cuda6detail10TensorInfoIKT_T1_EENS5_IS6_S8_EENS5_IT4_S8_EES8_T0_NS_15PhiloxCudaStateE.kd
    .uniform_work_group_size: 1
    .uses_dynamic_stack: false
    .vgpr_count:     61
    .vgpr_spill_count: 0
    .wavefront_size: 32
    .workgroup_processor_mode: 1
  - .args:
      - .offset:         0
        .size:           416
        .value_kind:     by_value
      - .offset:         416
        .size:           416
        .value_kind:     by_value
      - .offset:         832
        .size:           416
        .value_kind:     by_value
      - .offset:         1248
        .size:           8
        .value_kind:     by_value
      - .offset:         1256
        .size:           4
        .value_kind:     by_value
      - .offset:         1264
        .size:           32
        .value_kind:     by_value
      - .offset:         1296
        .size:           4
        .value_kind:     hidden_block_count_x
      - .offset:         1300
        .size:           4
        .value_kind:     hidden_block_count_y
      - .offset:         1304
        .size:           4
        .value_kind:     hidden_block_count_z
      - .offset:         1308
        .size:           2
        .value_kind:     hidden_group_size_x
      - .offset:         1310
        .size:           2
        .value_kind:     hidden_group_size_y
      - .offset:         1312
        .size:           2
        .value_kind:     hidden_group_size_z
      - .offset:         1314
        .size:           2
        .value_kind:     hidden_remainder_x
      - .offset:         1316
        .size:           2
        .value_kind:     hidden_remainder_y
      - .offset:         1318
        .size:           2
        .value_kind:     hidden_remainder_z
      - .offset:         1336
        .size:           8
        .value_kind:     hidden_global_offset_x
      - .offset:         1344
        .size:           8
        .value_kind:     hidden_global_offset_y
      - .offset:         1352
        .size:           8
        .value_kind:     hidden_global_offset_z
      - .offset:         1360
        .size:           2
        .value_kind:     hidden_grid_dims
    .group_segment_fixed_size: 0
    .kernarg_segment_align: 8
    .kernarg_segment_size: 1552
    .language:       OpenCL C
    .language_version:
      - 2
      - 0
    .max_flat_workgroup_size: 256
    .name:           _ZN2at6native12_GLOBAL__N_124fused_dropout_kernel_vecIN3c104HalfEfmLi1ELi16EbEEvNS_4cuda6detail10TensorInfoIKT_T1_EENS7_IS8_SA_EENS7_IT4_SA_EESA_T0_NS_15PhiloxCudaStateE
    .private_segment_fixed_size: 0
    .sgpr_count:     31
    .sgpr_spill_count: 0
    .symbol:         _ZN2at6native12_GLOBAL__N_124fused_dropout_kernel_vecIN3c104HalfEfmLi1ELi16EbEEvNS_4cuda6detail10TensorInfoIKT_T1_EENS7_IS8_SA_EENS7_IT4_SA_EESA_T0_NS_15PhiloxCudaStateE.kd
    .uniform_work_group_size: 1
    .uses_dynamic_stack: false
    .vgpr_count:     78
    .vgpr_spill_count: 0
    .wavefront_size: 32
    .workgroup_processor_mode: 1
  - .args:
      - .offset:         0
        .size:           416
        .value_kind:     by_value
      - .offset:         416
        .size:           416
        .value_kind:     by_value
      - .offset:         832
        .size:           416
        .value_kind:     by_value
      - .offset:         1248
        .size:           8
        .value_kind:     by_value
      - .offset:         1256
        .size:           4
        .value_kind:     by_value
      - .offset:         1264
        .size:           32
        .value_kind:     by_value
      - .offset:         1296
        .size:           4
        .value_kind:     hidden_block_count_x
      - .offset:         1300
        .size:           4
        .value_kind:     hidden_block_count_y
      - .offset:         1304
        .size:           4
        .value_kind:     hidden_block_count_z
      - .offset:         1308
        .size:           2
        .value_kind:     hidden_group_size_x
      - .offset:         1310
        .size:           2
        .value_kind:     hidden_group_size_y
      - .offset:         1312
        .size:           2
        .value_kind:     hidden_group_size_z
      - .offset:         1314
        .size:           2
        .value_kind:     hidden_remainder_x
      - .offset:         1316
        .size:           2
        .value_kind:     hidden_remainder_y
      - .offset:         1318
        .size:           2
        .value_kind:     hidden_remainder_z
      - .offset:         1336
        .size:           8
        .value_kind:     hidden_global_offset_x
      - .offset:         1344
        .size:           8
        .value_kind:     hidden_global_offset_y
      - .offset:         1352
        .size:           8
        .value_kind:     hidden_global_offset_z
      - .offset:         1360
        .size:           2
        .value_kind:     hidden_grid_dims
    .group_segment_fixed_size: 0
    .kernarg_segment_align: 8
    .kernarg_segment_size: 1552
    .language:       OpenCL C
    .language_version:
      - 2
      - 0
    .max_flat_workgroup_size: 256
    .name:           _ZN2at6native12_GLOBAL__N_124fused_dropout_kernel_vecIN3c104HalfEfmLi1ELi8EbEEvNS_4cuda6detail10TensorInfoIKT_T1_EENS7_IS8_SA_EENS7_IT4_SA_EESA_T0_NS_15PhiloxCudaStateE
    .private_segment_fixed_size: 0
    .sgpr_count:     22
    .sgpr_spill_count: 0
    .symbol:         _ZN2at6native12_GLOBAL__N_124fused_dropout_kernel_vecIN3c104HalfEfmLi1ELi8EbEEvNS_4cuda6detail10TensorInfoIKT_T1_EENS7_IS8_SA_EENS7_IT4_SA_EESA_T0_NS_15PhiloxCudaStateE.kd
    .uniform_work_group_size: 1
    .uses_dynamic_stack: false
    .vgpr_count:     58
    .vgpr_spill_count: 0
    .wavefront_size: 32
    .workgroup_processor_mode: 1
  - .args:
      - .offset:         0
        .size:           416
        .value_kind:     by_value
      - .offset:         416
        .size:           416
        .value_kind:     by_value
      - .offset:         832
        .size:           416
        .value_kind:     by_value
      - .offset:         1248
        .size:           8
        .value_kind:     by_value
      - .offset:         1256
        .size:           4
        .value_kind:     by_value
      - .offset:         1264
        .size:           32
        .value_kind:     by_value
      - .offset:         1296
        .size:           4
        .value_kind:     hidden_block_count_x
      - .offset:         1300
        .size:           4
        .value_kind:     hidden_block_count_y
      - .offset:         1304
        .size:           4
        .value_kind:     hidden_block_count_z
      - .offset:         1308
        .size:           2
        .value_kind:     hidden_group_size_x
      - .offset:         1310
        .size:           2
        .value_kind:     hidden_group_size_y
      - .offset:         1312
        .size:           2
        .value_kind:     hidden_group_size_z
      - .offset:         1314
        .size:           2
        .value_kind:     hidden_remainder_x
      - .offset:         1316
        .size:           2
        .value_kind:     hidden_remainder_y
      - .offset:         1318
        .size:           2
        .value_kind:     hidden_remainder_z
      - .offset:         1336
        .size:           8
        .value_kind:     hidden_global_offset_x
      - .offset:         1344
        .size:           8
        .value_kind:     hidden_global_offset_y
      - .offset:         1352
        .size:           8
        .value_kind:     hidden_global_offset_z
      - .offset:         1360
        .size:           2
        .value_kind:     hidden_grid_dims
    .group_segment_fixed_size: 0
    .kernarg_segment_align: 8
    .kernarg_segment_size: 1552
    .language:       OpenCL C
    .language_version:
      - 2
      - 0
    .max_flat_workgroup_size: 256
    .name:           _ZN2at6native12_GLOBAL__N_124fused_dropout_kernel_vecIN3c104HalfEfmLi1ELi4EbEEvNS_4cuda6detail10TensorInfoIKT_T1_EENS7_IS8_SA_EENS7_IT4_SA_EESA_T0_NS_15PhiloxCudaStateE
    .private_segment_fixed_size: 0
    .sgpr_count:     18
    .sgpr_spill_count: 0
    .symbol:         _ZN2at6native12_GLOBAL__N_124fused_dropout_kernel_vecIN3c104HalfEfmLi1ELi4EbEEvNS_4cuda6detail10TensorInfoIKT_T1_EENS7_IS8_SA_EENS7_IT4_SA_EESA_T0_NS_15PhiloxCudaStateE.kd
    .uniform_work_group_size: 1
    .uses_dynamic_stack: false
    .vgpr_count:     49
    .vgpr_spill_count: 0
    .wavefront_size: 32
    .workgroup_processor_mode: 1
  - .args:
      - .offset:         0
        .size:           416
        .value_kind:     by_value
      - .offset:         416
        .size:           416
        .value_kind:     by_value
      - .offset:         832
        .size:           416
        .value_kind:     by_value
      - .offset:         1248
        .size:           8
        .value_kind:     by_value
      - .offset:         1256
        .size:           4
        .value_kind:     by_value
      - .offset:         1264
        .size:           32
        .value_kind:     by_value
      - .offset:         1296
        .size:           4
        .value_kind:     hidden_block_count_x
      - .offset:         1300
        .size:           4
        .value_kind:     hidden_block_count_y
      - .offset:         1304
        .size:           4
        .value_kind:     hidden_block_count_z
      - .offset:         1308
        .size:           2
        .value_kind:     hidden_group_size_x
      - .offset:         1310
        .size:           2
        .value_kind:     hidden_group_size_y
      - .offset:         1312
        .size:           2
        .value_kind:     hidden_group_size_z
      - .offset:         1314
        .size:           2
        .value_kind:     hidden_remainder_x
      - .offset:         1316
        .size:           2
        .value_kind:     hidden_remainder_y
      - .offset:         1318
        .size:           2
        .value_kind:     hidden_remainder_z
      - .offset:         1336
        .size:           8
        .value_kind:     hidden_global_offset_x
      - .offset:         1344
        .size:           8
        .value_kind:     hidden_global_offset_y
      - .offset:         1352
        .size:           8
        .value_kind:     hidden_global_offset_z
      - .offset:         1360
        .size:           2
        .value_kind:     hidden_grid_dims
    .group_segment_fixed_size: 0
    .kernarg_segment_align: 8
    .kernarg_segment_size: 1552
    .language:       OpenCL C
    .language_version:
      - 2
      - 0
    .max_flat_workgroup_size: 256
    .name:           _ZN2at6native12_GLOBAL__N_124fused_dropout_kernel_vecIN3c104HalfEfmLi1ELi2EbEEvNS_4cuda6detail10TensorInfoIKT_T1_EENS7_IS8_SA_EENS7_IT4_SA_EESA_T0_NS_15PhiloxCudaStateE
    .private_segment_fixed_size: 0
    .sgpr_count:     18
    .sgpr_spill_count: 0
    .symbol:         _ZN2at6native12_GLOBAL__N_124fused_dropout_kernel_vecIN3c104HalfEfmLi1ELi2EbEEvNS_4cuda6detail10TensorInfoIKT_T1_EENS7_IS8_SA_EENS7_IT4_SA_EESA_T0_NS_15PhiloxCudaStateE.kd
    .uniform_work_group_size: 1
    .uses_dynamic_stack: false
    .vgpr_count:     44
    .vgpr_spill_count: 0
    .wavefront_size: 32
    .workgroup_processor_mode: 1
  - .args:
      - .offset:         0
        .size:           416
        .value_kind:     by_value
      - .offset:         416
        .size:           416
        .value_kind:     by_value
      - .offset:         832
        .size:           416
        .value_kind:     by_value
      - .offset:         1248
        .size:           8
        .value_kind:     by_value
      - .offset:         1256
        .size:           4
        .value_kind:     by_value
      - .offset:         1264
        .size:           32
        .value_kind:     by_value
      - .offset:         1296
        .size:           4
        .value_kind:     hidden_block_count_x
      - .offset:         1300
        .size:           4
        .value_kind:     hidden_block_count_y
      - .offset:         1304
        .size:           4
        .value_kind:     hidden_block_count_z
      - .offset:         1308
        .size:           2
        .value_kind:     hidden_group_size_x
      - .offset:         1310
        .size:           2
        .value_kind:     hidden_group_size_y
      - .offset:         1312
        .size:           2
        .value_kind:     hidden_group_size_z
      - .offset:         1314
        .size:           2
        .value_kind:     hidden_remainder_x
      - .offset:         1316
        .size:           2
        .value_kind:     hidden_remainder_y
      - .offset:         1318
        .size:           2
        .value_kind:     hidden_remainder_z
      - .offset:         1336
        .size:           8
        .value_kind:     hidden_global_offset_x
      - .offset:         1344
        .size:           8
        .value_kind:     hidden_global_offset_y
      - .offset:         1352
        .size:           8
        .value_kind:     hidden_global_offset_z
      - .offset:         1360
        .size:           2
        .value_kind:     hidden_grid_dims
    .group_segment_fixed_size: 0
    .kernarg_segment_align: 8
    .kernarg_segment_size: 1552
    .language:       OpenCL C
    .language_version:
      - 2
      - 0
    .max_flat_workgroup_size: 256
    .name:           _ZN2at6native12_GLOBAL__N_120fused_dropout_kernelIN3c104HalfEfmLi1ELi1EbEEvNS_4cuda6detail10TensorInfoIKT_T1_EENS7_IS8_SA_EENS7_IT4_SA_EESA_T0_NS_15PhiloxCudaStateE
    .private_segment_fixed_size: 0
    .sgpr_count:     29
    .sgpr_spill_count: 0
    .symbol:         _ZN2at6native12_GLOBAL__N_120fused_dropout_kernelIN3c104HalfEfmLi1ELi1EbEEvNS_4cuda6detail10TensorInfoIKT_T1_EENS7_IS8_SA_EENS7_IT4_SA_EESA_T0_NS_15PhiloxCudaStateE.kd
    .uniform_work_group_size: 1
    .uses_dynamic_stack: false
    .vgpr_count:     69
    .vgpr_spill_count: 0
    .wavefront_size: 32
    .workgroup_processor_mode: 1
  - .args:
      - .offset:         0
        .size:           416
        .value_kind:     by_value
      - .offset:         416
        .size:           416
        .value_kind:     by_value
      - .offset:         832
        .size:           416
        .value_kind:     by_value
      - .offset:         1248
        .size:           8
        .value_kind:     by_value
      - .offset:         1256
        .size:           4
        .value_kind:     by_value
      - .offset:         1264
        .size:           32
        .value_kind:     by_value
      - .offset:         1296
        .size:           4
        .value_kind:     hidden_block_count_x
      - .offset:         1300
        .size:           4
        .value_kind:     hidden_block_count_y
      - .offset:         1304
        .size:           4
        .value_kind:     hidden_block_count_z
      - .offset:         1308
        .size:           2
        .value_kind:     hidden_group_size_x
      - .offset:         1310
        .size:           2
        .value_kind:     hidden_group_size_y
      - .offset:         1312
        .size:           2
        .value_kind:     hidden_group_size_z
      - .offset:         1314
        .size:           2
        .value_kind:     hidden_remainder_x
      - .offset:         1316
        .size:           2
        .value_kind:     hidden_remainder_y
      - .offset:         1318
        .size:           2
        .value_kind:     hidden_remainder_z
      - .offset:         1336
        .size:           8
        .value_kind:     hidden_global_offset_x
      - .offset:         1344
        .size:           8
        .value_kind:     hidden_global_offset_y
      - .offset:         1352
        .size:           8
        .value_kind:     hidden_global_offset_z
      - .offset:         1360
        .size:           2
        .value_kind:     hidden_grid_dims
    .group_segment_fixed_size: 0
    .kernarg_segment_align: 8
    .kernarg_segment_size: 1552
    .language:       OpenCL C
    .language_version:
      - 2
      - 0
    .max_flat_workgroup_size: 256
    .name:           _ZN2at6native12_GLOBAL__N_120fused_dropout_kernelIN3c104HalfEfmLin1ELi1EbEEvNS_4cuda6detail10TensorInfoIKT_T1_EENS7_IS8_SA_EENS7_IT4_SA_EESA_T0_NS_15PhiloxCudaStateE
    .private_segment_fixed_size: 0
    .sgpr_count:     40
    .sgpr_spill_count: 0
    .symbol:         _ZN2at6native12_GLOBAL__N_120fused_dropout_kernelIN3c104HalfEfmLin1ELi1EbEEvNS_4cuda6detail10TensorInfoIKT_T1_EENS7_IS8_SA_EENS7_IT4_SA_EESA_T0_NS_15PhiloxCudaStateE.kd
    .uniform_work_group_size: 1
    .uses_dynamic_stack: false
    .vgpr_count:     60
    .vgpr_spill_count: 0
    .wavefront_size: 32
    .workgroup_processor_mode: 1
  - .args:
      - .offset:         0
        .size:           416
        .value_kind:     by_value
      - .offset:         416
        .size:           416
        .value_kind:     by_value
      - .offset:         832
        .size:           416
        .value_kind:     by_value
      - .offset:         1248
        .size:           8
        .value_kind:     by_value
      - .offset:         1256
        .size:           4
        .value_kind:     by_value
      - .offset:         1264
        .size:           32
        .value_kind:     by_value
      - .offset:         1296
        .size:           4
        .value_kind:     hidden_block_count_x
      - .offset:         1300
        .size:           4
        .value_kind:     hidden_block_count_y
      - .offset:         1304
        .size:           4
        .value_kind:     hidden_block_count_z
      - .offset:         1308
        .size:           2
        .value_kind:     hidden_group_size_x
      - .offset:         1310
        .size:           2
        .value_kind:     hidden_group_size_y
      - .offset:         1312
        .size:           2
        .value_kind:     hidden_group_size_z
      - .offset:         1314
        .size:           2
        .value_kind:     hidden_remainder_x
      - .offset:         1316
        .size:           2
        .value_kind:     hidden_remainder_y
      - .offset:         1318
        .size:           2
        .value_kind:     hidden_remainder_z
      - .offset:         1336
        .size:           8
        .value_kind:     hidden_global_offset_x
      - .offset:         1344
        .size:           8
        .value_kind:     hidden_global_offset_y
      - .offset:         1352
        .size:           8
        .value_kind:     hidden_global_offset_z
      - .offset:         1360
        .size:           2
        .value_kind:     hidden_grid_dims
    .group_segment_fixed_size: 0
    .kernarg_segment_align: 8
    .kernarg_segment_size: 1552
    .language:       OpenCL C
    .language_version:
      - 2
      - 0
    .max_flat_workgroup_size: 256
    .name:           _ZN2at6native12_GLOBAL__N_120fused_dropout_kernelIN3c104HalfEfmLin1ELin1EbEEvNS_4cuda6detail10TensorInfoIKT_T1_EENS7_IS8_SA_EENS7_IT4_SA_EESA_T0_NS_15PhiloxCudaStateE
    .private_segment_fixed_size: 0
    .sgpr_count:     44
    .sgpr_spill_count: 0
    .symbol:         _ZN2at6native12_GLOBAL__N_120fused_dropout_kernelIN3c104HalfEfmLin1ELin1EbEEvNS_4cuda6detail10TensorInfoIKT_T1_EENS7_IS8_SA_EENS7_IT4_SA_EESA_T0_NS_15PhiloxCudaStateE.kd
    .uniform_work_group_size: 1
    .uses_dynamic_stack: false
    .vgpr_count:     61
    .vgpr_spill_count: 0
    .wavefront_size: 32
    .workgroup_processor_mode: 1
  - .args:
      - .offset:         0
        .size:           416
        .value_kind:     by_value
      - .offset:         416
        .size:           416
        .value_kind:     by_value
      - .offset:         832
        .size:           416
        .value_kind:     by_value
      - .offset:         1248
        .size:           8
        .value_kind:     by_value
      - .offset:         1256
        .size:           4
        .value_kind:     by_value
      - .offset:         1264
        .size:           32
        .value_kind:     by_value
      - .offset:         1296
        .size:           4
        .value_kind:     hidden_block_count_x
      - .offset:         1300
        .size:           4
        .value_kind:     hidden_block_count_y
      - .offset:         1304
        .size:           4
        .value_kind:     hidden_block_count_z
      - .offset:         1308
        .size:           2
        .value_kind:     hidden_group_size_x
      - .offset:         1310
        .size:           2
        .value_kind:     hidden_group_size_y
      - .offset:         1312
        .size:           2
        .value_kind:     hidden_group_size_z
      - .offset:         1314
        .size:           2
        .value_kind:     hidden_remainder_x
      - .offset:         1316
        .size:           2
        .value_kind:     hidden_remainder_y
      - .offset:         1318
        .size:           2
        .value_kind:     hidden_remainder_z
      - .offset:         1336
        .size:           8
        .value_kind:     hidden_global_offset_x
      - .offset:         1344
        .size:           8
        .value_kind:     hidden_global_offset_y
      - .offset:         1352
        .size:           8
        .value_kind:     hidden_global_offset_z
      - .offset:         1360
        .size:           2
        .value_kind:     hidden_grid_dims
    .group_segment_fixed_size: 0
    .kernarg_segment_align: 8
    .kernarg_segment_size: 1552
    .language:       OpenCL C
    .language_version:
      - 2
      - 0
    .max_flat_workgroup_size: 256
    .name:           _ZN2at6native12_GLOBAL__N_124fused_dropout_kernel_vecIN3c108BFloat16EfmLi1ELi16EbEEvNS_4cuda6detail10TensorInfoIKT_T1_EENS7_IS8_SA_EENS7_IT4_SA_EESA_T0_NS_15PhiloxCudaStateE
    .private_segment_fixed_size: 0
    .sgpr_count:     32
    .sgpr_spill_count: 0
    .symbol:         _ZN2at6native12_GLOBAL__N_124fused_dropout_kernel_vecIN3c108BFloat16EfmLi1ELi16EbEEvNS_4cuda6detail10TensorInfoIKT_T1_EENS7_IS8_SA_EENS7_IT4_SA_EESA_T0_NS_15PhiloxCudaStateE.kd
    .uniform_work_group_size: 1
    .uses_dynamic_stack: false
    .vgpr_count:     78
    .vgpr_spill_count: 0
    .wavefront_size: 32
    .workgroup_processor_mode: 1
  - .args:
      - .offset:         0
        .size:           416
        .value_kind:     by_value
      - .offset:         416
        .size:           416
        .value_kind:     by_value
      - .offset:         832
        .size:           416
        .value_kind:     by_value
      - .offset:         1248
        .size:           8
        .value_kind:     by_value
      - .offset:         1256
        .size:           4
        .value_kind:     by_value
      - .offset:         1264
        .size:           32
        .value_kind:     by_value
      - .offset:         1296
        .size:           4
        .value_kind:     hidden_block_count_x
      - .offset:         1300
        .size:           4
        .value_kind:     hidden_block_count_y
      - .offset:         1304
        .size:           4
        .value_kind:     hidden_block_count_z
      - .offset:         1308
        .size:           2
        .value_kind:     hidden_group_size_x
      - .offset:         1310
        .size:           2
        .value_kind:     hidden_group_size_y
      - .offset:         1312
        .size:           2
        .value_kind:     hidden_group_size_z
      - .offset:         1314
        .size:           2
        .value_kind:     hidden_remainder_x
      - .offset:         1316
        .size:           2
        .value_kind:     hidden_remainder_y
      - .offset:         1318
        .size:           2
        .value_kind:     hidden_remainder_z
      - .offset:         1336
        .size:           8
        .value_kind:     hidden_global_offset_x
      - .offset:         1344
        .size:           8
        .value_kind:     hidden_global_offset_y
      - .offset:         1352
        .size:           8
        .value_kind:     hidden_global_offset_z
      - .offset:         1360
        .size:           2
        .value_kind:     hidden_grid_dims
    .group_segment_fixed_size: 0
    .kernarg_segment_align: 8
    .kernarg_segment_size: 1552
    .language:       OpenCL C
    .language_version:
      - 2
      - 0
    .max_flat_workgroup_size: 256
    .name:           _ZN2at6native12_GLOBAL__N_124fused_dropout_kernel_vecIN3c108BFloat16EfmLi1ELi8EbEEvNS_4cuda6detail10TensorInfoIKT_T1_EENS7_IS8_SA_EENS7_IT4_SA_EESA_T0_NS_15PhiloxCudaStateE
    .private_segment_fixed_size: 0
    .sgpr_count:     24
    .sgpr_spill_count: 0
    .symbol:         _ZN2at6native12_GLOBAL__N_124fused_dropout_kernel_vecIN3c108BFloat16EfmLi1ELi8EbEEvNS_4cuda6detail10TensorInfoIKT_T1_EENS7_IS8_SA_EENS7_IT4_SA_EESA_T0_NS_15PhiloxCudaStateE.kd
    .uniform_work_group_size: 1
    .uses_dynamic_stack: false
    .vgpr_count:     58
    .vgpr_spill_count: 0
    .wavefront_size: 32
    .workgroup_processor_mode: 1
  - .args:
      - .offset:         0
        .size:           416
        .value_kind:     by_value
      - .offset:         416
        .size:           416
        .value_kind:     by_value
      - .offset:         832
        .size:           416
        .value_kind:     by_value
      - .offset:         1248
        .size:           8
        .value_kind:     by_value
      - .offset:         1256
        .size:           4
        .value_kind:     by_value
      - .offset:         1264
        .size:           32
        .value_kind:     by_value
      - .offset:         1296
        .size:           4
        .value_kind:     hidden_block_count_x
      - .offset:         1300
        .size:           4
        .value_kind:     hidden_block_count_y
      - .offset:         1304
        .size:           4
        .value_kind:     hidden_block_count_z
      - .offset:         1308
        .size:           2
        .value_kind:     hidden_group_size_x
      - .offset:         1310
        .size:           2
        .value_kind:     hidden_group_size_y
      - .offset:         1312
        .size:           2
        .value_kind:     hidden_group_size_z
      - .offset:         1314
        .size:           2
        .value_kind:     hidden_remainder_x
      - .offset:         1316
        .size:           2
        .value_kind:     hidden_remainder_y
      - .offset:         1318
        .size:           2
        .value_kind:     hidden_remainder_z
      - .offset:         1336
        .size:           8
        .value_kind:     hidden_global_offset_x
      - .offset:         1344
        .size:           8
        .value_kind:     hidden_global_offset_y
      - .offset:         1352
        .size:           8
        .value_kind:     hidden_global_offset_z
      - .offset:         1360
        .size:           2
        .value_kind:     hidden_grid_dims
    .group_segment_fixed_size: 0
    .kernarg_segment_align: 8
    .kernarg_segment_size: 1552
    .language:       OpenCL C
    .language_version:
      - 2
      - 0
    .max_flat_workgroup_size: 256
    .name:           _ZN2at6native12_GLOBAL__N_124fused_dropout_kernel_vecIN3c108BFloat16EfmLi1ELi4EbEEvNS_4cuda6detail10TensorInfoIKT_T1_EENS7_IS8_SA_EENS7_IT4_SA_EESA_T0_NS_15PhiloxCudaStateE
    .private_segment_fixed_size: 0
    .sgpr_count:     19
    .sgpr_spill_count: 0
    .symbol:         _ZN2at6native12_GLOBAL__N_124fused_dropout_kernel_vecIN3c108BFloat16EfmLi1ELi4EbEEvNS_4cuda6detail10TensorInfoIKT_T1_EENS7_IS8_SA_EENS7_IT4_SA_EESA_T0_NS_15PhiloxCudaStateE.kd
    .uniform_work_group_size: 1
    .uses_dynamic_stack: false
    .vgpr_count:     48
    .vgpr_spill_count: 0
    .wavefront_size: 32
    .workgroup_processor_mode: 1
  - .args:
      - .offset:         0
        .size:           416
        .value_kind:     by_value
      - .offset:         416
        .size:           416
        .value_kind:     by_value
      - .offset:         832
        .size:           416
        .value_kind:     by_value
      - .offset:         1248
        .size:           8
        .value_kind:     by_value
      - .offset:         1256
        .size:           4
        .value_kind:     by_value
      - .offset:         1264
        .size:           32
        .value_kind:     by_value
      - .offset:         1296
        .size:           4
        .value_kind:     hidden_block_count_x
      - .offset:         1300
        .size:           4
        .value_kind:     hidden_block_count_y
      - .offset:         1304
        .size:           4
        .value_kind:     hidden_block_count_z
      - .offset:         1308
        .size:           2
        .value_kind:     hidden_group_size_x
      - .offset:         1310
        .size:           2
        .value_kind:     hidden_group_size_y
      - .offset:         1312
        .size:           2
        .value_kind:     hidden_group_size_z
      - .offset:         1314
        .size:           2
        .value_kind:     hidden_remainder_x
      - .offset:         1316
        .size:           2
        .value_kind:     hidden_remainder_y
      - .offset:         1318
        .size:           2
        .value_kind:     hidden_remainder_z
      - .offset:         1336
        .size:           8
        .value_kind:     hidden_global_offset_x
      - .offset:         1344
        .size:           8
        .value_kind:     hidden_global_offset_y
      - .offset:         1352
        .size:           8
        .value_kind:     hidden_global_offset_z
      - .offset:         1360
        .size:           2
        .value_kind:     hidden_grid_dims
    .group_segment_fixed_size: 0
    .kernarg_segment_align: 8
    .kernarg_segment_size: 1552
    .language:       OpenCL C
    .language_version:
      - 2
      - 0
    .max_flat_workgroup_size: 256
    .name:           _ZN2at6native12_GLOBAL__N_124fused_dropout_kernel_vecIN3c108BFloat16EfmLi1ELi2EbEEvNS_4cuda6detail10TensorInfoIKT_T1_EENS7_IS8_SA_EENS7_IT4_SA_EESA_T0_NS_15PhiloxCudaStateE
    .private_segment_fixed_size: 0
    .sgpr_count:     18
    .sgpr_spill_count: 0
    .symbol:         _ZN2at6native12_GLOBAL__N_124fused_dropout_kernel_vecIN3c108BFloat16EfmLi1ELi2EbEEvNS_4cuda6detail10TensorInfoIKT_T1_EENS7_IS8_SA_EENS7_IT4_SA_EESA_T0_NS_15PhiloxCudaStateE.kd
    .uniform_work_group_size: 1
    .uses_dynamic_stack: false
    .vgpr_count:     44
    .vgpr_spill_count: 0
    .wavefront_size: 32
    .workgroup_processor_mode: 1
  - .args:
      - .offset:         0
        .size:           416
        .value_kind:     by_value
      - .offset:         416
        .size:           416
        .value_kind:     by_value
      - .offset:         832
        .size:           416
        .value_kind:     by_value
      - .offset:         1248
        .size:           8
        .value_kind:     by_value
      - .offset:         1256
        .size:           4
        .value_kind:     by_value
      - .offset:         1264
        .size:           32
        .value_kind:     by_value
      - .offset:         1296
        .size:           4
        .value_kind:     hidden_block_count_x
      - .offset:         1300
        .size:           4
        .value_kind:     hidden_block_count_y
      - .offset:         1304
        .size:           4
        .value_kind:     hidden_block_count_z
      - .offset:         1308
        .size:           2
        .value_kind:     hidden_group_size_x
      - .offset:         1310
        .size:           2
        .value_kind:     hidden_group_size_y
      - .offset:         1312
        .size:           2
        .value_kind:     hidden_group_size_z
      - .offset:         1314
        .size:           2
        .value_kind:     hidden_remainder_x
      - .offset:         1316
        .size:           2
        .value_kind:     hidden_remainder_y
      - .offset:         1318
        .size:           2
        .value_kind:     hidden_remainder_z
      - .offset:         1336
        .size:           8
        .value_kind:     hidden_global_offset_x
      - .offset:         1344
        .size:           8
        .value_kind:     hidden_global_offset_y
      - .offset:         1352
        .size:           8
        .value_kind:     hidden_global_offset_z
      - .offset:         1360
        .size:           2
        .value_kind:     hidden_grid_dims
    .group_segment_fixed_size: 0
    .kernarg_segment_align: 8
    .kernarg_segment_size: 1552
    .language:       OpenCL C
    .language_version:
      - 2
      - 0
    .max_flat_workgroup_size: 256
    .name:           _ZN2at6native12_GLOBAL__N_120fused_dropout_kernelIN3c108BFloat16EfmLi1ELi1EbEEvNS_4cuda6detail10TensorInfoIKT_T1_EENS7_IS8_SA_EENS7_IT4_SA_EESA_T0_NS_15PhiloxCudaStateE
    .private_segment_fixed_size: 0
    .sgpr_count:     29
    .sgpr_spill_count: 0
    .symbol:         _ZN2at6native12_GLOBAL__N_120fused_dropout_kernelIN3c108BFloat16EfmLi1ELi1EbEEvNS_4cuda6detail10TensorInfoIKT_T1_EENS7_IS8_SA_EENS7_IT4_SA_EESA_T0_NS_15PhiloxCudaStateE.kd
    .uniform_work_group_size: 1
    .uses_dynamic_stack: false
    .vgpr_count:     69
    .vgpr_spill_count: 0
    .wavefront_size: 32
    .workgroup_processor_mode: 1
  - .args:
      - .offset:         0
        .size:           416
        .value_kind:     by_value
      - .offset:         416
        .size:           416
        .value_kind:     by_value
      - .offset:         832
        .size:           416
        .value_kind:     by_value
      - .offset:         1248
        .size:           8
        .value_kind:     by_value
      - .offset:         1256
        .size:           4
        .value_kind:     by_value
      - .offset:         1264
        .size:           32
        .value_kind:     by_value
      - .offset:         1296
        .size:           4
        .value_kind:     hidden_block_count_x
      - .offset:         1300
        .size:           4
        .value_kind:     hidden_block_count_y
      - .offset:         1304
        .size:           4
        .value_kind:     hidden_block_count_z
      - .offset:         1308
        .size:           2
        .value_kind:     hidden_group_size_x
      - .offset:         1310
        .size:           2
        .value_kind:     hidden_group_size_y
      - .offset:         1312
        .size:           2
        .value_kind:     hidden_group_size_z
      - .offset:         1314
        .size:           2
        .value_kind:     hidden_remainder_x
      - .offset:         1316
        .size:           2
        .value_kind:     hidden_remainder_y
      - .offset:         1318
        .size:           2
        .value_kind:     hidden_remainder_z
      - .offset:         1336
        .size:           8
        .value_kind:     hidden_global_offset_x
      - .offset:         1344
        .size:           8
        .value_kind:     hidden_global_offset_y
      - .offset:         1352
        .size:           8
        .value_kind:     hidden_global_offset_z
      - .offset:         1360
        .size:           2
        .value_kind:     hidden_grid_dims
    .group_segment_fixed_size: 0
    .kernarg_segment_align: 8
    .kernarg_segment_size: 1552
    .language:       OpenCL C
    .language_version:
      - 2
      - 0
    .max_flat_workgroup_size: 256
    .name:           _ZN2at6native12_GLOBAL__N_120fused_dropout_kernelIN3c108BFloat16EfmLin1ELi1EbEEvNS_4cuda6detail10TensorInfoIKT_T1_EENS7_IS8_SA_EENS7_IT4_SA_EESA_T0_NS_15PhiloxCudaStateE
    .private_segment_fixed_size: 0
    .sgpr_count:     40
    .sgpr_spill_count: 0
    .symbol:         _ZN2at6native12_GLOBAL__N_120fused_dropout_kernelIN3c108BFloat16EfmLin1ELi1EbEEvNS_4cuda6detail10TensorInfoIKT_T1_EENS7_IS8_SA_EENS7_IT4_SA_EESA_T0_NS_15PhiloxCudaStateE.kd
    .uniform_work_group_size: 1
    .uses_dynamic_stack: false
    .vgpr_count:     60
    .vgpr_spill_count: 0
    .wavefront_size: 32
    .workgroup_processor_mode: 1
  - .args:
      - .offset:         0
        .size:           416
        .value_kind:     by_value
      - .offset:         416
        .size:           416
        .value_kind:     by_value
      - .offset:         832
        .size:           416
        .value_kind:     by_value
      - .offset:         1248
        .size:           8
        .value_kind:     by_value
      - .offset:         1256
        .size:           4
        .value_kind:     by_value
      - .offset:         1264
        .size:           32
        .value_kind:     by_value
      - .offset:         1296
        .size:           4
        .value_kind:     hidden_block_count_x
      - .offset:         1300
        .size:           4
        .value_kind:     hidden_block_count_y
      - .offset:         1304
        .size:           4
        .value_kind:     hidden_block_count_z
      - .offset:         1308
        .size:           2
        .value_kind:     hidden_group_size_x
      - .offset:         1310
        .size:           2
        .value_kind:     hidden_group_size_y
      - .offset:         1312
        .size:           2
        .value_kind:     hidden_group_size_z
      - .offset:         1314
        .size:           2
        .value_kind:     hidden_remainder_x
      - .offset:         1316
        .size:           2
        .value_kind:     hidden_remainder_y
      - .offset:         1318
        .size:           2
        .value_kind:     hidden_remainder_z
      - .offset:         1336
        .size:           8
        .value_kind:     hidden_global_offset_x
      - .offset:         1344
        .size:           8
        .value_kind:     hidden_global_offset_y
      - .offset:         1352
        .size:           8
        .value_kind:     hidden_global_offset_z
      - .offset:         1360
        .size:           2
        .value_kind:     hidden_grid_dims
    .group_segment_fixed_size: 0
    .kernarg_segment_align: 8
    .kernarg_segment_size: 1552
    .language:       OpenCL C
    .language_version:
      - 2
      - 0
    .max_flat_workgroup_size: 256
    .name:           _ZN2at6native12_GLOBAL__N_120fused_dropout_kernelIN3c108BFloat16EfmLin1ELin1EbEEvNS_4cuda6detail10TensorInfoIKT_T1_EENS7_IS8_SA_EENS7_IT4_SA_EESA_T0_NS_15PhiloxCudaStateE
    .private_segment_fixed_size: 0
    .sgpr_count:     44
    .sgpr_spill_count: 0
    .symbol:         _ZN2at6native12_GLOBAL__N_120fused_dropout_kernelIN3c108BFloat16EfmLin1ELin1EbEEvNS_4cuda6detail10TensorInfoIKT_T1_EENS7_IS8_SA_EENS7_IT4_SA_EESA_T0_NS_15PhiloxCudaStateE.kd
    .uniform_work_group_size: 1
    .uses_dynamic_stack: false
    .vgpr_count:     61
    .vgpr_spill_count: 0
    .wavefront_size: 32
    .workgroup_processor_mode: 1
  - .args:
      - .offset:         0
        .size:           216
        .value_kind:     by_value
      - .offset:         216
        .size:           216
        .value_kind:     by_value
      - .offset:         432
        .size:           216
        .value_kind:     by_value
      - .offset:         648
        .size:           4
        .value_kind:     by_value
      - .offset:         656
        .size:           8
        .value_kind:     by_value
      - .offset:         664
        .size:           32
        .value_kind:     by_value
      - .offset:         696
        .size:           4
        .value_kind:     hidden_block_count_x
      - .offset:         700
        .size:           4
        .value_kind:     hidden_block_count_y
      - .offset:         704
        .size:           4
        .value_kind:     hidden_block_count_z
      - .offset:         708
        .size:           2
        .value_kind:     hidden_group_size_x
      - .offset:         710
        .size:           2
        .value_kind:     hidden_group_size_y
      - .offset:         712
        .size:           2
        .value_kind:     hidden_group_size_z
      - .offset:         714
        .size:           2
        .value_kind:     hidden_remainder_x
      - .offset:         716
        .size:           2
        .value_kind:     hidden_remainder_y
      - .offset:         718
        .size:           2
        .value_kind:     hidden_remainder_z
      - .offset:         736
        .size:           8
        .value_kind:     hidden_global_offset_x
      - .offset:         744
        .size:           8
        .value_kind:     hidden_global_offset_y
      - .offset:         752
        .size:           8
        .value_kind:     hidden_global_offset_z
      - .offset:         760
        .size:           2
        .value_kind:     hidden_grid_dims
    .group_segment_fixed_size: 0
    .kernarg_segment_align: 8
    .kernarg_segment_size: 952
    .language:       OpenCL C
    .language_version:
      - 2
      - 0
    .max_flat_workgroup_size: 256
    .name:           _ZN2at6native12_GLOBAL__N_124fused_dropout_kernel_vecIddjLi1ELi16EhEEvNS_4cuda6detail10TensorInfoIKT_T1_EENS5_IS6_S8_EENS5_IT4_S8_EES8_T0_NS_15PhiloxCudaStateE
    .private_segment_fixed_size: 0
    .sgpr_count:     28
    .sgpr_spill_count: 0
    .symbol:         _ZN2at6native12_GLOBAL__N_124fused_dropout_kernel_vecIddjLi1ELi16EhEEvNS_4cuda6detail10TensorInfoIKT_T1_EENS5_IS6_S8_EENS5_IT4_S8_EES8_T0_NS_15PhiloxCudaStateE.kd
    .uniform_work_group_size: 1
    .uses_dynamic_stack: false
    .vgpr_count:     130
    .vgpr_spill_count: 0
    .wavefront_size: 32
    .workgroup_processor_mode: 1
  - .args:
      - .offset:         0
        .size:           216
        .value_kind:     by_value
      - .offset:         216
        .size:           216
        .value_kind:     by_value
      - .offset:         432
        .size:           216
        .value_kind:     by_value
      - .offset:         648
        .size:           4
        .value_kind:     by_value
      - .offset:         656
        .size:           8
        .value_kind:     by_value
      - .offset:         664
        .size:           32
        .value_kind:     by_value
      - .offset:         696
        .size:           4
        .value_kind:     hidden_block_count_x
      - .offset:         700
        .size:           4
        .value_kind:     hidden_block_count_y
      - .offset:         704
        .size:           4
        .value_kind:     hidden_block_count_z
      - .offset:         708
        .size:           2
        .value_kind:     hidden_group_size_x
      - .offset:         710
        .size:           2
        .value_kind:     hidden_group_size_y
      - .offset:         712
        .size:           2
        .value_kind:     hidden_group_size_z
      - .offset:         714
        .size:           2
        .value_kind:     hidden_remainder_x
      - .offset:         716
        .size:           2
        .value_kind:     hidden_remainder_y
      - .offset:         718
        .size:           2
        .value_kind:     hidden_remainder_z
      - .offset:         736
        .size:           8
        .value_kind:     hidden_global_offset_x
      - .offset:         744
        .size:           8
        .value_kind:     hidden_global_offset_y
      - .offset:         752
        .size:           8
        .value_kind:     hidden_global_offset_z
      - .offset:         760
        .size:           2
        .value_kind:     hidden_grid_dims
    .group_segment_fixed_size: 0
    .kernarg_segment_align: 8
    .kernarg_segment_size: 952
    .language:       OpenCL C
    .language_version:
      - 2
      - 0
    .max_flat_workgroup_size: 256
    .name:           _ZN2at6native12_GLOBAL__N_124fused_dropout_kernel_vecIddjLi1ELi8EhEEvNS_4cuda6detail10TensorInfoIKT_T1_EENS5_IS6_S8_EENS5_IT4_S8_EES8_T0_NS_15PhiloxCudaStateE
    .private_segment_fixed_size: 0
    .sgpr_count:     20
    .sgpr_spill_count: 0
    .symbol:         _ZN2at6native12_GLOBAL__N_124fused_dropout_kernel_vecIddjLi1ELi8EhEEvNS_4cuda6detail10TensorInfoIKT_T1_EENS5_IS6_S8_EENS5_IT4_S8_EES8_T0_NS_15PhiloxCudaStateE.kd
    .uniform_work_group_size: 1
    .uses_dynamic_stack: false
    .vgpr_count:     84
    .vgpr_spill_count: 0
    .wavefront_size: 32
    .workgroup_processor_mode: 1
  - .args:
      - .offset:         0
        .size:           216
        .value_kind:     by_value
      - .offset:         216
        .size:           216
        .value_kind:     by_value
      - .offset:         432
        .size:           216
        .value_kind:     by_value
      - .offset:         648
        .size:           4
        .value_kind:     by_value
      - .offset:         656
        .size:           8
        .value_kind:     by_value
      - .offset:         664
        .size:           32
        .value_kind:     by_value
      - .offset:         696
        .size:           4
        .value_kind:     hidden_block_count_x
      - .offset:         700
        .size:           4
        .value_kind:     hidden_block_count_y
      - .offset:         704
        .size:           4
        .value_kind:     hidden_block_count_z
      - .offset:         708
        .size:           2
        .value_kind:     hidden_group_size_x
      - .offset:         710
        .size:           2
        .value_kind:     hidden_group_size_y
      - .offset:         712
        .size:           2
        .value_kind:     hidden_group_size_z
      - .offset:         714
        .size:           2
        .value_kind:     hidden_remainder_x
      - .offset:         716
        .size:           2
        .value_kind:     hidden_remainder_y
      - .offset:         718
        .size:           2
        .value_kind:     hidden_remainder_z
      - .offset:         736
        .size:           8
        .value_kind:     hidden_global_offset_x
      - .offset:         744
        .size:           8
        .value_kind:     hidden_global_offset_y
      - .offset:         752
        .size:           8
        .value_kind:     hidden_global_offset_z
      - .offset:         760
        .size:           2
        .value_kind:     hidden_grid_dims
    .group_segment_fixed_size: 0
    .kernarg_segment_align: 8
    .kernarg_segment_size: 952
    .language:       OpenCL C
    .language_version:
      - 2
      - 0
    .max_flat_workgroup_size: 256
    .name:           _ZN2at6native12_GLOBAL__N_124fused_dropout_kernel_vecIddjLi1ELi4EhEEvNS_4cuda6detail10TensorInfoIKT_T1_EENS5_IS6_S8_EENS5_IT4_S8_EES8_T0_NS_15PhiloxCudaStateE
    .private_segment_fixed_size: 0
    .sgpr_count:     18
    .sgpr_spill_count: 0
    .symbol:         _ZN2at6native12_GLOBAL__N_124fused_dropout_kernel_vecIddjLi1ELi4EhEEvNS_4cuda6detail10TensorInfoIKT_T1_EENS5_IS6_S8_EENS5_IT4_S8_EES8_T0_NS_15PhiloxCudaStateE.kd
    .uniform_work_group_size: 1
    .uses_dynamic_stack: false
    .vgpr_count:     61
    .vgpr_spill_count: 0
    .wavefront_size: 32
    .workgroup_processor_mode: 1
  - .args:
      - .offset:         0
        .size:           216
        .value_kind:     by_value
      - .offset:         216
        .size:           216
        .value_kind:     by_value
      - .offset:         432
        .size:           216
        .value_kind:     by_value
      - .offset:         648
        .size:           4
        .value_kind:     by_value
      - .offset:         656
        .size:           8
        .value_kind:     by_value
      - .offset:         664
        .size:           32
        .value_kind:     by_value
      - .offset:         696
        .size:           4
        .value_kind:     hidden_block_count_x
      - .offset:         700
        .size:           4
        .value_kind:     hidden_block_count_y
      - .offset:         704
        .size:           4
        .value_kind:     hidden_block_count_z
      - .offset:         708
        .size:           2
        .value_kind:     hidden_group_size_x
      - .offset:         710
        .size:           2
        .value_kind:     hidden_group_size_y
      - .offset:         712
        .size:           2
        .value_kind:     hidden_group_size_z
      - .offset:         714
        .size:           2
        .value_kind:     hidden_remainder_x
      - .offset:         716
        .size:           2
        .value_kind:     hidden_remainder_y
      - .offset:         718
        .size:           2
        .value_kind:     hidden_remainder_z
      - .offset:         736
        .size:           8
        .value_kind:     hidden_global_offset_x
      - .offset:         744
        .size:           8
        .value_kind:     hidden_global_offset_y
      - .offset:         752
        .size:           8
        .value_kind:     hidden_global_offset_z
      - .offset:         760
        .size:           2
        .value_kind:     hidden_grid_dims
    .group_segment_fixed_size: 0
    .kernarg_segment_align: 8
    .kernarg_segment_size: 952
    .language:       OpenCL C
    .language_version:
      - 2
      - 0
    .max_flat_workgroup_size: 256
    .name:           _ZN2at6native12_GLOBAL__N_124fused_dropout_kernel_vecIddjLi1ELi2EhEEvNS_4cuda6detail10TensorInfoIKT_T1_EENS5_IS6_S8_EENS5_IT4_S8_EES8_T0_NS_15PhiloxCudaStateE
    .private_segment_fixed_size: 0
    .sgpr_count:     18
    .sgpr_spill_count: 0
    .symbol:         _ZN2at6native12_GLOBAL__N_124fused_dropout_kernel_vecIddjLi1ELi2EhEEvNS_4cuda6detail10TensorInfoIKT_T1_EENS5_IS6_S8_EENS5_IT4_S8_EES8_T0_NS_15PhiloxCudaStateE.kd
    .uniform_work_group_size: 1
    .uses_dynamic_stack: false
    .vgpr_count:     49
    .vgpr_spill_count: 0
    .wavefront_size: 32
    .workgroup_processor_mode: 1
  - .args:
      - .offset:         0
        .size:           216
        .value_kind:     by_value
      - .offset:         216
        .size:           216
        .value_kind:     by_value
      - .offset:         432
        .size:           216
        .value_kind:     by_value
      - .offset:         648
        .size:           4
        .value_kind:     by_value
      - .offset:         656
        .size:           8
        .value_kind:     by_value
      - .offset:         664
        .size:           32
        .value_kind:     by_value
      - .offset:         696
        .size:           4
        .value_kind:     hidden_block_count_x
      - .offset:         700
        .size:           4
        .value_kind:     hidden_block_count_y
      - .offset:         704
        .size:           4
        .value_kind:     hidden_block_count_z
      - .offset:         708
        .size:           2
        .value_kind:     hidden_group_size_x
      - .offset:         710
        .size:           2
        .value_kind:     hidden_group_size_y
      - .offset:         712
        .size:           2
        .value_kind:     hidden_group_size_z
      - .offset:         714
        .size:           2
        .value_kind:     hidden_remainder_x
      - .offset:         716
        .size:           2
        .value_kind:     hidden_remainder_y
      - .offset:         718
        .size:           2
        .value_kind:     hidden_remainder_z
      - .offset:         736
        .size:           8
        .value_kind:     hidden_global_offset_x
      - .offset:         744
        .size:           8
        .value_kind:     hidden_global_offset_y
      - .offset:         752
        .size:           8
        .value_kind:     hidden_global_offset_z
      - .offset:         760
        .size:           2
        .value_kind:     hidden_grid_dims
    .group_segment_fixed_size: 0
    .kernarg_segment_align: 8
    .kernarg_segment_size: 952
    .language:       OpenCL C
    .language_version:
      - 2
      - 0
    .max_flat_workgroup_size: 256
    .name:           _ZN2at6native12_GLOBAL__N_120fused_dropout_kernelIddjLi1ELi1EhEEvNS_4cuda6detail10TensorInfoIKT_T1_EENS5_IS6_S8_EENS5_IT4_S8_EES8_T0_NS_15PhiloxCudaStateE
    .private_segment_fixed_size: 0
    .sgpr_count:     27
    .sgpr_spill_count: 0
    .symbol:         _ZN2at6native12_GLOBAL__N_120fused_dropout_kernelIddjLi1ELi1EhEEvNS_4cuda6detail10TensorInfoIKT_T1_EENS5_IS6_S8_EENS5_IT4_S8_EES8_T0_NS_15PhiloxCudaStateE.kd
    .uniform_work_group_size: 1
    .uses_dynamic_stack: false
    .vgpr_count:     59
    .vgpr_spill_count: 0
    .wavefront_size: 32
    .workgroup_processor_mode: 1
  - .args:
      - .offset:         0
        .size:           216
        .value_kind:     by_value
      - .offset:         216
        .size:           216
        .value_kind:     by_value
      - .offset:         432
        .size:           216
        .value_kind:     by_value
      - .offset:         648
        .size:           4
        .value_kind:     by_value
      - .offset:         656
        .size:           8
        .value_kind:     by_value
      - .offset:         664
        .size:           32
        .value_kind:     by_value
      - .offset:         696
        .size:           4
        .value_kind:     hidden_block_count_x
      - .offset:         700
        .size:           4
        .value_kind:     hidden_block_count_y
      - .offset:         704
        .size:           4
        .value_kind:     hidden_block_count_z
      - .offset:         708
        .size:           2
        .value_kind:     hidden_group_size_x
      - .offset:         710
        .size:           2
        .value_kind:     hidden_group_size_y
      - .offset:         712
        .size:           2
        .value_kind:     hidden_group_size_z
      - .offset:         714
        .size:           2
        .value_kind:     hidden_remainder_x
      - .offset:         716
        .size:           2
        .value_kind:     hidden_remainder_y
      - .offset:         718
        .size:           2
        .value_kind:     hidden_remainder_z
      - .offset:         736
        .size:           8
        .value_kind:     hidden_global_offset_x
      - .offset:         744
        .size:           8
        .value_kind:     hidden_global_offset_y
      - .offset:         752
        .size:           8
        .value_kind:     hidden_global_offset_z
      - .offset:         760
        .size:           2
        .value_kind:     hidden_grid_dims
    .group_segment_fixed_size: 0
    .kernarg_segment_align: 8
    .kernarg_segment_size: 952
    .language:       OpenCL C
    .language_version:
      - 2
      - 0
    .max_flat_workgroup_size: 256
    .name:           _ZN2at6native12_GLOBAL__N_120fused_dropout_kernelIddjLin1ELi1EhEEvNS_4cuda6detail10TensorInfoIKT_T1_EENS5_IS6_S8_EENS5_IT4_S8_EES8_T0_NS_15PhiloxCudaStateE
    .private_segment_fixed_size: 0
    .sgpr_count:     31
    .sgpr_spill_count: 0
    .symbol:         _ZN2at6native12_GLOBAL__N_120fused_dropout_kernelIddjLin1ELi1EhEEvNS_4cuda6detail10TensorInfoIKT_T1_EENS5_IS6_S8_EENS5_IT4_S8_EES8_T0_NS_15PhiloxCudaStateE.kd
    .uniform_work_group_size: 1
    .uses_dynamic_stack: false
    .vgpr_count:     56
    .vgpr_spill_count: 0
    .wavefront_size: 32
    .workgroup_processor_mode: 1
  - .args:
      - .offset:         0
        .size:           216
        .value_kind:     by_value
      - .offset:         216
        .size:           216
        .value_kind:     by_value
      - .offset:         432
        .size:           216
        .value_kind:     by_value
      - .offset:         648
        .size:           4
        .value_kind:     by_value
      - .offset:         656
        .size:           8
        .value_kind:     by_value
      - .offset:         664
        .size:           32
        .value_kind:     by_value
      - .offset:         696
        .size:           4
        .value_kind:     hidden_block_count_x
      - .offset:         700
        .size:           4
        .value_kind:     hidden_block_count_y
      - .offset:         704
        .size:           4
        .value_kind:     hidden_block_count_z
      - .offset:         708
        .size:           2
        .value_kind:     hidden_group_size_x
      - .offset:         710
        .size:           2
        .value_kind:     hidden_group_size_y
      - .offset:         712
        .size:           2
        .value_kind:     hidden_group_size_z
      - .offset:         714
        .size:           2
        .value_kind:     hidden_remainder_x
      - .offset:         716
        .size:           2
        .value_kind:     hidden_remainder_y
      - .offset:         718
        .size:           2
        .value_kind:     hidden_remainder_z
      - .offset:         736
        .size:           8
        .value_kind:     hidden_global_offset_x
      - .offset:         744
        .size:           8
        .value_kind:     hidden_global_offset_y
      - .offset:         752
        .size:           8
        .value_kind:     hidden_global_offset_z
      - .offset:         760
        .size:           2
        .value_kind:     hidden_grid_dims
    .group_segment_fixed_size: 0
    .kernarg_segment_align: 8
    .kernarg_segment_size: 952
    .language:       OpenCL C
    .language_version:
      - 2
      - 0
    .max_flat_workgroup_size: 256
    .name:           _ZN2at6native12_GLOBAL__N_120fused_dropout_kernelIddjLin1ELin1EhEEvNS_4cuda6detail10TensorInfoIKT_T1_EENS5_IS6_S8_EENS5_IT4_S8_EES8_T0_NS_15PhiloxCudaStateE
    .private_segment_fixed_size: 0
    .sgpr_count:     37
    .sgpr_spill_count: 0
    .symbol:         _ZN2at6native12_GLOBAL__N_120fused_dropout_kernelIddjLin1ELin1EhEEvNS_4cuda6detail10TensorInfoIKT_T1_EENS5_IS6_S8_EENS5_IT4_S8_EES8_T0_NS_15PhiloxCudaStateE.kd
    .uniform_work_group_size: 1
    .uses_dynamic_stack: false
    .vgpr_count:     56
    .vgpr_spill_count: 0
    .wavefront_size: 32
    .workgroup_processor_mode: 1
  - .args:
      - .offset:         0
        .size:           216
        .value_kind:     by_value
      - .offset:         216
        .size:           216
        .value_kind:     by_value
      - .offset:         432
        .size:           216
        .value_kind:     by_value
      - .offset:         648
        .size:           4
        .value_kind:     by_value
      - .offset:         652
        .size:           4
        .value_kind:     by_value
      - .offset:         656
        .size:           32
        .value_kind:     by_value
      - .offset:         688
        .size:           4
        .value_kind:     hidden_block_count_x
      - .offset:         692
        .size:           4
        .value_kind:     hidden_block_count_y
      - .offset:         696
        .size:           4
        .value_kind:     hidden_block_count_z
      - .offset:         700
        .size:           2
        .value_kind:     hidden_group_size_x
      - .offset:         702
        .size:           2
        .value_kind:     hidden_group_size_y
      - .offset:         704
        .size:           2
        .value_kind:     hidden_group_size_z
      - .offset:         706
        .size:           2
        .value_kind:     hidden_remainder_x
      - .offset:         708
        .size:           2
        .value_kind:     hidden_remainder_y
      - .offset:         710
        .size:           2
        .value_kind:     hidden_remainder_z
      - .offset:         728
        .size:           8
        .value_kind:     hidden_global_offset_x
      - .offset:         736
        .size:           8
        .value_kind:     hidden_global_offset_y
      - .offset:         744
        .size:           8
        .value_kind:     hidden_global_offset_z
      - .offset:         752
        .size:           2
        .value_kind:     hidden_grid_dims
    .group_segment_fixed_size: 0
    .kernarg_segment_align: 8
    .kernarg_segment_size: 944
    .language:       OpenCL C
    .language_version:
      - 2
      - 0
    .max_flat_workgroup_size: 256
    .name:           _ZN2at6native12_GLOBAL__N_124fused_dropout_kernel_vecIffjLi1ELi16EhEEvNS_4cuda6detail10TensorInfoIKT_T1_EENS5_IS6_S8_EENS5_IT4_S8_EES8_T0_NS_15PhiloxCudaStateE
    .private_segment_fixed_size: 0
    .sgpr_count:     27
    .sgpr_spill_count: 0
    .symbol:         _ZN2at6native12_GLOBAL__N_124fused_dropout_kernel_vecIffjLi1ELi16EhEEvNS_4cuda6detail10TensorInfoIKT_T1_EENS5_IS6_S8_EENS5_IT4_S8_EES8_T0_NS_15PhiloxCudaStateE.kd
    .uniform_work_group_size: 1
    .uses_dynamic_stack: false
    .vgpr_count:     82
    .vgpr_spill_count: 0
    .wavefront_size: 32
    .workgroup_processor_mode: 1
  - .args:
      - .offset:         0
        .size:           216
        .value_kind:     by_value
      - .offset:         216
        .size:           216
        .value_kind:     by_value
      - .offset:         432
        .size:           216
        .value_kind:     by_value
      - .offset:         648
        .size:           4
        .value_kind:     by_value
      - .offset:         652
        .size:           4
        .value_kind:     by_value
      - .offset:         656
        .size:           32
        .value_kind:     by_value
      - .offset:         688
        .size:           4
        .value_kind:     hidden_block_count_x
      - .offset:         692
        .size:           4
        .value_kind:     hidden_block_count_y
      - .offset:         696
        .size:           4
        .value_kind:     hidden_block_count_z
      - .offset:         700
        .size:           2
        .value_kind:     hidden_group_size_x
      - .offset:         702
        .size:           2
        .value_kind:     hidden_group_size_y
      - .offset:         704
        .size:           2
        .value_kind:     hidden_group_size_z
      - .offset:         706
        .size:           2
        .value_kind:     hidden_remainder_x
      - .offset:         708
        .size:           2
        .value_kind:     hidden_remainder_y
      - .offset:         710
        .size:           2
        .value_kind:     hidden_remainder_z
      - .offset:         728
        .size:           8
        .value_kind:     hidden_global_offset_x
      - .offset:         736
        .size:           8
        .value_kind:     hidden_global_offset_y
      - .offset:         744
        .size:           8
        .value_kind:     hidden_global_offset_z
      - .offset:         752
        .size:           2
        .value_kind:     hidden_grid_dims
    .group_segment_fixed_size: 0
    .kernarg_segment_align: 8
    .kernarg_segment_size: 944
    .language:       OpenCL C
    .language_version:
      - 2
      - 0
    .max_flat_workgroup_size: 256
    .name:           _ZN2at6native12_GLOBAL__N_124fused_dropout_kernel_vecIffjLi1ELi8EhEEvNS_4cuda6detail10TensorInfoIKT_T1_EENS5_IS6_S8_EENS5_IT4_S8_EES8_T0_NS_15PhiloxCudaStateE
    .private_segment_fixed_size: 0
    .sgpr_count:     19
    .sgpr_spill_count: 0
    .symbol:         _ZN2at6native12_GLOBAL__N_124fused_dropout_kernel_vecIffjLi1ELi8EhEEvNS_4cuda6detail10TensorInfoIKT_T1_EENS5_IS6_S8_EENS5_IT4_S8_EES8_T0_NS_15PhiloxCudaStateE.kd
    .uniform_work_group_size: 1
    .uses_dynamic_stack: false
    .vgpr_count:     58
    .vgpr_spill_count: 0
    .wavefront_size: 32
    .workgroup_processor_mode: 1
  - .args:
      - .offset:         0
        .size:           216
        .value_kind:     by_value
      - .offset:         216
        .size:           216
        .value_kind:     by_value
      - .offset:         432
        .size:           216
        .value_kind:     by_value
      - .offset:         648
        .size:           4
        .value_kind:     by_value
      - .offset:         652
        .size:           4
        .value_kind:     by_value
      - .offset:         656
        .size:           32
        .value_kind:     by_value
      - .offset:         688
        .size:           4
        .value_kind:     hidden_block_count_x
      - .offset:         692
        .size:           4
        .value_kind:     hidden_block_count_y
      - .offset:         696
        .size:           4
        .value_kind:     hidden_block_count_z
      - .offset:         700
        .size:           2
        .value_kind:     hidden_group_size_x
      - .offset:         702
        .size:           2
        .value_kind:     hidden_group_size_y
      - .offset:         704
        .size:           2
        .value_kind:     hidden_group_size_z
      - .offset:         706
        .size:           2
        .value_kind:     hidden_remainder_x
      - .offset:         708
        .size:           2
        .value_kind:     hidden_remainder_y
      - .offset:         710
        .size:           2
        .value_kind:     hidden_remainder_z
      - .offset:         728
        .size:           8
        .value_kind:     hidden_global_offset_x
      - .offset:         736
        .size:           8
        .value_kind:     hidden_global_offset_y
      - .offset:         744
        .size:           8
        .value_kind:     hidden_global_offset_z
      - .offset:         752
        .size:           2
        .value_kind:     hidden_grid_dims
    .group_segment_fixed_size: 0
    .kernarg_segment_align: 8
    .kernarg_segment_size: 944
    .language:       OpenCL C
    .language_version:
      - 2
      - 0
    .max_flat_workgroup_size: 256
    .name:           _ZN2at6native12_GLOBAL__N_124fused_dropout_kernel_vecIffjLi1ELi4EhEEvNS_4cuda6detail10TensorInfoIKT_T1_EENS5_IS6_S8_EENS5_IT4_S8_EES8_T0_NS_15PhiloxCudaStateE
    .private_segment_fixed_size: 0
    .sgpr_count:     18
    .sgpr_spill_count: 0
    .symbol:         _ZN2at6native12_GLOBAL__N_124fused_dropout_kernel_vecIffjLi1ELi4EhEEvNS_4cuda6detail10TensorInfoIKT_T1_EENS5_IS6_S8_EENS5_IT4_S8_EES8_T0_NS_15PhiloxCudaStateE.kd
    .uniform_work_group_size: 1
    .uses_dynamic_stack: false
    .vgpr_count:     46
    .vgpr_spill_count: 0
    .wavefront_size: 32
    .workgroup_processor_mode: 1
  - .args:
      - .offset:         0
        .size:           216
        .value_kind:     by_value
      - .offset:         216
        .size:           216
        .value_kind:     by_value
      - .offset:         432
        .size:           216
        .value_kind:     by_value
      - .offset:         648
        .size:           4
        .value_kind:     by_value
      - .offset:         652
        .size:           4
        .value_kind:     by_value
      - .offset:         656
        .size:           32
        .value_kind:     by_value
      - .offset:         688
        .size:           4
        .value_kind:     hidden_block_count_x
      - .offset:         692
        .size:           4
        .value_kind:     hidden_block_count_y
      - .offset:         696
        .size:           4
        .value_kind:     hidden_block_count_z
      - .offset:         700
        .size:           2
        .value_kind:     hidden_group_size_x
      - .offset:         702
        .size:           2
        .value_kind:     hidden_group_size_y
      - .offset:         704
        .size:           2
        .value_kind:     hidden_group_size_z
      - .offset:         706
        .size:           2
        .value_kind:     hidden_remainder_x
      - .offset:         708
        .size:           2
        .value_kind:     hidden_remainder_y
      - .offset:         710
        .size:           2
        .value_kind:     hidden_remainder_z
      - .offset:         728
        .size:           8
        .value_kind:     hidden_global_offset_x
      - .offset:         736
        .size:           8
        .value_kind:     hidden_global_offset_y
      - .offset:         744
        .size:           8
        .value_kind:     hidden_global_offset_z
      - .offset:         752
        .size:           2
        .value_kind:     hidden_grid_dims
    .group_segment_fixed_size: 0
    .kernarg_segment_align: 8
    .kernarg_segment_size: 944
    .language:       OpenCL C
    .language_version:
      - 2
      - 0
    .max_flat_workgroup_size: 256
    .name:           _ZN2at6native12_GLOBAL__N_124fused_dropout_kernel_vecIffjLi1ELi2EhEEvNS_4cuda6detail10TensorInfoIKT_T1_EENS5_IS6_S8_EENS5_IT4_S8_EES8_T0_NS_15PhiloxCudaStateE
    .private_segment_fixed_size: 0
    .sgpr_count:     18
    .sgpr_spill_count: 0
    .symbol:         _ZN2at6native12_GLOBAL__N_124fused_dropout_kernel_vecIffjLi1ELi2EhEEvNS_4cuda6detail10TensorInfoIKT_T1_EENS5_IS6_S8_EENS5_IT4_S8_EES8_T0_NS_15PhiloxCudaStateE.kd
    .uniform_work_group_size: 1
    .uses_dynamic_stack: false
    .vgpr_count:     41
    .vgpr_spill_count: 0
    .wavefront_size: 32
    .workgroup_processor_mode: 1
  - .args:
      - .offset:         0
        .size:           216
        .value_kind:     by_value
      - .offset:         216
        .size:           216
        .value_kind:     by_value
      - .offset:         432
        .size:           216
        .value_kind:     by_value
      - .offset:         648
        .size:           4
        .value_kind:     by_value
      - .offset:         652
        .size:           4
        .value_kind:     by_value
      - .offset:         656
        .size:           32
        .value_kind:     by_value
      - .offset:         688
        .size:           4
        .value_kind:     hidden_block_count_x
      - .offset:         692
        .size:           4
        .value_kind:     hidden_block_count_y
      - .offset:         696
        .size:           4
        .value_kind:     hidden_block_count_z
      - .offset:         700
        .size:           2
        .value_kind:     hidden_group_size_x
      - .offset:         702
        .size:           2
        .value_kind:     hidden_group_size_y
      - .offset:         704
        .size:           2
        .value_kind:     hidden_group_size_z
      - .offset:         706
        .size:           2
        .value_kind:     hidden_remainder_x
      - .offset:         708
        .size:           2
        .value_kind:     hidden_remainder_y
      - .offset:         710
        .size:           2
        .value_kind:     hidden_remainder_z
      - .offset:         728
        .size:           8
        .value_kind:     hidden_global_offset_x
      - .offset:         736
        .size:           8
        .value_kind:     hidden_global_offset_y
      - .offset:         744
        .size:           8
        .value_kind:     hidden_global_offset_z
      - .offset:         752
        .size:           2
        .value_kind:     hidden_grid_dims
    .group_segment_fixed_size: 0
    .kernarg_segment_align: 8
    .kernarg_segment_size: 944
    .language:       OpenCL C
    .language_version:
      - 2
      - 0
    .max_flat_workgroup_size: 256
    .name:           _ZN2at6native12_GLOBAL__N_120fused_dropout_kernelIffjLi1ELi1EhEEvNS_4cuda6detail10TensorInfoIKT_T1_EENS5_IS6_S8_EENS5_IT4_S8_EES8_T0_NS_15PhiloxCudaStateE
    .private_segment_fixed_size: 0
    .sgpr_count:     26
    .sgpr_spill_count: 0
    .symbol:         _ZN2at6native12_GLOBAL__N_120fused_dropout_kernelIffjLi1ELi1EhEEvNS_4cuda6detail10TensorInfoIKT_T1_EENS5_IS6_S8_EENS5_IT4_S8_EES8_T0_NS_15PhiloxCudaStateE.kd
    .uniform_work_group_size: 1
    .uses_dynamic_stack: false
    .vgpr_count:     54
    .vgpr_spill_count: 0
    .wavefront_size: 32
    .workgroup_processor_mode: 1
  - .args:
      - .offset:         0
        .size:           216
        .value_kind:     by_value
      - .offset:         216
        .size:           216
        .value_kind:     by_value
      - .offset:         432
        .size:           216
        .value_kind:     by_value
      - .offset:         648
        .size:           4
        .value_kind:     by_value
      - .offset:         652
        .size:           4
        .value_kind:     by_value
      - .offset:         656
        .size:           32
        .value_kind:     by_value
      - .offset:         688
        .size:           4
        .value_kind:     hidden_block_count_x
      - .offset:         692
        .size:           4
        .value_kind:     hidden_block_count_y
      - .offset:         696
        .size:           4
        .value_kind:     hidden_block_count_z
      - .offset:         700
        .size:           2
        .value_kind:     hidden_group_size_x
      - .offset:         702
        .size:           2
        .value_kind:     hidden_group_size_y
      - .offset:         704
        .size:           2
        .value_kind:     hidden_group_size_z
      - .offset:         706
        .size:           2
        .value_kind:     hidden_remainder_x
      - .offset:         708
        .size:           2
        .value_kind:     hidden_remainder_y
      - .offset:         710
        .size:           2
        .value_kind:     hidden_remainder_z
      - .offset:         728
        .size:           8
        .value_kind:     hidden_global_offset_x
      - .offset:         736
        .size:           8
        .value_kind:     hidden_global_offset_y
      - .offset:         744
        .size:           8
        .value_kind:     hidden_global_offset_z
      - .offset:         752
        .size:           2
        .value_kind:     hidden_grid_dims
    .group_segment_fixed_size: 0
    .kernarg_segment_align: 8
    .kernarg_segment_size: 944
    .language:       OpenCL C
    .language_version:
      - 2
      - 0
    .max_flat_workgroup_size: 256
    .name:           _ZN2at6native12_GLOBAL__N_120fused_dropout_kernelIffjLin1ELi1EhEEvNS_4cuda6detail10TensorInfoIKT_T1_EENS5_IS6_S8_EENS5_IT4_S8_EES8_T0_NS_15PhiloxCudaStateE
    .private_segment_fixed_size: 0
    .sgpr_count:     30
    .sgpr_spill_count: 0
    .symbol:         _ZN2at6native12_GLOBAL__N_120fused_dropout_kernelIffjLin1ELi1EhEEvNS_4cuda6detail10TensorInfoIKT_T1_EENS5_IS6_S8_EENS5_IT4_S8_EES8_T0_NS_15PhiloxCudaStateE.kd
    .uniform_work_group_size: 1
    .uses_dynamic_stack: false
    .vgpr_count:     48
    .vgpr_spill_count: 0
    .wavefront_size: 32
    .workgroup_processor_mode: 1
  - .args:
      - .offset:         0
        .size:           216
        .value_kind:     by_value
      - .offset:         216
        .size:           216
        .value_kind:     by_value
      - .offset:         432
        .size:           216
        .value_kind:     by_value
      - .offset:         648
        .size:           4
        .value_kind:     by_value
      - .offset:         652
        .size:           4
        .value_kind:     by_value
      - .offset:         656
        .size:           32
        .value_kind:     by_value
      - .offset:         688
        .size:           4
        .value_kind:     hidden_block_count_x
      - .offset:         692
        .size:           4
        .value_kind:     hidden_block_count_y
      - .offset:         696
        .size:           4
        .value_kind:     hidden_block_count_z
      - .offset:         700
        .size:           2
        .value_kind:     hidden_group_size_x
      - .offset:         702
        .size:           2
        .value_kind:     hidden_group_size_y
      - .offset:         704
        .size:           2
        .value_kind:     hidden_group_size_z
      - .offset:         706
        .size:           2
        .value_kind:     hidden_remainder_x
      - .offset:         708
        .size:           2
        .value_kind:     hidden_remainder_y
      - .offset:         710
        .size:           2
        .value_kind:     hidden_remainder_z
      - .offset:         728
        .size:           8
        .value_kind:     hidden_global_offset_x
      - .offset:         736
        .size:           8
        .value_kind:     hidden_global_offset_y
      - .offset:         744
        .size:           8
        .value_kind:     hidden_global_offset_z
      - .offset:         752
        .size:           2
        .value_kind:     hidden_grid_dims
    .group_segment_fixed_size: 0
    .kernarg_segment_align: 8
    .kernarg_segment_size: 944
    .language:       OpenCL C
    .language_version:
      - 2
      - 0
    .max_flat_workgroup_size: 256
    .name:           _ZN2at6native12_GLOBAL__N_120fused_dropout_kernelIffjLin1ELin1EhEEvNS_4cuda6detail10TensorInfoIKT_T1_EENS5_IS6_S8_EENS5_IT4_S8_EES8_T0_NS_15PhiloxCudaStateE
    .private_segment_fixed_size: 0
    .sgpr_count:     36
    .sgpr_spill_count: 0
    .symbol:         _ZN2at6native12_GLOBAL__N_120fused_dropout_kernelIffjLin1ELin1EhEEvNS_4cuda6detail10TensorInfoIKT_T1_EENS5_IS6_S8_EENS5_IT4_S8_EES8_T0_NS_15PhiloxCudaStateE.kd
    .uniform_work_group_size: 1
    .uses_dynamic_stack: false
    .vgpr_count:     49
    .vgpr_spill_count: 0
    .wavefront_size: 32
    .workgroup_processor_mode: 1
  - .args:
      - .offset:         0
        .size:           216
        .value_kind:     by_value
      - .offset:         216
        .size:           216
        .value_kind:     by_value
      - .offset:         432
        .size:           216
        .value_kind:     by_value
      - .offset:         648
        .size:           4
        .value_kind:     by_value
      - .offset:         652
        .size:           4
        .value_kind:     by_value
      - .offset:         656
        .size:           32
        .value_kind:     by_value
      - .offset:         688
        .size:           4
        .value_kind:     hidden_block_count_x
      - .offset:         692
        .size:           4
        .value_kind:     hidden_block_count_y
      - .offset:         696
        .size:           4
        .value_kind:     hidden_block_count_z
      - .offset:         700
        .size:           2
        .value_kind:     hidden_group_size_x
      - .offset:         702
        .size:           2
        .value_kind:     hidden_group_size_y
      - .offset:         704
        .size:           2
        .value_kind:     hidden_group_size_z
      - .offset:         706
        .size:           2
        .value_kind:     hidden_remainder_x
      - .offset:         708
        .size:           2
        .value_kind:     hidden_remainder_y
      - .offset:         710
        .size:           2
        .value_kind:     hidden_remainder_z
      - .offset:         728
        .size:           8
        .value_kind:     hidden_global_offset_x
      - .offset:         736
        .size:           8
        .value_kind:     hidden_global_offset_y
      - .offset:         744
        .size:           8
        .value_kind:     hidden_global_offset_z
      - .offset:         752
        .size:           2
        .value_kind:     hidden_grid_dims
    .group_segment_fixed_size: 0
    .kernarg_segment_align: 8
    .kernarg_segment_size: 944
    .language:       OpenCL C
    .language_version:
      - 2
      - 0
    .max_flat_workgroup_size: 256
    .name:           _ZN2at6native12_GLOBAL__N_124fused_dropout_kernel_vecIN3c104HalfEfjLi1ELi16EhEEvNS_4cuda6detail10TensorInfoIKT_T1_EENS7_IS8_SA_EENS7_IT4_SA_EESA_T0_NS_15PhiloxCudaStateE
    .private_segment_fixed_size: 0
    .sgpr_count:     27
    .sgpr_spill_count: 0
    .symbol:         _ZN2at6native12_GLOBAL__N_124fused_dropout_kernel_vecIN3c104HalfEfjLi1ELi16EhEEvNS_4cuda6detail10TensorInfoIKT_T1_EENS7_IS8_SA_EENS7_IT4_SA_EESA_T0_NS_15PhiloxCudaStateE.kd
    .uniform_work_group_size: 1
    .uses_dynamic_stack: false
    .vgpr_count:     74
    .vgpr_spill_count: 0
    .wavefront_size: 32
    .workgroup_processor_mode: 1
  - .args:
      - .offset:         0
        .size:           216
        .value_kind:     by_value
      - .offset:         216
        .size:           216
        .value_kind:     by_value
      - .offset:         432
        .size:           216
        .value_kind:     by_value
      - .offset:         648
        .size:           4
        .value_kind:     by_value
      - .offset:         652
        .size:           4
        .value_kind:     by_value
      - .offset:         656
        .size:           32
        .value_kind:     by_value
      - .offset:         688
        .size:           4
        .value_kind:     hidden_block_count_x
      - .offset:         692
        .size:           4
        .value_kind:     hidden_block_count_y
      - .offset:         696
        .size:           4
        .value_kind:     hidden_block_count_z
      - .offset:         700
        .size:           2
        .value_kind:     hidden_group_size_x
      - .offset:         702
        .size:           2
        .value_kind:     hidden_group_size_y
      - .offset:         704
        .size:           2
        .value_kind:     hidden_group_size_z
      - .offset:         706
        .size:           2
        .value_kind:     hidden_remainder_x
      - .offset:         708
        .size:           2
        .value_kind:     hidden_remainder_y
      - .offset:         710
        .size:           2
        .value_kind:     hidden_remainder_z
      - .offset:         728
        .size:           8
        .value_kind:     hidden_global_offset_x
      - .offset:         736
        .size:           8
        .value_kind:     hidden_global_offset_y
      - .offset:         744
        .size:           8
        .value_kind:     hidden_global_offset_z
      - .offset:         752
        .size:           2
        .value_kind:     hidden_grid_dims
    .group_segment_fixed_size: 0
    .kernarg_segment_align: 8
    .kernarg_segment_size: 944
    .language:       OpenCL C
    .language_version:
      - 2
      - 0
    .max_flat_workgroup_size: 256
    .name:           _ZN2at6native12_GLOBAL__N_124fused_dropout_kernel_vecIN3c104HalfEfjLi1ELi8EhEEvNS_4cuda6detail10TensorInfoIKT_T1_EENS7_IS8_SA_EENS7_IT4_SA_EESA_T0_NS_15PhiloxCudaStateE
    .private_segment_fixed_size: 0
    .sgpr_count:     19
    .sgpr_spill_count: 0
    .symbol:         _ZN2at6native12_GLOBAL__N_124fused_dropout_kernel_vecIN3c104HalfEfjLi1ELi8EhEEvNS_4cuda6detail10TensorInfoIKT_T1_EENS7_IS8_SA_EENS7_IT4_SA_EESA_T0_NS_15PhiloxCudaStateE.kd
    .uniform_work_group_size: 1
    .uses_dynamic_stack: false
    .vgpr_count:     54
    .vgpr_spill_count: 0
    .wavefront_size: 32
    .workgroup_processor_mode: 1
  - .args:
      - .offset:         0
        .size:           216
        .value_kind:     by_value
      - .offset:         216
        .size:           216
        .value_kind:     by_value
      - .offset:         432
        .size:           216
        .value_kind:     by_value
      - .offset:         648
        .size:           4
        .value_kind:     by_value
      - .offset:         652
        .size:           4
        .value_kind:     by_value
      - .offset:         656
        .size:           32
        .value_kind:     by_value
      - .offset:         688
        .size:           4
        .value_kind:     hidden_block_count_x
      - .offset:         692
        .size:           4
        .value_kind:     hidden_block_count_y
      - .offset:         696
        .size:           4
        .value_kind:     hidden_block_count_z
      - .offset:         700
        .size:           2
        .value_kind:     hidden_group_size_x
      - .offset:         702
        .size:           2
        .value_kind:     hidden_group_size_y
      - .offset:         704
        .size:           2
        .value_kind:     hidden_group_size_z
      - .offset:         706
        .size:           2
        .value_kind:     hidden_remainder_x
      - .offset:         708
        .size:           2
        .value_kind:     hidden_remainder_y
      - .offset:         710
        .size:           2
        .value_kind:     hidden_remainder_z
      - .offset:         728
        .size:           8
        .value_kind:     hidden_global_offset_x
      - .offset:         736
        .size:           8
        .value_kind:     hidden_global_offset_y
      - .offset:         744
        .size:           8
        .value_kind:     hidden_global_offset_z
      - .offset:         752
        .size:           2
        .value_kind:     hidden_grid_dims
    .group_segment_fixed_size: 0
    .kernarg_segment_align: 8
    .kernarg_segment_size: 944
    .language:       OpenCL C
    .language_version:
      - 2
      - 0
    .max_flat_workgroup_size: 256
    .name:           _ZN2at6native12_GLOBAL__N_124fused_dropout_kernel_vecIN3c104HalfEfjLi1ELi4EhEEvNS_4cuda6detail10TensorInfoIKT_T1_EENS7_IS8_SA_EENS7_IT4_SA_EESA_T0_NS_15PhiloxCudaStateE
    .private_segment_fixed_size: 0
    .sgpr_count:     18
    .sgpr_spill_count: 0
    .symbol:         _ZN2at6native12_GLOBAL__N_124fused_dropout_kernel_vecIN3c104HalfEfjLi1ELi4EhEEvNS_4cuda6detail10TensorInfoIKT_T1_EENS7_IS8_SA_EENS7_IT4_SA_EESA_T0_NS_15PhiloxCudaStateE.kd
    .uniform_work_group_size: 1
    .uses_dynamic_stack: false
    .vgpr_count:     45
    .vgpr_spill_count: 0
    .wavefront_size: 32
    .workgroup_processor_mode: 1
  - .args:
      - .offset:         0
        .size:           216
        .value_kind:     by_value
      - .offset:         216
        .size:           216
        .value_kind:     by_value
      - .offset:         432
        .size:           216
        .value_kind:     by_value
      - .offset:         648
        .size:           4
        .value_kind:     by_value
      - .offset:         652
        .size:           4
        .value_kind:     by_value
      - .offset:         656
        .size:           32
        .value_kind:     by_value
      - .offset:         688
        .size:           4
        .value_kind:     hidden_block_count_x
      - .offset:         692
        .size:           4
        .value_kind:     hidden_block_count_y
      - .offset:         696
        .size:           4
        .value_kind:     hidden_block_count_z
      - .offset:         700
        .size:           2
        .value_kind:     hidden_group_size_x
      - .offset:         702
        .size:           2
        .value_kind:     hidden_group_size_y
      - .offset:         704
        .size:           2
        .value_kind:     hidden_group_size_z
      - .offset:         706
        .size:           2
        .value_kind:     hidden_remainder_x
      - .offset:         708
        .size:           2
        .value_kind:     hidden_remainder_y
      - .offset:         710
        .size:           2
        .value_kind:     hidden_remainder_z
      - .offset:         728
        .size:           8
        .value_kind:     hidden_global_offset_x
      - .offset:         736
        .size:           8
        .value_kind:     hidden_global_offset_y
      - .offset:         744
        .size:           8
        .value_kind:     hidden_global_offset_z
      - .offset:         752
        .size:           2
        .value_kind:     hidden_grid_dims
    .group_segment_fixed_size: 0
    .kernarg_segment_align: 8
    .kernarg_segment_size: 944
    .language:       OpenCL C
    .language_version:
      - 2
      - 0
    .max_flat_workgroup_size: 256
    .name:           _ZN2at6native12_GLOBAL__N_124fused_dropout_kernel_vecIN3c104HalfEfjLi1ELi2EhEEvNS_4cuda6detail10TensorInfoIKT_T1_EENS7_IS8_SA_EENS7_IT4_SA_EESA_T0_NS_15PhiloxCudaStateE
    .private_segment_fixed_size: 0
    .sgpr_count:     18
    .sgpr_spill_count: 0
    .symbol:         _ZN2at6native12_GLOBAL__N_124fused_dropout_kernel_vecIN3c104HalfEfjLi1ELi2EhEEvNS_4cuda6detail10TensorInfoIKT_T1_EENS7_IS8_SA_EENS7_IT4_SA_EESA_T0_NS_15PhiloxCudaStateE.kd
    .uniform_work_group_size: 1
    .uses_dynamic_stack: false
    .vgpr_count:     41
    .vgpr_spill_count: 0
    .wavefront_size: 32
    .workgroup_processor_mode: 1
  - .args:
      - .offset:         0
        .size:           216
        .value_kind:     by_value
      - .offset:         216
        .size:           216
        .value_kind:     by_value
      - .offset:         432
        .size:           216
        .value_kind:     by_value
      - .offset:         648
        .size:           4
        .value_kind:     by_value
      - .offset:         652
        .size:           4
        .value_kind:     by_value
      - .offset:         656
        .size:           32
        .value_kind:     by_value
      - .offset:         688
        .size:           4
        .value_kind:     hidden_block_count_x
      - .offset:         692
        .size:           4
        .value_kind:     hidden_block_count_y
      - .offset:         696
        .size:           4
        .value_kind:     hidden_block_count_z
      - .offset:         700
        .size:           2
        .value_kind:     hidden_group_size_x
      - .offset:         702
        .size:           2
        .value_kind:     hidden_group_size_y
      - .offset:         704
        .size:           2
        .value_kind:     hidden_group_size_z
      - .offset:         706
        .size:           2
        .value_kind:     hidden_remainder_x
      - .offset:         708
        .size:           2
        .value_kind:     hidden_remainder_y
      - .offset:         710
        .size:           2
        .value_kind:     hidden_remainder_z
      - .offset:         728
        .size:           8
        .value_kind:     hidden_global_offset_x
      - .offset:         736
        .size:           8
        .value_kind:     hidden_global_offset_y
      - .offset:         744
        .size:           8
        .value_kind:     hidden_global_offset_z
      - .offset:         752
        .size:           2
        .value_kind:     hidden_grid_dims
    .group_segment_fixed_size: 0
    .kernarg_segment_align: 8
    .kernarg_segment_size: 944
    .language:       OpenCL C
    .language_version:
      - 2
      - 0
    .max_flat_workgroup_size: 256
    .name:           _ZN2at6native12_GLOBAL__N_120fused_dropout_kernelIN3c104HalfEfjLi1ELi1EhEEvNS_4cuda6detail10TensorInfoIKT_T1_EENS7_IS8_SA_EENS7_IT4_SA_EESA_T0_NS_15PhiloxCudaStateE
    .private_segment_fixed_size: 0
    .sgpr_count:     26
    .sgpr_spill_count: 0
    .symbol:         _ZN2at6native12_GLOBAL__N_120fused_dropout_kernelIN3c104HalfEfjLi1ELi1EhEEvNS_4cuda6detail10TensorInfoIKT_T1_EENS7_IS8_SA_EENS7_IT4_SA_EESA_T0_NS_15PhiloxCudaStateE.kd
    .uniform_work_group_size: 1
    .uses_dynamic_stack: false
    .vgpr_count:     54
    .vgpr_spill_count: 0
    .wavefront_size: 32
    .workgroup_processor_mode: 1
  - .args:
      - .offset:         0
        .size:           216
        .value_kind:     by_value
      - .offset:         216
        .size:           216
        .value_kind:     by_value
      - .offset:         432
        .size:           216
        .value_kind:     by_value
      - .offset:         648
        .size:           4
        .value_kind:     by_value
      - .offset:         652
        .size:           4
        .value_kind:     by_value
      - .offset:         656
        .size:           32
        .value_kind:     by_value
      - .offset:         688
        .size:           4
        .value_kind:     hidden_block_count_x
      - .offset:         692
        .size:           4
        .value_kind:     hidden_block_count_y
      - .offset:         696
        .size:           4
        .value_kind:     hidden_block_count_z
      - .offset:         700
        .size:           2
        .value_kind:     hidden_group_size_x
      - .offset:         702
        .size:           2
        .value_kind:     hidden_group_size_y
      - .offset:         704
        .size:           2
        .value_kind:     hidden_group_size_z
      - .offset:         706
        .size:           2
        .value_kind:     hidden_remainder_x
      - .offset:         708
        .size:           2
        .value_kind:     hidden_remainder_y
      - .offset:         710
        .size:           2
        .value_kind:     hidden_remainder_z
      - .offset:         728
        .size:           8
        .value_kind:     hidden_global_offset_x
      - .offset:         736
        .size:           8
        .value_kind:     hidden_global_offset_y
      - .offset:         744
        .size:           8
        .value_kind:     hidden_global_offset_z
      - .offset:         752
        .size:           2
        .value_kind:     hidden_grid_dims
    .group_segment_fixed_size: 0
    .kernarg_segment_align: 8
    .kernarg_segment_size: 944
    .language:       OpenCL C
    .language_version:
      - 2
      - 0
    .max_flat_workgroup_size: 256
    .name:           _ZN2at6native12_GLOBAL__N_120fused_dropout_kernelIN3c104HalfEfjLin1ELi1EhEEvNS_4cuda6detail10TensorInfoIKT_T1_EENS7_IS8_SA_EENS7_IT4_SA_EESA_T0_NS_15PhiloxCudaStateE
    .private_segment_fixed_size: 0
    .sgpr_count:     30
    .sgpr_spill_count: 0
    .symbol:         _ZN2at6native12_GLOBAL__N_120fused_dropout_kernelIN3c104HalfEfjLin1ELi1EhEEvNS_4cuda6detail10TensorInfoIKT_T1_EENS7_IS8_SA_EENS7_IT4_SA_EESA_T0_NS_15PhiloxCudaStateE.kd
    .uniform_work_group_size: 1
    .uses_dynamic_stack: false
    .vgpr_count:     48
    .vgpr_spill_count: 0
    .wavefront_size: 32
    .workgroup_processor_mode: 1
  - .args:
      - .offset:         0
        .size:           216
        .value_kind:     by_value
      - .offset:         216
        .size:           216
        .value_kind:     by_value
      - .offset:         432
        .size:           216
        .value_kind:     by_value
      - .offset:         648
        .size:           4
        .value_kind:     by_value
      - .offset:         652
        .size:           4
        .value_kind:     by_value
      - .offset:         656
        .size:           32
        .value_kind:     by_value
      - .offset:         688
        .size:           4
        .value_kind:     hidden_block_count_x
      - .offset:         692
        .size:           4
        .value_kind:     hidden_block_count_y
      - .offset:         696
        .size:           4
        .value_kind:     hidden_block_count_z
      - .offset:         700
        .size:           2
        .value_kind:     hidden_group_size_x
      - .offset:         702
        .size:           2
        .value_kind:     hidden_group_size_y
      - .offset:         704
        .size:           2
        .value_kind:     hidden_group_size_z
      - .offset:         706
        .size:           2
        .value_kind:     hidden_remainder_x
      - .offset:         708
        .size:           2
        .value_kind:     hidden_remainder_y
      - .offset:         710
        .size:           2
        .value_kind:     hidden_remainder_z
      - .offset:         728
        .size:           8
        .value_kind:     hidden_global_offset_x
      - .offset:         736
        .size:           8
        .value_kind:     hidden_global_offset_y
      - .offset:         744
        .size:           8
        .value_kind:     hidden_global_offset_z
      - .offset:         752
        .size:           2
        .value_kind:     hidden_grid_dims
    .group_segment_fixed_size: 0
    .kernarg_segment_align: 8
    .kernarg_segment_size: 944
    .language:       OpenCL C
    .language_version:
      - 2
      - 0
    .max_flat_workgroup_size: 256
    .name:           _ZN2at6native12_GLOBAL__N_120fused_dropout_kernelIN3c104HalfEfjLin1ELin1EhEEvNS_4cuda6detail10TensorInfoIKT_T1_EENS7_IS8_SA_EENS7_IT4_SA_EESA_T0_NS_15PhiloxCudaStateE
    .private_segment_fixed_size: 0
    .sgpr_count:     36
    .sgpr_spill_count: 0
    .symbol:         _ZN2at6native12_GLOBAL__N_120fused_dropout_kernelIN3c104HalfEfjLin1ELin1EhEEvNS_4cuda6detail10TensorInfoIKT_T1_EENS7_IS8_SA_EENS7_IT4_SA_EESA_T0_NS_15PhiloxCudaStateE.kd
    .uniform_work_group_size: 1
    .uses_dynamic_stack: false
    .vgpr_count:     49
    .vgpr_spill_count: 0
    .wavefront_size: 32
    .workgroup_processor_mode: 1
  - .args:
      - .offset:         0
        .size:           216
        .value_kind:     by_value
      - .offset:         216
        .size:           216
        .value_kind:     by_value
      - .offset:         432
        .size:           216
        .value_kind:     by_value
      - .offset:         648
        .size:           4
        .value_kind:     by_value
      - .offset:         652
        .size:           4
        .value_kind:     by_value
      - .offset:         656
        .size:           32
        .value_kind:     by_value
      - .offset:         688
        .size:           4
        .value_kind:     hidden_block_count_x
      - .offset:         692
        .size:           4
        .value_kind:     hidden_block_count_y
      - .offset:         696
        .size:           4
        .value_kind:     hidden_block_count_z
      - .offset:         700
        .size:           2
        .value_kind:     hidden_group_size_x
      - .offset:         702
        .size:           2
        .value_kind:     hidden_group_size_y
      - .offset:         704
        .size:           2
        .value_kind:     hidden_group_size_z
      - .offset:         706
        .size:           2
        .value_kind:     hidden_remainder_x
      - .offset:         708
        .size:           2
        .value_kind:     hidden_remainder_y
      - .offset:         710
        .size:           2
        .value_kind:     hidden_remainder_z
      - .offset:         728
        .size:           8
        .value_kind:     hidden_global_offset_x
      - .offset:         736
        .size:           8
        .value_kind:     hidden_global_offset_y
      - .offset:         744
        .size:           8
        .value_kind:     hidden_global_offset_z
      - .offset:         752
        .size:           2
        .value_kind:     hidden_grid_dims
    .group_segment_fixed_size: 0
    .kernarg_segment_align: 8
    .kernarg_segment_size: 944
    .language:       OpenCL C
    .language_version:
      - 2
      - 0
    .max_flat_workgroup_size: 256
    .name:           _ZN2at6native12_GLOBAL__N_124fused_dropout_kernel_vecIN3c108BFloat16EfjLi1ELi16EhEEvNS_4cuda6detail10TensorInfoIKT_T1_EENS7_IS8_SA_EENS7_IT4_SA_EESA_T0_NS_15PhiloxCudaStateE
    .private_segment_fixed_size: 0
    .sgpr_count:     28
    .sgpr_spill_count: 0
    .symbol:         _ZN2at6native12_GLOBAL__N_124fused_dropout_kernel_vecIN3c108BFloat16EfjLi1ELi16EhEEvNS_4cuda6detail10TensorInfoIKT_T1_EENS7_IS8_SA_EENS7_IT4_SA_EESA_T0_NS_15PhiloxCudaStateE.kd
    .uniform_work_group_size: 1
    .uses_dynamic_stack: false
    .vgpr_count:     74
    .vgpr_spill_count: 0
    .wavefront_size: 32
    .workgroup_processor_mode: 1
  - .args:
      - .offset:         0
        .size:           216
        .value_kind:     by_value
      - .offset:         216
        .size:           216
        .value_kind:     by_value
      - .offset:         432
        .size:           216
        .value_kind:     by_value
      - .offset:         648
        .size:           4
        .value_kind:     by_value
      - .offset:         652
        .size:           4
        .value_kind:     by_value
      - .offset:         656
        .size:           32
        .value_kind:     by_value
      - .offset:         688
        .size:           4
        .value_kind:     hidden_block_count_x
      - .offset:         692
        .size:           4
        .value_kind:     hidden_block_count_y
      - .offset:         696
        .size:           4
        .value_kind:     hidden_block_count_z
      - .offset:         700
        .size:           2
        .value_kind:     hidden_group_size_x
      - .offset:         702
        .size:           2
        .value_kind:     hidden_group_size_y
      - .offset:         704
        .size:           2
        .value_kind:     hidden_group_size_z
      - .offset:         706
        .size:           2
        .value_kind:     hidden_remainder_x
      - .offset:         708
        .size:           2
        .value_kind:     hidden_remainder_y
      - .offset:         710
        .size:           2
        .value_kind:     hidden_remainder_z
      - .offset:         728
        .size:           8
        .value_kind:     hidden_global_offset_x
      - .offset:         736
        .size:           8
        .value_kind:     hidden_global_offset_y
      - .offset:         744
        .size:           8
        .value_kind:     hidden_global_offset_z
      - .offset:         752
        .size:           2
        .value_kind:     hidden_grid_dims
    .group_segment_fixed_size: 0
    .kernarg_segment_align: 8
    .kernarg_segment_size: 944
    .language:       OpenCL C
    .language_version:
      - 2
      - 0
    .max_flat_workgroup_size: 256
    .name:           _ZN2at6native12_GLOBAL__N_124fused_dropout_kernel_vecIN3c108BFloat16EfjLi1ELi8EhEEvNS_4cuda6detail10TensorInfoIKT_T1_EENS7_IS8_SA_EENS7_IT4_SA_EESA_T0_NS_15PhiloxCudaStateE
    .private_segment_fixed_size: 0
    .sgpr_count:     20
    .sgpr_spill_count: 0
    .symbol:         _ZN2at6native12_GLOBAL__N_124fused_dropout_kernel_vecIN3c108BFloat16EfjLi1ELi8EhEEvNS_4cuda6detail10TensorInfoIKT_T1_EENS7_IS8_SA_EENS7_IT4_SA_EESA_T0_NS_15PhiloxCudaStateE.kd
    .uniform_work_group_size: 1
    .uses_dynamic_stack: false
    .vgpr_count:     54
    .vgpr_spill_count: 0
    .wavefront_size: 32
    .workgroup_processor_mode: 1
  - .args:
      - .offset:         0
        .size:           216
        .value_kind:     by_value
      - .offset:         216
        .size:           216
        .value_kind:     by_value
      - .offset:         432
        .size:           216
        .value_kind:     by_value
      - .offset:         648
        .size:           4
        .value_kind:     by_value
      - .offset:         652
        .size:           4
        .value_kind:     by_value
      - .offset:         656
        .size:           32
        .value_kind:     by_value
      - .offset:         688
        .size:           4
        .value_kind:     hidden_block_count_x
      - .offset:         692
        .size:           4
        .value_kind:     hidden_block_count_y
      - .offset:         696
        .size:           4
        .value_kind:     hidden_block_count_z
      - .offset:         700
        .size:           2
        .value_kind:     hidden_group_size_x
      - .offset:         702
        .size:           2
        .value_kind:     hidden_group_size_y
      - .offset:         704
        .size:           2
        .value_kind:     hidden_group_size_z
      - .offset:         706
        .size:           2
        .value_kind:     hidden_remainder_x
      - .offset:         708
        .size:           2
        .value_kind:     hidden_remainder_y
      - .offset:         710
        .size:           2
        .value_kind:     hidden_remainder_z
      - .offset:         728
        .size:           8
        .value_kind:     hidden_global_offset_x
      - .offset:         736
        .size:           8
        .value_kind:     hidden_global_offset_y
      - .offset:         744
        .size:           8
        .value_kind:     hidden_global_offset_z
      - .offset:         752
        .size:           2
        .value_kind:     hidden_grid_dims
    .group_segment_fixed_size: 0
    .kernarg_segment_align: 8
    .kernarg_segment_size: 944
    .language:       OpenCL C
    .language_version:
      - 2
      - 0
    .max_flat_workgroup_size: 256
    .name:           _ZN2at6native12_GLOBAL__N_124fused_dropout_kernel_vecIN3c108BFloat16EfjLi1ELi4EhEEvNS_4cuda6detail10TensorInfoIKT_T1_EENS7_IS8_SA_EENS7_IT4_SA_EESA_T0_NS_15PhiloxCudaStateE
    .private_segment_fixed_size: 0
    .sgpr_count:     18
    .sgpr_spill_count: 0
    .symbol:         _ZN2at6native12_GLOBAL__N_124fused_dropout_kernel_vecIN3c108BFloat16EfjLi1ELi4EhEEvNS_4cuda6detail10TensorInfoIKT_T1_EENS7_IS8_SA_EENS7_IT4_SA_EESA_T0_NS_15PhiloxCudaStateE.kd
    .uniform_work_group_size: 1
    .uses_dynamic_stack: false
    .vgpr_count:     46
    .vgpr_spill_count: 0
    .wavefront_size: 32
    .workgroup_processor_mode: 1
  - .args:
      - .offset:         0
        .size:           216
        .value_kind:     by_value
      - .offset:         216
        .size:           216
        .value_kind:     by_value
      - .offset:         432
        .size:           216
        .value_kind:     by_value
      - .offset:         648
        .size:           4
        .value_kind:     by_value
      - .offset:         652
        .size:           4
        .value_kind:     by_value
      - .offset:         656
        .size:           32
        .value_kind:     by_value
      - .offset:         688
        .size:           4
        .value_kind:     hidden_block_count_x
      - .offset:         692
        .size:           4
        .value_kind:     hidden_block_count_y
      - .offset:         696
        .size:           4
        .value_kind:     hidden_block_count_z
      - .offset:         700
        .size:           2
        .value_kind:     hidden_group_size_x
      - .offset:         702
        .size:           2
        .value_kind:     hidden_group_size_y
      - .offset:         704
        .size:           2
        .value_kind:     hidden_group_size_z
      - .offset:         706
        .size:           2
        .value_kind:     hidden_remainder_x
      - .offset:         708
        .size:           2
        .value_kind:     hidden_remainder_y
      - .offset:         710
        .size:           2
        .value_kind:     hidden_remainder_z
      - .offset:         728
        .size:           8
        .value_kind:     hidden_global_offset_x
      - .offset:         736
        .size:           8
        .value_kind:     hidden_global_offset_y
      - .offset:         744
        .size:           8
        .value_kind:     hidden_global_offset_z
      - .offset:         752
        .size:           2
        .value_kind:     hidden_grid_dims
    .group_segment_fixed_size: 0
    .kernarg_segment_align: 8
    .kernarg_segment_size: 944
    .language:       OpenCL C
    .language_version:
      - 2
      - 0
    .max_flat_workgroup_size: 256
    .name:           _ZN2at6native12_GLOBAL__N_124fused_dropout_kernel_vecIN3c108BFloat16EfjLi1ELi2EhEEvNS_4cuda6detail10TensorInfoIKT_T1_EENS7_IS8_SA_EENS7_IT4_SA_EESA_T0_NS_15PhiloxCudaStateE
    .private_segment_fixed_size: 0
    .sgpr_count:     18
    .sgpr_spill_count: 0
    .symbol:         _ZN2at6native12_GLOBAL__N_124fused_dropout_kernel_vecIN3c108BFloat16EfjLi1ELi2EhEEvNS_4cuda6detail10TensorInfoIKT_T1_EENS7_IS8_SA_EENS7_IT4_SA_EESA_T0_NS_15PhiloxCudaStateE.kd
    .uniform_work_group_size: 1
    .uses_dynamic_stack: false
    .vgpr_count:     41
    .vgpr_spill_count: 0
    .wavefront_size: 32
    .workgroup_processor_mode: 1
  - .args:
      - .offset:         0
        .size:           216
        .value_kind:     by_value
      - .offset:         216
        .size:           216
        .value_kind:     by_value
      - .offset:         432
        .size:           216
        .value_kind:     by_value
      - .offset:         648
        .size:           4
        .value_kind:     by_value
      - .offset:         652
        .size:           4
        .value_kind:     by_value
      - .offset:         656
        .size:           32
        .value_kind:     by_value
      - .offset:         688
        .size:           4
        .value_kind:     hidden_block_count_x
      - .offset:         692
        .size:           4
        .value_kind:     hidden_block_count_y
      - .offset:         696
        .size:           4
        .value_kind:     hidden_block_count_z
      - .offset:         700
        .size:           2
        .value_kind:     hidden_group_size_x
      - .offset:         702
        .size:           2
        .value_kind:     hidden_group_size_y
      - .offset:         704
        .size:           2
        .value_kind:     hidden_group_size_z
      - .offset:         706
        .size:           2
        .value_kind:     hidden_remainder_x
      - .offset:         708
        .size:           2
        .value_kind:     hidden_remainder_y
      - .offset:         710
        .size:           2
        .value_kind:     hidden_remainder_z
      - .offset:         728
        .size:           8
        .value_kind:     hidden_global_offset_x
      - .offset:         736
        .size:           8
        .value_kind:     hidden_global_offset_y
      - .offset:         744
        .size:           8
        .value_kind:     hidden_global_offset_z
      - .offset:         752
        .size:           2
        .value_kind:     hidden_grid_dims
    .group_segment_fixed_size: 0
    .kernarg_segment_align: 8
    .kernarg_segment_size: 944
    .language:       OpenCL C
    .language_version:
      - 2
      - 0
    .max_flat_workgroup_size: 256
    .name:           _ZN2at6native12_GLOBAL__N_120fused_dropout_kernelIN3c108BFloat16EfjLi1ELi1EhEEvNS_4cuda6detail10TensorInfoIKT_T1_EENS7_IS8_SA_EENS7_IT4_SA_EESA_T0_NS_15PhiloxCudaStateE
    .private_segment_fixed_size: 0
    .sgpr_count:     26
    .sgpr_spill_count: 0
    .symbol:         _ZN2at6native12_GLOBAL__N_120fused_dropout_kernelIN3c108BFloat16EfjLi1ELi1EhEEvNS_4cuda6detail10TensorInfoIKT_T1_EENS7_IS8_SA_EENS7_IT4_SA_EESA_T0_NS_15PhiloxCudaStateE.kd
    .uniform_work_group_size: 1
    .uses_dynamic_stack: false
    .vgpr_count:     54
    .vgpr_spill_count: 0
    .wavefront_size: 32
    .workgroup_processor_mode: 1
  - .args:
      - .offset:         0
        .size:           216
        .value_kind:     by_value
      - .offset:         216
        .size:           216
        .value_kind:     by_value
      - .offset:         432
        .size:           216
        .value_kind:     by_value
      - .offset:         648
        .size:           4
        .value_kind:     by_value
      - .offset:         652
        .size:           4
        .value_kind:     by_value
      - .offset:         656
        .size:           32
        .value_kind:     by_value
      - .offset:         688
        .size:           4
        .value_kind:     hidden_block_count_x
      - .offset:         692
        .size:           4
        .value_kind:     hidden_block_count_y
      - .offset:         696
        .size:           4
        .value_kind:     hidden_block_count_z
      - .offset:         700
        .size:           2
        .value_kind:     hidden_group_size_x
      - .offset:         702
        .size:           2
        .value_kind:     hidden_group_size_y
      - .offset:         704
        .size:           2
        .value_kind:     hidden_group_size_z
      - .offset:         706
        .size:           2
        .value_kind:     hidden_remainder_x
      - .offset:         708
        .size:           2
        .value_kind:     hidden_remainder_y
      - .offset:         710
        .size:           2
        .value_kind:     hidden_remainder_z
      - .offset:         728
        .size:           8
        .value_kind:     hidden_global_offset_x
      - .offset:         736
        .size:           8
        .value_kind:     hidden_global_offset_y
      - .offset:         744
        .size:           8
        .value_kind:     hidden_global_offset_z
      - .offset:         752
        .size:           2
        .value_kind:     hidden_grid_dims
    .group_segment_fixed_size: 0
    .kernarg_segment_align: 8
    .kernarg_segment_size: 944
    .language:       OpenCL C
    .language_version:
      - 2
      - 0
    .max_flat_workgroup_size: 256
    .name:           _ZN2at6native12_GLOBAL__N_120fused_dropout_kernelIN3c108BFloat16EfjLin1ELi1EhEEvNS_4cuda6detail10TensorInfoIKT_T1_EENS7_IS8_SA_EENS7_IT4_SA_EESA_T0_NS_15PhiloxCudaStateE
    .private_segment_fixed_size: 0
    .sgpr_count:     31
    .sgpr_spill_count: 0
    .symbol:         _ZN2at6native12_GLOBAL__N_120fused_dropout_kernelIN3c108BFloat16EfjLin1ELi1EhEEvNS_4cuda6detail10TensorInfoIKT_T1_EENS7_IS8_SA_EENS7_IT4_SA_EESA_T0_NS_15PhiloxCudaStateE.kd
    .uniform_work_group_size: 1
    .uses_dynamic_stack: false
    .vgpr_count:     48
    .vgpr_spill_count: 0
    .wavefront_size: 32
    .workgroup_processor_mode: 1
  - .args:
      - .offset:         0
        .size:           216
        .value_kind:     by_value
      - .offset:         216
        .size:           216
        .value_kind:     by_value
      - .offset:         432
        .size:           216
        .value_kind:     by_value
      - .offset:         648
        .size:           4
        .value_kind:     by_value
      - .offset:         652
        .size:           4
        .value_kind:     by_value
      - .offset:         656
        .size:           32
        .value_kind:     by_value
      - .offset:         688
        .size:           4
        .value_kind:     hidden_block_count_x
      - .offset:         692
        .size:           4
        .value_kind:     hidden_block_count_y
      - .offset:         696
        .size:           4
        .value_kind:     hidden_block_count_z
      - .offset:         700
        .size:           2
        .value_kind:     hidden_group_size_x
      - .offset:         702
        .size:           2
        .value_kind:     hidden_group_size_y
      - .offset:         704
        .size:           2
        .value_kind:     hidden_group_size_z
      - .offset:         706
        .size:           2
        .value_kind:     hidden_remainder_x
      - .offset:         708
        .size:           2
        .value_kind:     hidden_remainder_y
      - .offset:         710
        .size:           2
        .value_kind:     hidden_remainder_z
      - .offset:         728
        .size:           8
        .value_kind:     hidden_global_offset_x
      - .offset:         736
        .size:           8
        .value_kind:     hidden_global_offset_y
      - .offset:         744
        .size:           8
        .value_kind:     hidden_global_offset_z
      - .offset:         752
        .size:           2
        .value_kind:     hidden_grid_dims
    .group_segment_fixed_size: 0
    .kernarg_segment_align: 8
    .kernarg_segment_size: 944
    .language:       OpenCL C
    .language_version:
      - 2
      - 0
    .max_flat_workgroup_size: 256
    .name:           _ZN2at6native12_GLOBAL__N_120fused_dropout_kernelIN3c108BFloat16EfjLin1ELin1EhEEvNS_4cuda6detail10TensorInfoIKT_T1_EENS7_IS8_SA_EENS7_IT4_SA_EESA_T0_NS_15PhiloxCudaStateE
    .private_segment_fixed_size: 0
    .sgpr_count:     36
    .sgpr_spill_count: 0
    .symbol:         _ZN2at6native12_GLOBAL__N_120fused_dropout_kernelIN3c108BFloat16EfjLin1ELin1EhEEvNS_4cuda6detail10TensorInfoIKT_T1_EENS7_IS8_SA_EENS7_IT4_SA_EESA_T0_NS_15PhiloxCudaStateE.kd
    .uniform_work_group_size: 1
    .uses_dynamic_stack: false
    .vgpr_count:     49
    .vgpr_spill_count: 0
    .wavefront_size: 32
    .workgroup_processor_mode: 1
  - .args:
      - .offset:         0
        .size:           416
        .value_kind:     by_value
      - .offset:         416
        .size:           416
        .value_kind:     by_value
      - .offset:         832
        .size:           416
        .value_kind:     by_value
      - .offset:         1248
        .size:           8
        .value_kind:     by_value
      - .offset:         1256
        .size:           8
        .value_kind:     by_value
      - .offset:         1264
        .size:           32
        .value_kind:     by_value
      - .offset:         1296
        .size:           4
        .value_kind:     hidden_block_count_x
      - .offset:         1300
        .size:           4
        .value_kind:     hidden_block_count_y
      - .offset:         1304
        .size:           4
        .value_kind:     hidden_block_count_z
      - .offset:         1308
        .size:           2
        .value_kind:     hidden_group_size_x
      - .offset:         1310
        .size:           2
        .value_kind:     hidden_group_size_y
      - .offset:         1312
        .size:           2
        .value_kind:     hidden_group_size_z
      - .offset:         1314
        .size:           2
        .value_kind:     hidden_remainder_x
      - .offset:         1316
        .size:           2
        .value_kind:     hidden_remainder_y
      - .offset:         1318
        .size:           2
        .value_kind:     hidden_remainder_z
      - .offset:         1336
        .size:           8
        .value_kind:     hidden_global_offset_x
      - .offset:         1344
        .size:           8
        .value_kind:     hidden_global_offset_y
      - .offset:         1352
        .size:           8
        .value_kind:     hidden_global_offset_z
      - .offset:         1360
        .size:           2
        .value_kind:     hidden_grid_dims
    .group_segment_fixed_size: 0
    .kernarg_segment_align: 8
    .kernarg_segment_size: 1552
    .language:       OpenCL C
    .language_version:
      - 2
      - 0
    .max_flat_workgroup_size: 256
    .name:           _ZN2at6native12_GLOBAL__N_124fused_dropout_kernel_vecIddmLi1ELi16EhEEvNS_4cuda6detail10TensorInfoIKT_T1_EENS5_IS6_S8_EENS5_IT4_S8_EES8_T0_NS_15PhiloxCudaStateE
    .private_segment_fixed_size: 0
    .sgpr_count:     32
    .sgpr_spill_count: 0
    .symbol:         _ZN2at6native12_GLOBAL__N_124fused_dropout_kernel_vecIddmLi1ELi16EhEEvNS_4cuda6detail10TensorInfoIKT_T1_EENS5_IS6_S8_EENS5_IT4_S8_EES8_T0_NS_15PhiloxCudaStateE.kd
    .uniform_work_group_size: 1
    .uses_dynamic_stack: false
    .vgpr_count:     93
    .vgpr_spill_count: 0
    .wavefront_size: 32
    .workgroup_processor_mode: 1
  - .args:
      - .offset:         0
        .size:           416
        .value_kind:     by_value
      - .offset:         416
        .size:           416
        .value_kind:     by_value
      - .offset:         832
        .size:           416
        .value_kind:     by_value
      - .offset:         1248
        .size:           8
        .value_kind:     by_value
      - .offset:         1256
        .size:           8
        .value_kind:     by_value
      - .offset:         1264
        .size:           32
        .value_kind:     by_value
      - .offset:         1296
        .size:           4
        .value_kind:     hidden_block_count_x
      - .offset:         1300
        .size:           4
        .value_kind:     hidden_block_count_y
      - .offset:         1304
        .size:           4
        .value_kind:     hidden_block_count_z
      - .offset:         1308
        .size:           2
        .value_kind:     hidden_group_size_x
      - .offset:         1310
        .size:           2
        .value_kind:     hidden_group_size_y
      - .offset:         1312
        .size:           2
        .value_kind:     hidden_group_size_z
      - .offset:         1314
        .size:           2
        .value_kind:     hidden_remainder_x
      - .offset:         1316
        .size:           2
        .value_kind:     hidden_remainder_y
      - .offset:         1318
        .size:           2
        .value_kind:     hidden_remainder_z
      - .offset:         1336
        .size:           8
        .value_kind:     hidden_global_offset_x
      - .offset:         1344
        .size:           8
        .value_kind:     hidden_global_offset_y
      - .offset:         1352
        .size:           8
        .value_kind:     hidden_global_offset_z
      - .offset:         1360
        .size:           2
        .value_kind:     hidden_grid_dims
    .group_segment_fixed_size: 0
    .kernarg_segment_align: 8
    .kernarg_segment_size: 1552
    .language:       OpenCL C
    .language_version:
      - 2
      - 0
    .max_flat_workgroup_size: 256
    .name:           _ZN2at6native12_GLOBAL__N_124fused_dropout_kernel_vecIddmLi1ELi8EhEEvNS_4cuda6detail10TensorInfoIKT_T1_EENS5_IS6_S8_EENS5_IT4_S8_EES8_T0_NS_15PhiloxCudaStateE
    .private_segment_fixed_size: 0
    .sgpr_count:     26
    .sgpr_spill_count: 0
    .symbol:         _ZN2at6native12_GLOBAL__N_124fused_dropout_kernel_vecIddmLi1ELi8EhEEvNS_4cuda6detail10TensorInfoIKT_T1_EENS5_IS6_S8_EENS5_IT4_S8_EES8_T0_NS_15PhiloxCudaStateE.kd
    .uniform_work_group_size: 1
    .uses_dynamic_stack: false
    .vgpr_count:     69
    .vgpr_spill_count: 0
    .wavefront_size: 32
    .workgroup_processor_mode: 1
  - .args:
      - .offset:         0
        .size:           416
        .value_kind:     by_value
      - .offset:         416
        .size:           416
        .value_kind:     by_value
      - .offset:         832
        .size:           416
        .value_kind:     by_value
      - .offset:         1248
        .size:           8
        .value_kind:     by_value
      - .offset:         1256
        .size:           8
        .value_kind:     by_value
      - .offset:         1264
        .size:           32
        .value_kind:     by_value
      - .offset:         1296
        .size:           4
        .value_kind:     hidden_block_count_x
      - .offset:         1300
        .size:           4
        .value_kind:     hidden_block_count_y
      - .offset:         1304
        .size:           4
        .value_kind:     hidden_block_count_z
      - .offset:         1308
        .size:           2
        .value_kind:     hidden_group_size_x
      - .offset:         1310
        .size:           2
        .value_kind:     hidden_group_size_y
      - .offset:         1312
        .size:           2
        .value_kind:     hidden_group_size_z
      - .offset:         1314
        .size:           2
        .value_kind:     hidden_remainder_x
      - .offset:         1316
        .size:           2
        .value_kind:     hidden_remainder_y
      - .offset:         1318
        .size:           2
        .value_kind:     hidden_remainder_z
      - .offset:         1336
        .size:           8
        .value_kind:     hidden_global_offset_x
      - .offset:         1344
        .size:           8
        .value_kind:     hidden_global_offset_y
      - .offset:         1352
        .size:           8
        .value_kind:     hidden_global_offset_z
      - .offset:         1360
        .size:           2
        .value_kind:     hidden_grid_dims
    .group_segment_fixed_size: 0
    .kernarg_segment_align: 8
    .kernarg_segment_size: 1552
    .language:       OpenCL C
    .language_version:
      - 2
      - 0
    .max_flat_workgroup_size: 256
    .name:           _ZN2at6native12_GLOBAL__N_124fused_dropout_kernel_vecIddmLi1ELi4EhEEvNS_4cuda6detail10TensorInfoIKT_T1_EENS5_IS6_S8_EENS5_IT4_S8_EES8_T0_NS_15PhiloxCudaStateE
    .private_segment_fixed_size: 0
    .sgpr_count:     20
    .sgpr_spill_count: 0
    .symbol:         _ZN2at6native12_GLOBAL__N_124fused_dropout_kernel_vecIddmLi1ELi4EhEEvNS_4cuda6detail10TensorInfoIKT_T1_EENS5_IS6_S8_EENS5_IT4_S8_EES8_T0_NS_15PhiloxCudaStateE.kd
    .uniform_work_group_size: 1
    .uses_dynamic_stack: false
    .vgpr_count:     55
    .vgpr_spill_count: 0
    .wavefront_size: 32
    .workgroup_processor_mode: 1
  - .args:
      - .offset:         0
        .size:           416
        .value_kind:     by_value
      - .offset:         416
        .size:           416
        .value_kind:     by_value
      - .offset:         832
        .size:           416
        .value_kind:     by_value
      - .offset:         1248
        .size:           8
        .value_kind:     by_value
      - .offset:         1256
        .size:           8
        .value_kind:     by_value
      - .offset:         1264
        .size:           32
        .value_kind:     by_value
      - .offset:         1296
        .size:           4
        .value_kind:     hidden_block_count_x
      - .offset:         1300
        .size:           4
        .value_kind:     hidden_block_count_y
      - .offset:         1304
        .size:           4
        .value_kind:     hidden_block_count_z
      - .offset:         1308
        .size:           2
        .value_kind:     hidden_group_size_x
      - .offset:         1310
        .size:           2
        .value_kind:     hidden_group_size_y
      - .offset:         1312
        .size:           2
        .value_kind:     hidden_group_size_z
      - .offset:         1314
        .size:           2
        .value_kind:     hidden_remainder_x
      - .offset:         1316
        .size:           2
        .value_kind:     hidden_remainder_y
      - .offset:         1318
        .size:           2
        .value_kind:     hidden_remainder_z
      - .offset:         1336
        .size:           8
        .value_kind:     hidden_global_offset_x
      - .offset:         1344
        .size:           8
        .value_kind:     hidden_global_offset_y
      - .offset:         1352
        .size:           8
        .value_kind:     hidden_global_offset_z
      - .offset:         1360
        .size:           2
        .value_kind:     hidden_grid_dims
    .group_segment_fixed_size: 0
    .kernarg_segment_align: 8
    .kernarg_segment_size: 1552
    .language:       OpenCL C
    .language_version:
      - 2
      - 0
    .max_flat_workgroup_size: 256
    .name:           _ZN2at6native12_GLOBAL__N_124fused_dropout_kernel_vecIddmLi1ELi2EhEEvNS_4cuda6detail10TensorInfoIKT_T1_EENS5_IS6_S8_EENS5_IT4_S8_EES8_T0_NS_15PhiloxCudaStateE
    .private_segment_fixed_size: 0
    .sgpr_count:     18
    .sgpr_spill_count: 0
    .symbol:         _ZN2at6native12_GLOBAL__N_124fused_dropout_kernel_vecIddmLi1ELi2EhEEvNS_4cuda6detail10TensorInfoIKT_T1_EENS5_IS6_S8_EENS5_IT4_S8_EES8_T0_NS_15PhiloxCudaStateE.kd
    .uniform_work_group_size: 1
    .uses_dynamic_stack: false
    .vgpr_count:     49
    .vgpr_spill_count: 0
    .wavefront_size: 32
    .workgroup_processor_mode: 1
  - .args:
      - .offset:         0
        .size:           416
        .value_kind:     by_value
      - .offset:         416
        .size:           416
        .value_kind:     by_value
      - .offset:         832
        .size:           416
        .value_kind:     by_value
      - .offset:         1248
        .size:           8
        .value_kind:     by_value
      - .offset:         1256
        .size:           8
        .value_kind:     by_value
      - .offset:         1264
        .size:           32
        .value_kind:     by_value
      - .offset:         1296
        .size:           4
        .value_kind:     hidden_block_count_x
      - .offset:         1300
        .size:           4
        .value_kind:     hidden_block_count_y
      - .offset:         1304
        .size:           4
        .value_kind:     hidden_block_count_z
      - .offset:         1308
        .size:           2
        .value_kind:     hidden_group_size_x
      - .offset:         1310
        .size:           2
        .value_kind:     hidden_group_size_y
      - .offset:         1312
        .size:           2
        .value_kind:     hidden_group_size_z
      - .offset:         1314
        .size:           2
        .value_kind:     hidden_remainder_x
      - .offset:         1316
        .size:           2
        .value_kind:     hidden_remainder_y
      - .offset:         1318
        .size:           2
        .value_kind:     hidden_remainder_z
      - .offset:         1336
        .size:           8
        .value_kind:     hidden_global_offset_x
      - .offset:         1344
        .size:           8
        .value_kind:     hidden_global_offset_y
      - .offset:         1352
        .size:           8
        .value_kind:     hidden_global_offset_z
      - .offset:         1360
        .size:           2
        .value_kind:     hidden_grid_dims
    .group_segment_fixed_size: 0
    .kernarg_segment_align: 8
    .kernarg_segment_size: 1552
    .language:       OpenCL C
    .language_version:
      - 2
      - 0
    .max_flat_workgroup_size: 256
    .name:           _ZN2at6native12_GLOBAL__N_120fused_dropout_kernelIddmLi1ELi1EhEEvNS_4cuda6detail10TensorInfoIKT_T1_EENS5_IS6_S8_EENS5_IT4_S8_EES8_T0_NS_15PhiloxCudaStateE
    .private_segment_fixed_size: 0
    .sgpr_count:     30
    .sgpr_spill_count: 0
    .symbol:         _ZN2at6native12_GLOBAL__N_120fused_dropout_kernelIddmLi1ELi1EhEEvNS_4cuda6detail10TensorInfoIKT_T1_EENS5_IS6_S8_EENS5_IT4_S8_EES8_T0_NS_15PhiloxCudaStateE.kd
    .uniform_work_group_size: 1
    .uses_dynamic_stack: false
    .vgpr_count:     78
    .vgpr_spill_count: 0
    .wavefront_size: 32
    .workgroup_processor_mode: 1
  - .args:
      - .offset:         0
        .size:           416
        .value_kind:     by_value
      - .offset:         416
        .size:           416
        .value_kind:     by_value
      - .offset:         832
        .size:           416
        .value_kind:     by_value
      - .offset:         1248
        .size:           8
        .value_kind:     by_value
      - .offset:         1256
        .size:           8
        .value_kind:     by_value
      - .offset:         1264
        .size:           32
        .value_kind:     by_value
      - .offset:         1296
        .size:           4
        .value_kind:     hidden_block_count_x
      - .offset:         1300
        .size:           4
        .value_kind:     hidden_block_count_y
      - .offset:         1304
        .size:           4
        .value_kind:     hidden_block_count_z
      - .offset:         1308
        .size:           2
        .value_kind:     hidden_group_size_x
      - .offset:         1310
        .size:           2
        .value_kind:     hidden_group_size_y
      - .offset:         1312
        .size:           2
        .value_kind:     hidden_group_size_z
      - .offset:         1314
        .size:           2
        .value_kind:     hidden_remainder_x
      - .offset:         1316
        .size:           2
        .value_kind:     hidden_remainder_y
      - .offset:         1318
        .size:           2
        .value_kind:     hidden_remainder_z
      - .offset:         1336
        .size:           8
        .value_kind:     hidden_global_offset_x
      - .offset:         1344
        .size:           8
        .value_kind:     hidden_global_offset_y
      - .offset:         1352
        .size:           8
        .value_kind:     hidden_global_offset_z
      - .offset:         1360
        .size:           2
        .value_kind:     hidden_grid_dims
    .group_segment_fixed_size: 0
    .kernarg_segment_align: 8
    .kernarg_segment_size: 1552
    .language:       OpenCL C
    .language_version:
      - 2
      - 0
    .max_flat_workgroup_size: 256
    .name:           _ZN2at6native12_GLOBAL__N_120fused_dropout_kernelIddmLin1ELi1EhEEvNS_4cuda6detail10TensorInfoIKT_T1_EENS5_IS6_S8_EENS5_IT4_S8_EES8_T0_NS_15PhiloxCudaStateE
    .private_segment_fixed_size: 0
    .sgpr_count:     42
    .sgpr_spill_count: 0
    .symbol:         _ZN2at6native12_GLOBAL__N_120fused_dropout_kernelIddmLin1ELi1EhEEvNS_4cuda6detail10TensorInfoIKT_T1_EENS5_IS6_S8_EENS5_IT4_S8_EES8_T0_NS_15PhiloxCudaStateE.kd
    .uniform_work_group_size: 1
    .uses_dynamic_stack: false
    .vgpr_count:     64
    .vgpr_spill_count: 0
    .wavefront_size: 32
    .workgroup_processor_mode: 1
  - .args:
      - .offset:         0
        .size:           416
        .value_kind:     by_value
      - .offset:         416
        .size:           416
        .value_kind:     by_value
      - .offset:         832
        .size:           416
        .value_kind:     by_value
      - .offset:         1248
        .size:           8
        .value_kind:     by_value
      - .offset:         1256
        .size:           8
        .value_kind:     by_value
      - .offset:         1264
        .size:           32
        .value_kind:     by_value
      - .offset:         1296
        .size:           4
        .value_kind:     hidden_block_count_x
      - .offset:         1300
        .size:           4
        .value_kind:     hidden_block_count_y
      - .offset:         1304
        .size:           4
        .value_kind:     hidden_block_count_z
      - .offset:         1308
        .size:           2
        .value_kind:     hidden_group_size_x
      - .offset:         1310
        .size:           2
        .value_kind:     hidden_group_size_y
      - .offset:         1312
        .size:           2
        .value_kind:     hidden_group_size_z
      - .offset:         1314
        .size:           2
        .value_kind:     hidden_remainder_x
      - .offset:         1316
        .size:           2
        .value_kind:     hidden_remainder_y
      - .offset:         1318
        .size:           2
        .value_kind:     hidden_remainder_z
      - .offset:         1336
        .size:           8
        .value_kind:     hidden_global_offset_x
      - .offset:         1344
        .size:           8
        .value_kind:     hidden_global_offset_y
      - .offset:         1352
        .size:           8
        .value_kind:     hidden_global_offset_z
      - .offset:         1360
        .size:           2
        .value_kind:     hidden_grid_dims
    .group_segment_fixed_size: 0
    .kernarg_segment_align: 8
    .kernarg_segment_size: 1552
    .language:       OpenCL C
    .language_version:
      - 2
      - 0
    .max_flat_workgroup_size: 256
    .name:           _ZN2at6native12_GLOBAL__N_120fused_dropout_kernelIddmLin1ELin1EhEEvNS_4cuda6detail10TensorInfoIKT_T1_EENS5_IS6_S8_EENS5_IT4_S8_EES8_T0_NS_15PhiloxCudaStateE
    .private_segment_fixed_size: 0
    .sgpr_count:     46
    .sgpr_spill_count: 0
    .symbol:         _ZN2at6native12_GLOBAL__N_120fused_dropout_kernelIddmLin1ELin1EhEEvNS_4cuda6detail10TensorInfoIKT_T1_EENS5_IS6_S8_EENS5_IT4_S8_EES8_T0_NS_15PhiloxCudaStateE.kd
    .uniform_work_group_size: 1
    .uses_dynamic_stack: false
    .vgpr_count:     66
    .vgpr_spill_count: 0
    .wavefront_size: 32
    .workgroup_processor_mode: 1
  - .args:
      - .offset:         0
        .size:           416
        .value_kind:     by_value
      - .offset:         416
        .size:           416
        .value_kind:     by_value
      - .offset:         832
        .size:           416
        .value_kind:     by_value
      - .offset:         1248
        .size:           8
        .value_kind:     by_value
      - .offset:         1256
        .size:           4
        .value_kind:     by_value
      - .offset:         1264
        .size:           32
        .value_kind:     by_value
      - .offset:         1296
        .size:           4
        .value_kind:     hidden_block_count_x
      - .offset:         1300
        .size:           4
        .value_kind:     hidden_block_count_y
      - .offset:         1304
        .size:           4
        .value_kind:     hidden_block_count_z
      - .offset:         1308
        .size:           2
        .value_kind:     hidden_group_size_x
      - .offset:         1310
        .size:           2
        .value_kind:     hidden_group_size_y
      - .offset:         1312
        .size:           2
        .value_kind:     hidden_group_size_z
      - .offset:         1314
        .size:           2
        .value_kind:     hidden_remainder_x
      - .offset:         1316
        .size:           2
        .value_kind:     hidden_remainder_y
      - .offset:         1318
        .size:           2
        .value_kind:     hidden_remainder_z
      - .offset:         1336
        .size:           8
        .value_kind:     hidden_global_offset_x
      - .offset:         1344
        .size:           8
        .value_kind:     hidden_global_offset_y
      - .offset:         1352
        .size:           8
        .value_kind:     hidden_global_offset_z
      - .offset:         1360
        .size:           2
        .value_kind:     hidden_grid_dims
    .group_segment_fixed_size: 0
    .kernarg_segment_align: 8
    .kernarg_segment_size: 1552
    .language:       OpenCL C
    .language_version:
      - 2
      - 0
    .max_flat_workgroup_size: 256
    .name:           _ZN2at6native12_GLOBAL__N_124fused_dropout_kernel_vecIffmLi1ELi16EhEEvNS_4cuda6detail10TensorInfoIKT_T1_EENS5_IS6_S8_EENS5_IT4_S8_EES8_T0_NS_15PhiloxCudaStateE
    .private_segment_fixed_size: 0
    .sgpr_count:     31
    .sgpr_spill_count: 0
    .symbol:         _ZN2at6native12_GLOBAL__N_124fused_dropout_kernel_vecIffmLi1ELi16EhEEvNS_4cuda6detail10TensorInfoIKT_T1_EENS5_IS6_S8_EENS5_IT4_S8_EES8_T0_NS_15PhiloxCudaStateE.kd
    .uniform_work_group_size: 1
    .uses_dynamic_stack: false
    .vgpr_count:     86
    .vgpr_spill_count: 0
    .wavefront_size: 32
    .workgroup_processor_mode: 1
  - .args:
      - .offset:         0
        .size:           416
        .value_kind:     by_value
      - .offset:         416
        .size:           416
        .value_kind:     by_value
      - .offset:         832
        .size:           416
        .value_kind:     by_value
      - .offset:         1248
        .size:           8
        .value_kind:     by_value
      - .offset:         1256
        .size:           4
        .value_kind:     by_value
      - .offset:         1264
        .size:           32
        .value_kind:     by_value
      - .offset:         1296
        .size:           4
        .value_kind:     hidden_block_count_x
      - .offset:         1300
        .size:           4
        .value_kind:     hidden_block_count_y
      - .offset:         1304
        .size:           4
        .value_kind:     hidden_block_count_z
      - .offset:         1308
        .size:           2
        .value_kind:     hidden_group_size_x
      - .offset:         1310
        .size:           2
        .value_kind:     hidden_group_size_y
      - .offset:         1312
        .size:           2
        .value_kind:     hidden_group_size_z
      - .offset:         1314
        .size:           2
        .value_kind:     hidden_remainder_x
      - .offset:         1316
        .size:           2
        .value_kind:     hidden_remainder_y
      - .offset:         1318
        .size:           2
        .value_kind:     hidden_remainder_z
      - .offset:         1336
        .size:           8
        .value_kind:     hidden_global_offset_x
      - .offset:         1344
        .size:           8
        .value_kind:     hidden_global_offset_y
      - .offset:         1352
        .size:           8
        .value_kind:     hidden_global_offset_z
      - .offset:         1360
        .size:           2
        .value_kind:     hidden_grid_dims
    .group_segment_fixed_size: 0
    .kernarg_segment_align: 8
    .kernarg_segment_size: 1552
    .language:       OpenCL C
    .language_version:
      - 2
      - 0
    .max_flat_workgroup_size: 256
    .name:           _ZN2at6native12_GLOBAL__N_124fused_dropout_kernel_vecIffmLi1ELi8EhEEvNS_4cuda6detail10TensorInfoIKT_T1_EENS5_IS6_S8_EENS5_IT4_S8_EES8_T0_NS_15PhiloxCudaStateE
    .private_segment_fixed_size: 0
    .sgpr_count:     22
    .sgpr_spill_count: 0
    .symbol:         _ZN2at6native12_GLOBAL__N_124fused_dropout_kernel_vecIffmLi1ELi8EhEEvNS_4cuda6detail10TensorInfoIKT_T1_EENS5_IS6_S8_EENS5_IT4_S8_EES8_T0_NS_15PhiloxCudaStateE.kd
    .uniform_work_group_size: 1
    .uses_dynamic_stack: false
    .vgpr_count:     62
    .vgpr_spill_count: 0
    .wavefront_size: 32
    .workgroup_processor_mode: 1
  - .args:
      - .offset:         0
        .size:           416
        .value_kind:     by_value
      - .offset:         416
        .size:           416
        .value_kind:     by_value
      - .offset:         832
        .size:           416
        .value_kind:     by_value
      - .offset:         1248
        .size:           8
        .value_kind:     by_value
      - .offset:         1256
        .size:           4
        .value_kind:     by_value
      - .offset:         1264
        .size:           32
        .value_kind:     by_value
      - .offset:         1296
        .size:           4
        .value_kind:     hidden_block_count_x
      - .offset:         1300
        .size:           4
        .value_kind:     hidden_block_count_y
      - .offset:         1304
        .size:           4
        .value_kind:     hidden_block_count_z
      - .offset:         1308
        .size:           2
        .value_kind:     hidden_group_size_x
      - .offset:         1310
        .size:           2
        .value_kind:     hidden_group_size_y
      - .offset:         1312
        .size:           2
        .value_kind:     hidden_group_size_z
      - .offset:         1314
        .size:           2
        .value_kind:     hidden_remainder_x
      - .offset:         1316
        .size:           2
        .value_kind:     hidden_remainder_y
      - .offset:         1318
        .size:           2
        .value_kind:     hidden_remainder_z
      - .offset:         1336
        .size:           8
        .value_kind:     hidden_global_offset_x
      - .offset:         1344
        .size:           8
        .value_kind:     hidden_global_offset_y
      - .offset:         1352
        .size:           8
        .value_kind:     hidden_global_offset_z
      - .offset:         1360
        .size:           2
        .value_kind:     hidden_grid_dims
    .group_segment_fixed_size: 0
    .kernarg_segment_align: 8
    .kernarg_segment_size: 1552
    .language:       OpenCL C
    .language_version:
      - 2
      - 0
    .max_flat_workgroup_size: 256
    .name:           _ZN2at6native12_GLOBAL__N_124fused_dropout_kernel_vecIffmLi1ELi4EhEEvNS_4cuda6detail10TensorInfoIKT_T1_EENS5_IS6_S8_EENS5_IT4_S8_EES8_T0_NS_15PhiloxCudaStateE
    .private_segment_fixed_size: 0
    .sgpr_count:     18
    .sgpr_spill_count: 0
    .symbol:         _ZN2at6native12_GLOBAL__N_124fused_dropout_kernel_vecIffmLi1ELi4EhEEvNS_4cuda6detail10TensorInfoIKT_T1_EENS5_IS6_S8_EENS5_IT4_S8_EES8_T0_NS_15PhiloxCudaStateE.kd
    .uniform_work_group_size: 1
    .uses_dynamic_stack: false
    .vgpr_count:     50
    .vgpr_spill_count: 0
    .wavefront_size: 32
    .workgroup_processor_mode: 1
  - .args:
      - .offset:         0
        .size:           416
        .value_kind:     by_value
      - .offset:         416
        .size:           416
        .value_kind:     by_value
      - .offset:         832
        .size:           416
        .value_kind:     by_value
      - .offset:         1248
        .size:           8
        .value_kind:     by_value
      - .offset:         1256
        .size:           4
        .value_kind:     by_value
      - .offset:         1264
        .size:           32
        .value_kind:     by_value
      - .offset:         1296
        .size:           4
        .value_kind:     hidden_block_count_x
      - .offset:         1300
        .size:           4
        .value_kind:     hidden_block_count_y
      - .offset:         1304
        .size:           4
        .value_kind:     hidden_block_count_z
      - .offset:         1308
        .size:           2
        .value_kind:     hidden_group_size_x
      - .offset:         1310
        .size:           2
        .value_kind:     hidden_group_size_y
      - .offset:         1312
        .size:           2
        .value_kind:     hidden_group_size_z
      - .offset:         1314
        .size:           2
        .value_kind:     hidden_remainder_x
      - .offset:         1316
        .size:           2
        .value_kind:     hidden_remainder_y
      - .offset:         1318
        .size:           2
        .value_kind:     hidden_remainder_z
      - .offset:         1336
        .size:           8
        .value_kind:     hidden_global_offset_x
      - .offset:         1344
        .size:           8
        .value_kind:     hidden_global_offset_y
      - .offset:         1352
        .size:           8
        .value_kind:     hidden_global_offset_z
      - .offset:         1360
        .size:           2
        .value_kind:     hidden_grid_dims
    .group_segment_fixed_size: 0
    .kernarg_segment_align: 8
    .kernarg_segment_size: 1552
    .language:       OpenCL C
    .language_version:
      - 2
      - 0
    .max_flat_workgroup_size: 256
    .name:           _ZN2at6native12_GLOBAL__N_124fused_dropout_kernel_vecIffmLi1ELi2EhEEvNS_4cuda6detail10TensorInfoIKT_T1_EENS5_IS6_S8_EENS5_IT4_S8_EES8_T0_NS_15PhiloxCudaStateE
    .private_segment_fixed_size: 0
    .sgpr_count:     18
    .sgpr_spill_count: 0
    .symbol:         _ZN2at6native12_GLOBAL__N_124fused_dropout_kernel_vecIffmLi1ELi2EhEEvNS_4cuda6detail10TensorInfoIKT_T1_EENS5_IS6_S8_EENS5_IT4_S8_EES8_T0_NS_15PhiloxCudaStateE.kd
    .uniform_work_group_size: 1
    .uses_dynamic_stack: false
    .vgpr_count:     45
    .vgpr_spill_count: 0
    .wavefront_size: 32
    .workgroup_processor_mode: 1
  - .args:
      - .offset:         0
        .size:           416
        .value_kind:     by_value
      - .offset:         416
        .size:           416
        .value_kind:     by_value
      - .offset:         832
        .size:           416
        .value_kind:     by_value
      - .offset:         1248
        .size:           8
        .value_kind:     by_value
      - .offset:         1256
        .size:           4
        .value_kind:     by_value
      - .offset:         1264
        .size:           32
        .value_kind:     by_value
      - .offset:         1296
        .size:           4
        .value_kind:     hidden_block_count_x
      - .offset:         1300
        .size:           4
        .value_kind:     hidden_block_count_y
      - .offset:         1304
        .size:           4
        .value_kind:     hidden_block_count_z
      - .offset:         1308
        .size:           2
        .value_kind:     hidden_group_size_x
      - .offset:         1310
        .size:           2
        .value_kind:     hidden_group_size_y
      - .offset:         1312
        .size:           2
        .value_kind:     hidden_group_size_z
      - .offset:         1314
        .size:           2
        .value_kind:     hidden_remainder_x
      - .offset:         1316
        .size:           2
        .value_kind:     hidden_remainder_y
      - .offset:         1318
        .size:           2
        .value_kind:     hidden_remainder_z
      - .offset:         1336
        .size:           8
        .value_kind:     hidden_global_offset_x
      - .offset:         1344
        .size:           8
        .value_kind:     hidden_global_offset_y
      - .offset:         1352
        .size:           8
        .value_kind:     hidden_global_offset_z
      - .offset:         1360
        .size:           2
        .value_kind:     hidden_grid_dims
    .group_segment_fixed_size: 0
    .kernarg_segment_align: 8
    .kernarg_segment_size: 1552
    .language:       OpenCL C
    .language_version:
      - 2
      - 0
    .max_flat_workgroup_size: 256
    .name:           _ZN2at6native12_GLOBAL__N_120fused_dropout_kernelIffmLi1ELi1EhEEvNS_4cuda6detail10TensorInfoIKT_T1_EENS5_IS6_S8_EENS5_IT4_S8_EES8_T0_NS_15PhiloxCudaStateE
    .private_segment_fixed_size: 0
    .sgpr_count:     29
    .sgpr_spill_count: 0
    .symbol:         _ZN2at6native12_GLOBAL__N_120fused_dropout_kernelIffmLi1ELi1EhEEvNS_4cuda6detail10TensorInfoIKT_T1_EENS5_IS6_S8_EENS5_IT4_S8_EES8_T0_NS_15PhiloxCudaStateE.kd
    .uniform_work_group_size: 1
    .uses_dynamic_stack: false
    .vgpr_count:     69
    .vgpr_spill_count: 0
    .wavefront_size: 32
    .workgroup_processor_mode: 1
  - .args:
      - .offset:         0
        .size:           416
        .value_kind:     by_value
      - .offset:         416
        .size:           416
        .value_kind:     by_value
      - .offset:         832
        .size:           416
        .value_kind:     by_value
      - .offset:         1248
        .size:           8
        .value_kind:     by_value
      - .offset:         1256
        .size:           4
        .value_kind:     by_value
      - .offset:         1264
        .size:           32
        .value_kind:     by_value
      - .offset:         1296
        .size:           4
        .value_kind:     hidden_block_count_x
      - .offset:         1300
        .size:           4
        .value_kind:     hidden_block_count_y
      - .offset:         1304
        .size:           4
        .value_kind:     hidden_block_count_z
      - .offset:         1308
        .size:           2
        .value_kind:     hidden_group_size_x
      - .offset:         1310
        .size:           2
        .value_kind:     hidden_group_size_y
      - .offset:         1312
        .size:           2
        .value_kind:     hidden_group_size_z
      - .offset:         1314
        .size:           2
        .value_kind:     hidden_remainder_x
      - .offset:         1316
        .size:           2
        .value_kind:     hidden_remainder_y
      - .offset:         1318
        .size:           2
        .value_kind:     hidden_remainder_z
      - .offset:         1336
        .size:           8
        .value_kind:     hidden_global_offset_x
      - .offset:         1344
        .size:           8
        .value_kind:     hidden_global_offset_y
      - .offset:         1352
        .size:           8
        .value_kind:     hidden_global_offset_z
      - .offset:         1360
        .size:           2
        .value_kind:     hidden_grid_dims
    .group_segment_fixed_size: 0
    .kernarg_segment_align: 8
    .kernarg_segment_size: 1552
    .language:       OpenCL C
    .language_version:
      - 2
      - 0
    .max_flat_workgroup_size: 256
    .name:           _ZN2at6native12_GLOBAL__N_120fused_dropout_kernelIffmLin1ELi1EhEEvNS_4cuda6detail10TensorInfoIKT_T1_EENS5_IS6_S8_EENS5_IT4_S8_EES8_T0_NS_15PhiloxCudaStateE
    .private_segment_fixed_size: 0
    .sgpr_count:     40
    .sgpr_spill_count: 0
    .symbol:         _ZN2at6native12_GLOBAL__N_120fused_dropout_kernelIffmLin1ELi1EhEEvNS_4cuda6detail10TensorInfoIKT_T1_EENS5_IS6_S8_EENS5_IT4_S8_EES8_T0_NS_15PhiloxCudaStateE.kd
    .uniform_work_group_size: 1
    .uses_dynamic_stack: false
    .vgpr_count:     60
    .vgpr_spill_count: 0
    .wavefront_size: 32
    .workgroup_processor_mode: 1
  - .args:
      - .offset:         0
        .size:           416
        .value_kind:     by_value
      - .offset:         416
        .size:           416
        .value_kind:     by_value
      - .offset:         832
        .size:           416
        .value_kind:     by_value
      - .offset:         1248
        .size:           8
        .value_kind:     by_value
      - .offset:         1256
        .size:           4
        .value_kind:     by_value
      - .offset:         1264
        .size:           32
        .value_kind:     by_value
      - .offset:         1296
        .size:           4
        .value_kind:     hidden_block_count_x
      - .offset:         1300
        .size:           4
        .value_kind:     hidden_block_count_y
      - .offset:         1304
        .size:           4
        .value_kind:     hidden_block_count_z
      - .offset:         1308
        .size:           2
        .value_kind:     hidden_group_size_x
      - .offset:         1310
        .size:           2
        .value_kind:     hidden_group_size_y
      - .offset:         1312
        .size:           2
        .value_kind:     hidden_group_size_z
      - .offset:         1314
        .size:           2
        .value_kind:     hidden_remainder_x
      - .offset:         1316
        .size:           2
        .value_kind:     hidden_remainder_y
      - .offset:         1318
        .size:           2
        .value_kind:     hidden_remainder_z
      - .offset:         1336
        .size:           8
        .value_kind:     hidden_global_offset_x
      - .offset:         1344
        .size:           8
        .value_kind:     hidden_global_offset_y
      - .offset:         1352
        .size:           8
        .value_kind:     hidden_global_offset_z
      - .offset:         1360
        .size:           2
        .value_kind:     hidden_grid_dims
    .group_segment_fixed_size: 0
    .kernarg_segment_align: 8
    .kernarg_segment_size: 1552
    .language:       OpenCL C
    .language_version:
      - 2
      - 0
    .max_flat_workgroup_size: 256
    .name:           _ZN2at6native12_GLOBAL__N_120fused_dropout_kernelIffmLin1ELin1EhEEvNS_4cuda6detail10TensorInfoIKT_T1_EENS5_IS6_S8_EENS5_IT4_S8_EES8_T0_NS_15PhiloxCudaStateE
    .private_segment_fixed_size: 0
    .sgpr_count:     44
    .sgpr_spill_count: 0
    .symbol:         _ZN2at6native12_GLOBAL__N_120fused_dropout_kernelIffmLin1ELin1EhEEvNS_4cuda6detail10TensorInfoIKT_T1_EENS5_IS6_S8_EENS5_IT4_S8_EES8_T0_NS_15PhiloxCudaStateE.kd
    .uniform_work_group_size: 1
    .uses_dynamic_stack: false
    .vgpr_count:     61
    .vgpr_spill_count: 0
    .wavefront_size: 32
    .workgroup_processor_mode: 1
  - .args:
      - .offset:         0
        .size:           416
        .value_kind:     by_value
      - .offset:         416
        .size:           416
        .value_kind:     by_value
      - .offset:         832
        .size:           416
        .value_kind:     by_value
      - .offset:         1248
        .size:           8
        .value_kind:     by_value
      - .offset:         1256
        .size:           4
        .value_kind:     by_value
      - .offset:         1264
        .size:           32
        .value_kind:     by_value
      - .offset:         1296
        .size:           4
        .value_kind:     hidden_block_count_x
      - .offset:         1300
        .size:           4
        .value_kind:     hidden_block_count_y
      - .offset:         1304
        .size:           4
        .value_kind:     hidden_block_count_z
      - .offset:         1308
        .size:           2
        .value_kind:     hidden_group_size_x
      - .offset:         1310
        .size:           2
        .value_kind:     hidden_group_size_y
      - .offset:         1312
        .size:           2
        .value_kind:     hidden_group_size_z
      - .offset:         1314
        .size:           2
        .value_kind:     hidden_remainder_x
      - .offset:         1316
        .size:           2
        .value_kind:     hidden_remainder_y
      - .offset:         1318
        .size:           2
        .value_kind:     hidden_remainder_z
      - .offset:         1336
        .size:           8
        .value_kind:     hidden_global_offset_x
      - .offset:         1344
        .size:           8
        .value_kind:     hidden_global_offset_y
      - .offset:         1352
        .size:           8
        .value_kind:     hidden_global_offset_z
      - .offset:         1360
        .size:           2
        .value_kind:     hidden_grid_dims
    .group_segment_fixed_size: 0
    .kernarg_segment_align: 8
    .kernarg_segment_size: 1552
    .language:       OpenCL C
    .language_version:
      - 2
      - 0
    .max_flat_workgroup_size: 256
    .name:           _ZN2at6native12_GLOBAL__N_124fused_dropout_kernel_vecIN3c104HalfEfmLi1ELi16EhEEvNS_4cuda6detail10TensorInfoIKT_T1_EENS7_IS8_SA_EENS7_IT4_SA_EESA_T0_NS_15PhiloxCudaStateE
    .private_segment_fixed_size: 0
    .sgpr_count:     31
    .sgpr_spill_count: 0
    .symbol:         _ZN2at6native12_GLOBAL__N_124fused_dropout_kernel_vecIN3c104HalfEfmLi1ELi16EhEEvNS_4cuda6detail10TensorInfoIKT_T1_EENS7_IS8_SA_EENS7_IT4_SA_EESA_T0_NS_15PhiloxCudaStateE.kd
    .uniform_work_group_size: 1
    .uses_dynamic_stack: false
    .vgpr_count:     78
    .vgpr_spill_count: 0
    .wavefront_size: 32
    .workgroup_processor_mode: 1
  - .args:
      - .offset:         0
        .size:           416
        .value_kind:     by_value
      - .offset:         416
        .size:           416
        .value_kind:     by_value
      - .offset:         832
        .size:           416
        .value_kind:     by_value
      - .offset:         1248
        .size:           8
        .value_kind:     by_value
      - .offset:         1256
        .size:           4
        .value_kind:     by_value
      - .offset:         1264
        .size:           32
        .value_kind:     by_value
      - .offset:         1296
        .size:           4
        .value_kind:     hidden_block_count_x
      - .offset:         1300
        .size:           4
        .value_kind:     hidden_block_count_y
      - .offset:         1304
        .size:           4
        .value_kind:     hidden_block_count_z
      - .offset:         1308
        .size:           2
        .value_kind:     hidden_group_size_x
      - .offset:         1310
        .size:           2
        .value_kind:     hidden_group_size_y
      - .offset:         1312
        .size:           2
        .value_kind:     hidden_group_size_z
      - .offset:         1314
        .size:           2
        .value_kind:     hidden_remainder_x
      - .offset:         1316
        .size:           2
        .value_kind:     hidden_remainder_y
      - .offset:         1318
        .size:           2
        .value_kind:     hidden_remainder_z
      - .offset:         1336
        .size:           8
        .value_kind:     hidden_global_offset_x
      - .offset:         1344
        .size:           8
        .value_kind:     hidden_global_offset_y
      - .offset:         1352
        .size:           8
        .value_kind:     hidden_global_offset_z
      - .offset:         1360
        .size:           2
        .value_kind:     hidden_grid_dims
    .group_segment_fixed_size: 0
    .kernarg_segment_align: 8
    .kernarg_segment_size: 1552
    .language:       OpenCL C
    .language_version:
      - 2
      - 0
    .max_flat_workgroup_size: 256
    .name:           _ZN2at6native12_GLOBAL__N_124fused_dropout_kernel_vecIN3c104HalfEfmLi1ELi8EhEEvNS_4cuda6detail10TensorInfoIKT_T1_EENS7_IS8_SA_EENS7_IT4_SA_EESA_T0_NS_15PhiloxCudaStateE
    .private_segment_fixed_size: 0
    .sgpr_count:     22
    .sgpr_spill_count: 0
    .symbol:         _ZN2at6native12_GLOBAL__N_124fused_dropout_kernel_vecIN3c104HalfEfmLi1ELi8EhEEvNS_4cuda6detail10TensorInfoIKT_T1_EENS7_IS8_SA_EENS7_IT4_SA_EESA_T0_NS_15PhiloxCudaStateE.kd
    .uniform_work_group_size: 1
    .uses_dynamic_stack: false
    .vgpr_count:     58
    .vgpr_spill_count: 0
    .wavefront_size: 32
    .workgroup_processor_mode: 1
  - .args:
      - .offset:         0
        .size:           416
        .value_kind:     by_value
      - .offset:         416
        .size:           416
        .value_kind:     by_value
      - .offset:         832
        .size:           416
        .value_kind:     by_value
      - .offset:         1248
        .size:           8
        .value_kind:     by_value
      - .offset:         1256
        .size:           4
        .value_kind:     by_value
      - .offset:         1264
        .size:           32
        .value_kind:     by_value
      - .offset:         1296
        .size:           4
        .value_kind:     hidden_block_count_x
      - .offset:         1300
        .size:           4
        .value_kind:     hidden_block_count_y
      - .offset:         1304
        .size:           4
        .value_kind:     hidden_block_count_z
      - .offset:         1308
        .size:           2
        .value_kind:     hidden_group_size_x
      - .offset:         1310
        .size:           2
        .value_kind:     hidden_group_size_y
      - .offset:         1312
        .size:           2
        .value_kind:     hidden_group_size_z
      - .offset:         1314
        .size:           2
        .value_kind:     hidden_remainder_x
      - .offset:         1316
        .size:           2
        .value_kind:     hidden_remainder_y
      - .offset:         1318
        .size:           2
        .value_kind:     hidden_remainder_z
      - .offset:         1336
        .size:           8
        .value_kind:     hidden_global_offset_x
      - .offset:         1344
        .size:           8
        .value_kind:     hidden_global_offset_y
      - .offset:         1352
        .size:           8
        .value_kind:     hidden_global_offset_z
      - .offset:         1360
        .size:           2
        .value_kind:     hidden_grid_dims
    .group_segment_fixed_size: 0
    .kernarg_segment_align: 8
    .kernarg_segment_size: 1552
    .language:       OpenCL C
    .language_version:
      - 2
      - 0
    .max_flat_workgroup_size: 256
    .name:           _ZN2at6native12_GLOBAL__N_124fused_dropout_kernel_vecIN3c104HalfEfmLi1ELi4EhEEvNS_4cuda6detail10TensorInfoIKT_T1_EENS7_IS8_SA_EENS7_IT4_SA_EESA_T0_NS_15PhiloxCudaStateE
    .private_segment_fixed_size: 0
    .sgpr_count:     18
    .sgpr_spill_count: 0
    .symbol:         _ZN2at6native12_GLOBAL__N_124fused_dropout_kernel_vecIN3c104HalfEfmLi1ELi4EhEEvNS_4cuda6detail10TensorInfoIKT_T1_EENS7_IS8_SA_EENS7_IT4_SA_EESA_T0_NS_15PhiloxCudaStateE.kd
    .uniform_work_group_size: 1
    .uses_dynamic_stack: false
    .vgpr_count:     49
    .vgpr_spill_count: 0
    .wavefront_size: 32
    .workgroup_processor_mode: 1
  - .args:
      - .offset:         0
        .size:           416
        .value_kind:     by_value
      - .offset:         416
        .size:           416
        .value_kind:     by_value
      - .offset:         832
        .size:           416
        .value_kind:     by_value
      - .offset:         1248
        .size:           8
        .value_kind:     by_value
      - .offset:         1256
        .size:           4
        .value_kind:     by_value
      - .offset:         1264
        .size:           32
        .value_kind:     by_value
      - .offset:         1296
        .size:           4
        .value_kind:     hidden_block_count_x
      - .offset:         1300
        .size:           4
        .value_kind:     hidden_block_count_y
      - .offset:         1304
        .size:           4
        .value_kind:     hidden_block_count_z
      - .offset:         1308
        .size:           2
        .value_kind:     hidden_group_size_x
      - .offset:         1310
        .size:           2
        .value_kind:     hidden_group_size_y
      - .offset:         1312
        .size:           2
        .value_kind:     hidden_group_size_z
      - .offset:         1314
        .size:           2
        .value_kind:     hidden_remainder_x
      - .offset:         1316
        .size:           2
        .value_kind:     hidden_remainder_y
      - .offset:         1318
        .size:           2
        .value_kind:     hidden_remainder_z
      - .offset:         1336
        .size:           8
        .value_kind:     hidden_global_offset_x
      - .offset:         1344
        .size:           8
        .value_kind:     hidden_global_offset_y
      - .offset:         1352
        .size:           8
        .value_kind:     hidden_global_offset_z
      - .offset:         1360
        .size:           2
        .value_kind:     hidden_grid_dims
    .group_segment_fixed_size: 0
    .kernarg_segment_align: 8
    .kernarg_segment_size: 1552
    .language:       OpenCL C
    .language_version:
      - 2
      - 0
    .max_flat_workgroup_size: 256
    .name:           _ZN2at6native12_GLOBAL__N_124fused_dropout_kernel_vecIN3c104HalfEfmLi1ELi2EhEEvNS_4cuda6detail10TensorInfoIKT_T1_EENS7_IS8_SA_EENS7_IT4_SA_EESA_T0_NS_15PhiloxCudaStateE
    .private_segment_fixed_size: 0
    .sgpr_count:     18
    .sgpr_spill_count: 0
    .symbol:         _ZN2at6native12_GLOBAL__N_124fused_dropout_kernel_vecIN3c104HalfEfmLi1ELi2EhEEvNS_4cuda6detail10TensorInfoIKT_T1_EENS7_IS8_SA_EENS7_IT4_SA_EESA_T0_NS_15PhiloxCudaStateE.kd
    .uniform_work_group_size: 1
    .uses_dynamic_stack: false
    .vgpr_count:     44
    .vgpr_spill_count: 0
    .wavefront_size: 32
    .workgroup_processor_mode: 1
  - .args:
      - .offset:         0
        .size:           416
        .value_kind:     by_value
      - .offset:         416
        .size:           416
        .value_kind:     by_value
      - .offset:         832
        .size:           416
        .value_kind:     by_value
      - .offset:         1248
        .size:           8
        .value_kind:     by_value
      - .offset:         1256
        .size:           4
        .value_kind:     by_value
      - .offset:         1264
        .size:           32
        .value_kind:     by_value
      - .offset:         1296
        .size:           4
        .value_kind:     hidden_block_count_x
      - .offset:         1300
        .size:           4
        .value_kind:     hidden_block_count_y
      - .offset:         1304
        .size:           4
        .value_kind:     hidden_block_count_z
      - .offset:         1308
        .size:           2
        .value_kind:     hidden_group_size_x
      - .offset:         1310
        .size:           2
        .value_kind:     hidden_group_size_y
      - .offset:         1312
        .size:           2
        .value_kind:     hidden_group_size_z
      - .offset:         1314
        .size:           2
        .value_kind:     hidden_remainder_x
      - .offset:         1316
        .size:           2
        .value_kind:     hidden_remainder_y
      - .offset:         1318
        .size:           2
        .value_kind:     hidden_remainder_z
      - .offset:         1336
        .size:           8
        .value_kind:     hidden_global_offset_x
      - .offset:         1344
        .size:           8
        .value_kind:     hidden_global_offset_y
      - .offset:         1352
        .size:           8
        .value_kind:     hidden_global_offset_z
      - .offset:         1360
        .size:           2
        .value_kind:     hidden_grid_dims
    .group_segment_fixed_size: 0
    .kernarg_segment_align: 8
    .kernarg_segment_size: 1552
    .language:       OpenCL C
    .language_version:
      - 2
      - 0
    .max_flat_workgroup_size: 256
    .name:           _ZN2at6native12_GLOBAL__N_120fused_dropout_kernelIN3c104HalfEfmLi1ELi1EhEEvNS_4cuda6detail10TensorInfoIKT_T1_EENS7_IS8_SA_EENS7_IT4_SA_EESA_T0_NS_15PhiloxCudaStateE
    .private_segment_fixed_size: 0
    .sgpr_count:     29
    .sgpr_spill_count: 0
    .symbol:         _ZN2at6native12_GLOBAL__N_120fused_dropout_kernelIN3c104HalfEfmLi1ELi1EhEEvNS_4cuda6detail10TensorInfoIKT_T1_EENS7_IS8_SA_EENS7_IT4_SA_EESA_T0_NS_15PhiloxCudaStateE.kd
    .uniform_work_group_size: 1
    .uses_dynamic_stack: false
    .vgpr_count:     69
    .vgpr_spill_count: 0
    .wavefront_size: 32
    .workgroup_processor_mode: 1
  - .args:
      - .offset:         0
        .size:           416
        .value_kind:     by_value
      - .offset:         416
        .size:           416
        .value_kind:     by_value
      - .offset:         832
        .size:           416
        .value_kind:     by_value
      - .offset:         1248
        .size:           8
        .value_kind:     by_value
      - .offset:         1256
        .size:           4
        .value_kind:     by_value
      - .offset:         1264
        .size:           32
        .value_kind:     by_value
      - .offset:         1296
        .size:           4
        .value_kind:     hidden_block_count_x
      - .offset:         1300
        .size:           4
        .value_kind:     hidden_block_count_y
      - .offset:         1304
        .size:           4
        .value_kind:     hidden_block_count_z
      - .offset:         1308
        .size:           2
        .value_kind:     hidden_group_size_x
      - .offset:         1310
        .size:           2
        .value_kind:     hidden_group_size_y
      - .offset:         1312
        .size:           2
        .value_kind:     hidden_group_size_z
      - .offset:         1314
        .size:           2
        .value_kind:     hidden_remainder_x
      - .offset:         1316
        .size:           2
        .value_kind:     hidden_remainder_y
      - .offset:         1318
        .size:           2
        .value_kind:     hidden_remainder_z
      - .offset:         1336
        .size:           8
        .value_kind:     hidden_global_offset_x
      - .offset:         1344
        .size:           8
        .value_kind:     hidden_global_offset_y
      - .offset:         1352
        .size:           8
        .value_kind:     hidden_global_offset_z
      - .offset:         1360
        .size:           2
        .value_kind:     hidden_grid_dims
    .group_segment_fixed_size: 0
    .kernarg_segment_align: 8
    .kernarg_segment_size: 1552
    .language:       OpenCL C
    .language_version:
      - 2
      - 0
    .max_flat_workgroup_size: 256
    .name:           _ZN2at6native12_GLOBAL__N_120fused_dropout_kernelIN3c104HalfEfmLin1ELi1EhEEvNS_4cuda6detail10TensorInfoIKT_T1_EENS7_IS8_SA_EENS7_IT4_SA_EESA_T0_NS_15PhiloxCudaStateE
    .private_segment_fixed_size: 0
    .sgpr_count:     40
    .sgpr_spill_count: 0
    .symbol:         _ZN2at6native12_GLOBAL__N_120fused_dropout_kernelIN3c104HalfEfmLin1ELi1EhEEvNS_4cuda6detail10TensorInfoIKT_T1_EENS7_IS8_SA_EENS7_IT4_SA_EESA_T0_NS_15PhiloxCudaStateE.kd
    .uniform_work_group_size: 1
    .uses_dynamic_stack: false
    .vgpr_count:     60
    .vgpr_spill_count: 0
    .wavefront_size: 32
    .workgroup_processor_mode: 1
  - .args:
      - .offset:         0
        .size:           416
        .value_kind:     by_value
      - .offset:         416
        .size:           416
        .value_kind:     by_value
      - .offset:         832
        .size:           416
        .value_kind:     by_value
      - .offset:         1248
        .size:           8
        .value_kind:     by_value
      - .offset:         1256
        .size:           4
        .value_kind:     by_value
      - .offset:         1264
        .size:           32
        .value_kind:     by_value
      - .offset:         1296
        .size:           4
        .value_kind:     hidden_block_count_x
      - .offset:         1300
        .size:           4
        .value_kind:     hidden_block_count_y
      - .offset:         1304
        .size:           4
        .value_kind:     hidden_block_count_z
      - .offset:         1308
        .size:           2
        .value_kind:     hidden_group_size_x
      - .offset:         1310
        .size:           2
        .value_kind:     hidden_group_size_y
      - .offset:         1312
        .size:           2
        .value_kind:     hidden_group_size_z
      - .offset:         1314
        .size:           2
        .value_kind:     hidden_remainder_x
      - .offset:         1316
        .size:           2
        .value_kind:     hidden_remainder_y
      - .offset:         1318
        .size:           2
        .value_kind:     hidden_remainder_z
      - .offset:         1336
        .size:           8
        .value_kind:     hidden_global_offset_x
      - .offset:         1344
        .size:           8
        .value_kind:     hidden_global_offset_y
      - .offset:         1352
        .size:           8
        .value_kind:     hidden_global_offset_z
      - .offset:         1360
        .size:           2
        .value_kind:     hidden_grid_dims
    .group_segment_fixed_size: 0
    .kernarg_segment_align: 8
    .kernarg_segment_size: 1552
    .language:       OpenCL C
    .language_version:
      - 2
      - 0
    .max_flat_workgroup_size: 256
    .name:           _ZN2at6native12_GLOBAL__N_120fused_dropout_kernelIN3c104HalfEfmLin1ELin1EhEEvNS_4cuda6detail10TensorInfoIKT_T1_EENS7_IS8_SA_EENS7_IT4_SA_EESA_T0_NS_15PhiloxCudaStateE
    .private_segment_fixed_size: 0
    .sgpr_count:     44
    .sgpr_spill_count: 0
    .symbol:         _ZN2at6native12_GLOBAL__N_120fused_dropout_kernelIN3c104HalfEfmLin1ELin1EhEEvNS_4cuda6detail10TensorInfoIKT_T1_EENS7_IS8_SA_EENS7_IT4_SA_EESA_T0_NS_15PhiloxCudaStateE.kd
    .uniform_work_group_size: 1
    .uses_dynamic_stack: false
    .vgpr_count:     61
    .vgpr_spill_count: 0
    .wavefront_size: 32
    .workgroup_processor_mode: 1
  - .args:
      - .offset:         0
        .size:           416
        .value_kind:     by_value
      - .offset:         416
        .size:           416
        .value_kind:     by_value
      - .offset:         832
        .size:           416
        .value_kind:     by_value
      - .offset:         1248
        .size:           8
        .value_kind:     by_value
      - .offset:         1256
        .size:           4
        .value_kind:     by_value
      - .offset:         1264
        .size:           32
        .value_kind:     by_value
      - .offset:         1296
        .size:           4
        .value_kind:     hidden_block_count_x
      - .offset:         1300
        .size:           4
        .value_kind:     hidden_block_count_y
      - .offset:         1304
        .size:           4
        .value_kind:     hidden_block_count_z
      - .offset:         1308
        .size:           2
        .value_kind:     hidden_group_size_x
      - .offset:         1310
        .size:           2
        .value_kind:     hidden_group_size_y
      - .offset:         1312
        .size:           2
        .value_kind:     hidden_group_size_z
      - .offset:         1314
        .size:           2
        .value_kind:     hidden_remainder_x
      - .offset:         1316
        .size:           2
        .value_kind:     hidden_remainder_y
      - .offset:         1318
        .size:           2
        .value_kind:     hidden_remainder_z
      - .offset:         1336
        .size:           8
        .value_kind:     hidden_global_offset_x
      - .offset:         1344
        .size:           8
        .value_kind:     hidden_global_offset_y
      - .offset:         1352
        .size:           8
        .value_kind:     hidden_global_offset_z
      - .offset:         1360
        .size:           2
        .value_kind:     hidden_grid_dims
    .group_segment_fixed_size: 0
    .kernarg_segment_align: 8
    .kernarg_segment_size: 1552
    .language:       OpenCL C
    .language_version:
      - 2
      - 0
    .max_flat_workgroup_size: 256
    .name:           _ZN2at6native12_GLOBAL__N_124fused_dropout_kernel_vecIN3c108BFloat16EfmLi1ELi16EhEEvNS_4cuda6detail10TensorInfoIKT_T1_EENS7_IS8_SA_EENS7_IT4_SA_EESA_T0_NS_15PhiloxCudaStateE
    .private_segment_fixed_size: 0
    .sgpr_count:     32
    .sgpr_spill_count: 0
    .symbol:         _ZN2at6native12_GLOBAL__N_124fused_dropout_kernel_vecIN3c108BFloat16EfmLi1ELi16EhEEvNS_4cuda6detail10TensorInfoIKT_T1_EENS7_IS8_SA_EENS7_IT4_SA_EESA_T0_NS_15PhiloxCudaStateE.kd
    .uniform_work_group_size: 1
    .uses_dynamic_stack: false
    .vgpr_count:     78
    .vgpr_spill_count: 0
    .wavefront_size: 32
    .workgroup_processor_mode: 1
  - .args:
      - .offset:         0
        .size:           416
        .value_kind:     by_value
      - .offset:         416
        .size:           416
        .value_kind:     by_value
      - .offset:         832
        .size:           416
        .value_kind:     by_value
      - .offset:         1248
        .size:           8
        .value_kind:     by_value
      - .offset:         1256
        .size:           4
        .value_kind:     by_value
      - .offset:         1264
        .size:           32
        .value_kind:     by_value
      - .offset:         1296
        .size:           4
        .value_kind:     hidden_block_count_x
      - .offset:         1300
        .size:           4
        .value_kind:     hidden_block_count_y
      - .offset:         1304
        .size:           4
        .value_kind:     hidden_block_count_z
      - .offset:         1308
        .size:           2
        .value_kind:     hidden_group_size_x
      - .offset:         1310
        .size:           2
        .value_kind:     hidden_group_size_y
      - .offset:         1312
        .size:           2
        .value_kind:     hidden_group_size_z
      - .offset:         1314
        .size:           2
        .value_kind:     hidden_remainder_x
      - .offset:         1316
        .size:           2
        .value_kind:     hidden_remainder_y
      - .offset:         1318
        .size:           2
        .value_kind:     hidden_remainder_z
      - .offset:         1336
        .size:           8
        .value_kind:     hidden_global_offset_x
      - .offset:         1344
        .size:           8
        .value_kind:     hidden_global_offset_y
      - .offset:         1352
        .size:           8
        .value_kind:     hidden_global_offset_z
      - .offset:         1360
        .size:           2
        .value_kind:     hidden_grid_dims
    .group_segment_fixed_size: 0
    .kernarg_segment_align: 8
    .kernarg_segment_size: 1552
    .language:       OpenCL C
    .language_version:
      - 2
      - 0
    .max_flat_workgroup_size: 256
    .name:           _ZN2at6native12_GLOBAL__N_124fused_dropout_kernel_vecIN3c108BFloat16EfmLi1ELi8EhEEvNS_4cuda6detail10TensorInfoIKT_T1_EENS7_IS8_SA_EENS7_IT4_SA_EESA_T0_NS_15PhiloxCudaStateE
    .private_segment_fixed_size: 0
    .sgpr_count:     24
    .sgpr_spill_count: 0
    .symbol:         _ZN2at6native12_GLOBAL__N_124fused_dropout_kernel_vecIN3c108BFloat16EfmLi1ELi8EhEEvNS_4cuda6detail10TensorInfoIKT_T1_EENS7_IS8_SA_EENS7_IT4_SA_EESA_T0_NS_15PhiloxCudaStateE.kd
    .uniform_work_group_size: 1
    .uses_dynamic_stack: false
    .vgpr_count:     58
    .vgpr_spill_count: 0
    .wavefront_size: 32
    .workgroup_processor_mode: 1
  - .args:
      - .offset:         0
        .size:           416
        .value_kind:     by_value
      - .offset:         416
        .size:           416
        .value_kind:     by_value
      - .offset:         832
        .size:           416
        .value_kind:     by_value
      - .offset:         1248
        .size:           8
        .value_kind:     by_value
      - .offset:         1256
        .size:           4
        .value_kind:     by_value
      - .offset:         1264
        .size:           32
        .value_kind:     by_value
      - .offset:         1296
        .size:           4
        .value_kind:     hidden_block_count_x
      - .offset:         1300
        .size:           4
        .value_kind:     hidden_block_count_y
      - .offset:         1304
        .size:           4
        .value_kind:     hidden_block_count_z
      - .offset:         1308
        .size:           2
        .value_kind:     hidden_group_size_x
      - .offset:         1310
        .size:           2
        .value_kind:     hidden_group_size_y
      - .offset:         1312
        .size:           2
        .value_kind:     hidden_group_size_z
      - .offset:         1314
        .size:           2
        .value_kind:     hidden_remainder_x
      - .offset:         1316
        .size:           2
        .value_kind:     hidden_remainder_y
      - .offset:         1318
        .size:           2
        .value_kind:     hidden_remainder_z
      - .offset:         1336
        .size:           8
        .value_kind:     hidden_global_offset_x
      - .offset:         1344
        .size:           8
        .value_kind:     hidden_global_offset_y
      - .offset:         1352
        .size:           8
        .value_kind:     hidden_global_offset_z
      - .offset:         1360
        .size:           2
        .value_kind:     hidden_grid_dims
    .group_segment_fixed_size: 0
    .kernarg_segment_align: 8
    .kernarg_segment_size: 1552
    .language:       OpenCL C
    .language_version:
      - 2
      - 0
    .max_flat_workgroup_size: 256
    .name:           _ZN2at6native12_GLOBAL__N_124fused_dropout_kernel_vecIN3c108BFloat16EfmLi1ELi4EhEEvNS_4cuda6detail10TensorInfoIKT_T1_EENS7_IS8_SA_EENS7_IT4_SA_EESA_T0_NS_15PhiloxCudaStateE
    .private_segment_fixed_size: 0
    .sgpr_count:     19
    .sgpr_spill_count: 0
    .symbol:         _ZN2at6native12_GLOBAL__N_124fused_dropout_kernel_vecIN3c108BFloat16EfmLi1ELi4EhEEvNS_4cuda6detail10TensorInfoIKT_T1_EENS7_IS8_SA_EENS7_IT4_SA_EESA_T0_NS_15PhiloxCudaStateE.kd
    .uniform_work_group_size: 1
    .uses_dynamic_stack: false
    .vgpr_count:     48
    .vgpr_spill_count: 0
    .wavefront_size: 32
    .workgroup_processor_mode: 1
  - .args:
      - .offset:         0
        .size:           416
        .value_kind:     by_value
      - .offset:         416
        .size:           416
        .value_kind:     by_value
      - .offset:         832
        .size:           416
        .value_kind:     by_value
      - .offset:         1248
        .size:           8
        .value_kind:     by_value
      - .offset:         1256
        .size:           4
        .value_kind:     by_value
      - .offset:         1264
        .size:           32
        .value_kind:     by_value
      - .offset:         1296
        .size:           4
        .value_kind:     hidden_block_count_x
      - .offset:         1300
        .size:           4
        .value_kind:     hidden_block_count_y
      - .offset:         1304
        .size:           4
        .value_kind:     hidden_block_count_z
      - .offset:         1308
        .size:           2
        .value_kind:     hidden_group_size_x
      - .offset:         1310
        .size:           2
        .value_kind:     hidden_group_size_y
      - .offset:         1312
        .size:           2
        .value_kind:     hidden_group_size_z
      - .offset:         1314
        .size:           2
        .value_kind:     hidden_remainder_x
      - .offset:         1316
        .size:           2
        .value_kind:     hidden_remainder_y
      - .offset:         1318
        .size:           2
        .value_kind:     hidden_remainder_z
      - .offset:         1336
        .size:           8
        .value_kind:     hidden_global_offset_x
      - .offset:         1344
        .size:           8
        .value_kind:     hidden_global_offset_y
      - .offset:         1352
        .size:           8
        .value_kind:     hidden_global_offset_z
      - .offset:         1360
        .size:           2
        .value_kind:     hidden_grid_dims
    .group_segment_fixed_size: 0
    .kernarg_segment_align: 8
    .kernarg_segment_size: 1552
    .language:       OpenCL C
    .language_version:
      - 2
      - 0
    .max_flat_workgroup_size: 256
    .name:           _ZN2at6native12_GLOBAL__N_124fused_dropout_kernel_vecIN3c108BFloat16EfmLi1ELi2EhEEvNS_4cuda6detail10TensorInfoIKT_T1_EENS7_IS8_SA_EENS7_IT4_SA_EESA_T0_NS_15PhiloxCudaStateE
    .private_segment_fixed_size: 0
    .sgpr_count:     18
    .sgpr_spill_count: 0
    .symbol:         _ZN2at6native12_GLOBAL__N_124fused_dropout_kernel_vecIN3c108BFloat16EfmLi1ELi2EhEEvNS_4cuda6detail10TensorInfoIKT_T1_EENS7_IS8_SA_EENS7_IT4_SA_EESA_T0_NS_15PhiloxCudaStateE.kd
    .uniform_work_group_size: 1
    .uses_dynamic_stack: false
    .vgpr_count:     44
    .vgpr_spill_count: 0
    .wavefront_size: 32
    .workgroup_processor_mode: 1
  - .args:
      - .offset:         0
        .size:           416
        .value_kind:     by_value
      - .offset:         416
        .size:           416
        .value_kind:     by_value
      - .offset:         832
        .size:           416
        .value_kind:     by_value
      - .offset:         1248
        .size:           8
        .value_kind:     by_value
      - .offset:         1256
        .size:           4
        .value_kind:     by_value
      - .offset:         1264
        .size:           32
        .value_kind:     by_value
      - .offset:         1296
        .size:           4
        .value_kind:     hidden_block_count_x
      - .offset:         1300
        .size:           4
        .value_kind:     hidden_block_count_y
      - .offset:         1304
        .size:           4
        .value_kind:     hidden_block_count_z
      - .offset:         1308
        .size:           2
        .value_kind:     hidden_group_size_x
      - .offset:         1310
        .size:           2
        .value_kind:     hidden_group_size_y
      - .offset:         1312
        .size:           2
        .value_kind:     hidden_group_size_z
      - .offset:         1314
        .size:           2
        .value_kind:     hidden_remainder_x
      - .offset:         1316
        .size:           2
        .value_kind:     hidden_remainder_y
      - .offset:         1318
        .size:           2
        .value_kind:     hidden_remainder_z
      - .offset:         1336
        .size:           8
        .value_kind:     hidden_global_offset_x
      - .offset:         1344
        .size:           8
        .value_kind:     hidden_global_offset_y
      - .offset:         1352
        .size:           8
        .value_kind:     hidden_global_offset_z
      - .offset:         1360
        .size:           2
        .value_kind:     hidden_grid_dims
    .group_segment_fixed_size: 0
    .kernarg_segment_align: 8
    .kernarg_segment_size: 1552
    .language:       OpenCL C
    .language_version:
      - 2
      - 0
    .max_flat_workgroup_size: 256
    .name:           _ZN2at6native12_GLOBAL__N_120fused_dropout_kernelIN3c108BFloat16EfmLi1ELi1EhEEvNS_4cuda6detail10TensorInfoIKT_T1_EENS7_IS8_SA_EENS7_IT4_SA_EESA_T0_NS_15PhiloxCudaStateE
    .private_segment_fixed_size: 0
    .sgpr_count:     29
    .sgpr_spill_count: 0
    .symbol:         _ZN2at6native12_GLOBAL__N_120fused_dropout_kernelIN3c108BFloat16EfmLi1ELi1EhEEvNS_4cuda6detail10TensorInfoIKT_T1_EENS7_IS8_SA_EENS7_IT4_SA_EESA_T0_NS_15PhiloxCudaStateE.kd
    .uniform_work_group_size: 1
    .uses_dynamic_stack: false
    .vgpr_count:     69
    .vgpr_spill_count: 0
    .wavefront_size: 32
    .workgroup_processor_mode: 1
  - .args:
      - .offset:         0
        .size:           416
        .value_kind:     by_value
      - .offset:         416
        .size:           416
        .value_kind:     by_value
      - .offset:         832
        .size:           416
        .value_kind:     by_value
      - .offset:         1248
        .size:           8
        .value_kind:     by_value
      - .offset:         1256
        .size:           4
        .value_kind:     by_value
      - .offset:         1264
        .size:           32
        .value_kind:     by_value
      - .offset:         1296
        .size:           4
        .value_kind:     hidden_block_count_x
      - .offset:         1300
        .size:           4
        .value_kind:     hidden_block_count_y
      - .offset:         1304
        .size:           4
        .value_kind:     hidden_block_count_z
      - .offset:         1308
        .size:           2
        .value_kind:     hidden_group_size_x
      - .offset:         1310
        .size:           2
        .value_kind:     hidden_group_size_y
      - .offset:         1312
        .size:           2
        .value_kind:     hidden_group_size_z
      - .offset:         1314
        .size:           2
        .value_kind:     hidden_remainder_x
      - .offset:         1316
        .size:           2
        .value_kind:     hidden_remainder_y
      - .offset:         1318
        .size:           2
        .value_kind:     hidden_remainder_z
      - .offset:         1336
        .size:           8
        .value_kind:     hidden_global_offset_x
      - .offset:         1344
        .size:           8
        .value_kind:     hidden_global_offset_y
      - .offset:         1352
        .size:           8
        .value_kind:     hidden_global_offset_z
      - .offset:         1360
        .size:           2
        .value_kind:     hidden_grid_dims
    .group_segment_fixed_size: 0
    .kernarg_segment_align: 8
    .kernarg_segment_size: 1552
    .language:       OpenCL C
    .language_version:
      - 2
      - 0
    .max_flat_workgroup_size: 256
    .name:           _ZN2at6native12_GLOBAL__N_120fused_dropout_kernelIN3c108BFloat16EfmLin1ELi1EhEEvNS_4cuda6detail10TensorInfoIKT_T1_EENS7_IS8_SA_EENS7_IT4_SA_EESA_T0_NS_15PhiloxCudaStateE
    .private_segment_fixed_size: 0
    .sgpr_count:     40
    .sgpr_spill_count: 0
    .symbol:         _ZN2at6native12_GLOBAL__N_120fused_dropout_kernelIN3c108BFloat16EfmLin1ELi1EhEEvNS_4cuda6detail10TensorInfoIKT_T1_EENS7_IS8_SA_EENS7_IT4_SA_EESA_T0_NS_15PhiloxCudaStateE.kd
    .uniform_work_group_size: 1
    .uses_dynamic_stack: false
    .vgpr_count:     60
    .vgpr_spill_count: 0
    .wavefront_size: 32
    .workgroup_processor_mode: 1
  - .args:
      - .offset:         0
        .size:           416
        .value_kind:     by_value
      - .offset:         416
        .size:           416
        .value_kind:     by_value
      - .offset:         832
        .size:           416
        .value_kind:     by_value
      - .offset:         1248
        .size:           8
        .value_kind:     by_value
      - .offset:         1256
        .size:           4
        .value_kind:     by_value
      - .offset:         1264
        .size:           32
        .value_kind:     by_value
      - .offset:         1296
        .size:           4
        .value_kind:     hidden_block_count_x
      - .offset:         1300
        .size:           4
        .value_kind:     hidden_block_count_y
      - .offset:         1304
        .size:           4
        .value_kind:     hidden_block_count_z
      - .offset:         1308
        .size:           2
        .value_kind:     hidden_group_size_x
      - .offset:         1310
        .size:           2
        .value_kind:     hidden_group_size_y
      - .offset:         1312
        .size:           2
        .value_kind:     hidden_group_size_z
      - .offset:         1314
        .size:           2
        .value_kind:     hidden_remainder_x
      - .offset:         1316
        .size:           2
        .value_kind:     hidden_remainder_y
      - .offset:         1318
        .size:           2
        .value_kind:     hidden_remainder_z
      - .offset:         1336
        .size:           8
        .value_kind:     hidden_global_offset_x
      - .offset:         1344
        .size:           8
        .value_kind:     hidden_global_offset_y
      - .offset:         1352
        .size:           8
        .value_kind:     hidden_global_offset_z
      - .offset:         1360
        .size:           2
        .value_kind:     hidden_grid_dims
    .group_segment_fixed_size: 0
    .kernarg_segment_align: 8
    .kernarg_segment_size: 1552
    .language:       OpenCL C
    .language_version:
      - 2
      - 0
    .max_flat_workgroup_size: 256
    .name:           _ZN2at6native12_GLOBAL__N_120fused_dropout_kernelIN3c108BFloat16EfmLin1ELin1EhEEvNS_4cuda6detail10TensorInfoIKT_T1_EENS7_IS8_SA_EENS7_IT4_SA_EESA_T0_NS_15PhiloxCudaStateE
    .private_segment_fixed_size: 0
    .sgpr_count:     44
    .sgpr_spill_count: 0
    .symbol:         _ZN2at6native12_GLOBAL__N_120fused_dropout_kernelIN3c108BFloat16EfmLin1ELin1EhEEvNS_4cuda6detail10TensorInfoIKT_T1_EENS7_IS8_SA_EENS7_IT4_SA_EESA_T0_NS_15PhiloxCudaStateE.kd
    .uniform_work_group_size: 1
    .uses_dynamic_stack: false
    .vgpr_count:     61
    .vgpr_spill_count: 0
    .wavefront_size: 32
    .workgroup_processor_mode: 1
  - .args:
      - .offset:         0
        .size:           4
        .value_kind:     by_value
      - .offset:         8
        .size:           8
        .value_kind:     by_value
      - .offset:         16
        .size:           24
        .value_kind:     by_value
    .group_segment_fixed_size: 0
    .kernarg_segment_align: 8
    .kernarg_segment_size: 40
    .language:       OpenCL C
    .language_version:
      - 2
      - 0
    .max_flat_workgroup_size: 256
    .name:           _ZN2at6native29vectorized_elementwise_kernelILi16EZNS0_12_GLOBAL__N_119masked_scale_kernelIbddEEvRNS_6TensorERKS4_S7_T1_EUldbE_St5arrayIPcLm3EEEEviT0_S8_
    .private_segment_fixed_size: 0
    .sgpr_count:     20
    .sgpr_spill_count: 0
    .symbol:         _ZN2at6native29vectorized_elementwise_kernelILi16EZNS0_12_GLOBAL__N_119masked_scale_kernelIbddEEvRNS_6TensorERKS4_S7_T1_EUldbE_St5arrayIPcLm3EEEEviT0_S8_.kd
    .uniform_work_group_size: 1
    .uses_dynamic_stack: false
    .vgpr_count:     28
    .vgpr_spill_count: 0
    .wavefront_size: 32
    .workgroup_processor_mode: 1
  - .args:
      - .offset:         0
        .size:           4
        .value_kind:     by_value
      - .offset:         8
        .size:           8
        .value_kind:     by_value
      - .offset:         16
        .size:           24
        .value_kind:     by_value
    .group_segment_fixed_size: 0
    .kernarg_segment_align: 8
    .kernarg_segment_size: 40
    .language:       OpenCL C
    .language_version:
      - 2
      - 0
    .max_flat_workgroup_size: 256
    .name:           _ZN2at6native29vectorized_elementwise_kernelILi8EZNS0_12_GLOBAL__N_119masked_scale_kernelIbddEEvRNS_6TensorERKS4_S7_T1_EUldbE_St5arrayIPcLm3EEEEviT0_S8_
    .private_segment_fixed_size: 0
    .sgpr_count:     20
    .sgpr_spill_count: 0
    .symbol:         _ZN2at6native29vectorized_elementwise_kernelILi8EZNS0_12_GLOBAL__N_119masked_scale_kernelIbddEEvRNS_6TensorERKS4_S7_T1_EUldbE_St5arrayIPcLm3EEEEviT0_S8_.kd
    .uniform_work_group_size: 1
    .uses_dynamic_stack: false
    .vgpr_count:     28
    .vgpr_spill_count: 0
    .wavefront_size: 32
    .workgroup_processor_mode: 1
  - .args:
      - .offset:         0
        .size:           4
        .value_kind:     by_value
      - .offset:         8
        .size:           8
        .value_kind:     by_value
      - .offset:         16
        .size:           24
        .value_kind:     by_value
    .group_segment_fixed_size: 0
    .kernarg_segment_align: 8
    .kernarg_segment_size: 40
    .language:       OpenCL C
    .language_version:
      - 2
      - 0
    .max_flat_workgroup_size: 256
    .name:           _ZN2at6native29vectorized_elementwise_kernelILi4EZNS0_12_GLOBAL__N_119masked_scale_kernelIbddEEvRNS_6TensorERKS4_S7_T1_EUldbE_St5arrayIPcLm3EEEEviT0_S8_
    .private_segment_fixed_size: 0
    .sgpr_count:     20
    .sgpr_spill_count: 0
    .symbol:         _ZN2at6native29vectorized_elementwise_kernelILi4EZNS0_12_GLOBAL__N_119masked_scale_kernelIbddEEvRNS_6TensorERKS4_S7_T1_EUldbE_St5arrayIPcLm3EEEEviT0_S8_.kd
    .uniform_work_group_size: 1
    .uses_dynamic_stack: false
    .vgpr_count:     28
    .vgpr_spill_count: 0
    .wavefront_size: 32
    .workgroup_processor_mode: 1
  - .args:
      - .offset:         0
        .size:           4
        .value_kind:     by_value
      - .offset:         8
        .size:           8
        .value_kind:     by_value
      - .offset:         16
        .size:           24
        .value_kind:     by_value
    .group_segment_fixed_size: 0
    .kernarg_segment_align: 8
    .kernarg_segment_size: 40
    .language:       OpenCL C
    .language_version:
      - 2
      - 0
    .max_flat_workgroup_size: 256
    .name:           _ZN2at6native29vectorized_elementwise_kernelILi2EZNS0_12_GLOBAL__N_119masked_scale_kernelIbddEEvRNS_6TensorERKS4_S7_T1_EUldbE_St5arrayIPcLm3EEEEviT0_S8_
    .private_segment_fixed_size: 0
    .sgpr_count:     20
    .sgpr_spill_count: 0
    .symbol:         _ZN2at6native29vectorized_elementwise_kernelILi2EZNS0_12_GLOBAL__N_119masked_scale_kernelIbddEEvRNS_6TensorERKS4_S7_T1_EUldbE_St5arrayIPcLm3EEEEviT0_S8_.kd
    .uniform_work_group_size: 1
    .uses_dynamic_stack: false
    .vgpr_count:     28
    .vgpr_spill_count: 0
    .wavefront_size: 32
    .workgroup_processor_mode: 1
  - .args:
      - .offset:         0
        .size:           4
        .value_kind:     by_value
      - .offset:         8
        .size:           8
        .value_kind:     by_value
      - .offset:         16
        .size:           24
        .value_kind:     by_value
      - .offset:         40
        .size:           1
        .value_kind:     by_value
      - .offset:         41
        .size:           1
        .value_kind:     by_value
      - .offset:         42
        .size:           1
        .value_kind:     by_value
      - .offset:         43
        .size:           1
        .value_kind:     by_value
    .group_segment_fixed_size: 0
    .kernarg_segment_align: 8
    .kernarg_segment_size: 44
    .language:       OpenCL C
    .language_version:
      - 2
      - 0
    .max_flat_workgroup_size: 256
    .name:           _ZN2at6native27unrolled_elementwise_kernelIZNS0_12_GLOBAL__N_119masked_scale_kernelIbddEEvRNS_6TensorERKS4_S7_T1_EUldbE_St5arrayIPcLm3EELi4E23TrivialOffsetCalculatorILi2EjESD_ILi1EjENS0_6memory15LoadWithoutCastENSG_16StoreWithoutCastEEEviT_T0_T2_T3_T4_T5_
    .private_segment_fixed_size: 0
    .sgpr_count:     18
    .sgpr_spill_count: 0
    .symbol:         _ZN2at6native27unrolled_elementwise_kernelIZNS0_12_GLOBAL__N_119masked_scale_kernelIbddEEvRNS_6TensorERKS4_S7_T1_EUldbE_St5arrayIPcLm3EELi4E23TrivialOffsetCalculatorILi2EjESD_ILi1EjENS0_6memory15LoadWithoutCastENSG_16StoreWithoutCastEEEviT_T0_T2_T3_T4_T5_.kd
    .uniform_work_group_size: 1
    .uses_dynamic_stack: false
    .vgpr_count:     28
    .vgpr_spill_count: 0
    .wavefront_size: 32
    .workgroup_processor_mode: 1
  - .args:
      - .offset:         0
        .size:           4
        .value_kind:     by_value
      - .offset:         8
        .size:           424
        .value_kind:     by_value
    .group_segment_fixed_size: 0
    .kernarg_segment_align: 8
    .kernarg_segment_size: 432
    .language:       OpenCL C
    .language_version:
      - 2
      - 0
    .max_flat_workgroup_size: 128
    .name:           _ZN2at6native32elementwise_kernel_manual_unrollILi128ELi4EZNS0_22gpu_kernel_impl_nocastIZNS0_12_GLOBAL__N_119masked_scale_kernelIbddEEvRNS_6TensorERKS5_S8_T1_EUldbE_EEvRNS_18TensorIteratorBaseERKT_EUlibE_EEviS9_
    .private_segment_fixed_size: 0
    .sgpr_count:     48
    .sgpr_spill_count: 0
    .symbol:         _ZN2at6native32elementwise_kernel_manual_unrollILi128ELi4EZNS0_22gpu_kernel_impl_nocastIZNS0_12_GLOBAL__N_119masked_scale_kernelIbddEEvRNS_6TensorERKS5_S8_T1_EUldbE_EEvRNS_18TensorIteratorBaseERKT_EUlibE_EEviS9_.kd
    .uniform_work_group_size: 1
    .uses_dynamic_stack: false
    .vgpr_count:     20
    .vgpr_spill_count: 0
    .wavefront_size: 32
    .workgroup_processor_mode: 1
  - .args:
      - .offset:         0
        .size:           4
        .value_kind:     by_value
      - .offset:         8
        .size:           56
        .value_kind:     by_value
    .group_segment_fixed_size: 0
    .kernarg_segment_align: 8
    .kernarg_segment_size: 64
    .language:       OpenCL C
    .language_version:
      - 2
      - 0
    .max_flat_workgroup_size: 128
    .name:           _ZN2at6native32elementwise_kernel_manual_unrollILi128ELi4EZNS0_15gpu_kernel_implIZNS0_12_GLOBAL__N_119masked_scale_kernelIbddEEvRNS_6TensorERKS5_S8_T1_EUldbE_EEvRNS_18TensorIteratorBaseERKT_EUlibE_EEviS9_
    .private_segment_fixed_size: 0
    .sgpr_count:     39
    .sgpr_spill_count: 0
    .symbol:         _ZN2at6native32elementwise_kernel_manual_unrollILi128ELi4EZNS0_15gpu_kernel_implIZNS0_12_GLOBAL__N_119masked_scale_kernelIbddEEvRNS_6TensorERKS5_S8_T1_EUldbE_EEvRNS_18TensorIteratorBaseERKT_EUlibE_EEviS9_.kd
    .uniform_work_group_size: 1
    .uses_dynamic_stack: false
    .vgpr_count:     18
    .vgpr_spill_count: 0
    .wavefront_size: 32
    .workgroup_processor_mode: 1
  - .args:
      - .offset:         0
        .size:           4
        .value_kind:     by_value
      - .offset:         8
        .size:           432
        .value_kind:     by_value
    .group_segment_fixed_size: 0
    .kernarg_segment_align: 8
    .kernarg_segment_size: 440
    .language:       OpenCL C
    .language_version:
      - 2
      - 0
    .max_flat_workgroup_size: 128
    .name:           _ZN2at6native32elementwise_kernel_manual_unrollILi128ELi4EZNS0_15gpu_kernel_implIZNS0_12_GLOBAL__N_119masked_scale_kernelIbddEEvRNS_6TensorERKS5_S8_T1_EUldbE_EEvRNS_18TensorIteratorBaseERKT_EUlibE0_EEviS9_
    .private_segment_fixed_size: 0
    .sgpr_count:     64
    .sgpr_spill_count: 0
    .symbol:         _ZN2at6native32elementwise_kernel_manual_unrollILi128ELi4EZNS0_15gpu_kernel_implIZNS0_12_GLOBAL__N_119masked_scale_kernelIbddEEvRNS_6TensorERKS5_S8_T1_EUldbE_EEvRNS_18TensorIteratorBaseERKT_EUlibE0_EEviS9_.kd
    .uniform_work_group_size: 1
    .uses_dynamic_stack: false
    .vgpr_count:     22
    .vgpr_spill_count: 0
    .wavefront_size: 32
    .workgroup_processor_mode: 1
  - .args:
      - .offset:         0
        .size:           4
        .value_kind:     by_value
      - .offset:         4
        .size:           4
        .value_kind:     by_value
      - .offset:         8
        .size:           24
        .value_kind:     by_value
    .group_segment_fixed_size: 0
    .kernarg_segment_align: 8
    .kernarg_segment_size: 32
    .language:       OpenCL C
    .language_version:
      - 2
      - 0
    .max_flat_workgroup_size: 256
    .name:           _ZN2at6native29vectorized_elementwise_kernelILi16EZNS0_12_GLOBAL__N_119masked_scale_kernelIbffEEvRNS_6TensorERKS4_S7_T1_EUlfbE_St5arrayIPcLm3EEEEviT0_S8_
    .private_segment_fixed_size: 0
    .sgpr_count:     20
    .sgpr_spill_count: 0
    .symbol:         _ZN2at6native29vectorized_elementwise_kernelILi16EZNS0_12_GLOBAL__N_119masked_scale_kernelIbffEEvRNS_6TensorERKS4_S7_T1_EUlfbE_St5arrayIPcLm3EEEEviT0_S8_.kd
    .uniform_work_group_size: 1
    .uses_dynamic_stack: false
    .vgpr_count:     14
    .vgpr_spill_count: 0
    .wavefront_size: 32
    .workgroup_processor_mode: 1
  - .args:
      - .offset:         0
        .size:           4
        .value_kind:     by_value
      - .offset:         4
        .size:           4
        .value_kind:     by_value
      - .offset:         8
        .size:           24
        .value_kind:     by_value
    .group_segment_fixed_size: 0
    .kernarg_segment_align: 8
    .kernarg_segment_size: 32
    .language:       OpenCL C
    .language_version:
      - 2
      - 0
    .max_flat_workgroup_size: 256
    .name:           _ZN2at6native29vectorized_elementwise_kernelILi8EZNS0_12_GLOBAL__N_119masked_scale_kernelIbffEEvRNS_6TensorERKS4_S7_T1_EUlfbE_St5arrayIPcLm3EEEEviT0_S8_
    .private_segment_fixed_size: 0
    .sgpr_count:     20
    .sgpr_spill_count: 0
    .symbol:         _ZN2at6native29vectorized_elementwise_kernelILi8EZNS0_12_GLOBAL__N_119masked_scale_kernelIbffEEvRNS_6TensorERKS4_S7_T1_EUlfbE_St5arrayIPcLm3EEEEviT0_S8_.kd
    .uniform_work_group_size: 1
    .uses_dynamic_stack: false
    .vgpr_count:     14
    .vgpr_spill_count: 0
    .wavefront_size: 32
    .workgroup_processor_mode: 1
  - .args:
      - .offset:         0
        .size:           4
        .value_kind:     by_value
      - .offset:         4
        .size:           4
        .value_kind:     by_value
      - .offset:         8
        .size:           24
        .value_kind:     by_value
    .group_segment_fixed_size: 0
    .kernarg_segment_align: 8
    .kernarg_segment_size: 32
    .language:       OpenCL C
    .language_version:
      - 2
      - 0
    .max_flat_workgroup_size: 256
    .name:           _ZN2at6native29vectorized_elementwise_kernelILi4EZNS0_12_GLOBAL__N_119masked_scale_kernelIbffEEvRNS_6TensorERKS4_S7_T1_EUlfbE_St5arrayIPcLm3EEEEviT0_S8_
    .private_segment_fixed_size: 0
    .sgpr_count:     20
    .sgpr_spill_count: 0
    .symbol:         _ZN2at6native29vectorized_elementwise_kernelILi4EZNS0_12_GLOBAL__N_119masked_scale_kernelIbffEEvRNS_6TensorERKS4_S7_T1_EUlfbE_St5arrayIPcLm3EEEEviT0_S8_.kd
    .uniform_work_group_size: 1
    .uses_dynamic_stack: false
    .vgpr_count:     14
    .vgpr_spill_count: 0
    .wavefront_size: 32
    .workgroup_processor_mode: 1
  - .args:
      - .offset:         0
        .size:           4
        .value_kind:     by_value
      - .offset:         4
        .size:           4
        .value_kind:     by_value
      - .offset:         8
        .size:           24
        .value_kind:     by_value
    .group_segment_fixed_size: 0
    .kernarg_segment_align: 8
    .kernarg_segment_size: 32
    .language:       OpenCL C
    .language_version:
      - 2
      - 0
    .max_flat_workgroup_size: 256
    .name:           _ZN2at6native29vectorized_elementwise_kernelILi2EZNS0_12_GLOBAL__N_119masked_scale_kernelIbffEEvRNS_6TensorERKS4_S7_T1_EUlfbE_St5arrayIPcLm3EEEEviT0_S8_
    .private_segment_fixed_size: 0
    .sgpr_count:     20
    .sgpr_spill_count: 0
    .symbol:         _ZN2at6native29vectorized_elementwise_kernelILi2EZNS0_12_GLOBAL__N_119masked_scale_kernelIbffEEvRNS_6TensorERKS4_S7_T1_EUlfbE_St5arrayIPcLm3EEEEviT0_S8_.kd
    .uniform_work_group_size: 1
    .uses_dynamic_stack: false
    .vgpr_count:     14
    .vgpr_spill_count: 0
    .wavefront_size: 32
    .workgroup_processor_mode: 1
  - .args:
      - .offset:         0
        .size:           4
        .value_kind:     by_value
      - .offset:         4
        .size:           4
        .value_kind:     by_value
      - .offset:         8
        .size:           24
        .value_kind:     by_value
      - .offset:         32
        .size:           1
        .value_kind:     by_value
      - .offset:         33
        .size:           1
        .value_kind:     by_value
      - .offset:         34
        .size:           1
        .value_kind:     by_value
      - .offset:         35
        .size:           1
        .value_kind:     by_value
    .group_segment_fixed_size: 0
    .kernarg_segment_align: 8
    .kernarg_segment_size: 36
    .language:       OpenCL C
    .language_version:
      - 2
      - 0
    .max_flat_workgroup_size: 256
    .name:           _ZN2at6native27unrolled_elementwise_kernelIZNS0_12_GLOBAL__N_119masked_scale_kernelIbffEEvRNS_6TensorERKS4_S7_T1_EUlfbE_St5arrayIPcLm3EELi4E23TrivialOffsetCalculatorILi2EjESD_ILi1EjENS0_6memory15LoadWithoutCastENSG_16StoreWithoutCastEEEviT_T0_T2_T3_T4_T5_
    .private_segment_fixed_size: 0
    .sgpr_count:     18
    .sgpr_spill_count: 0
    .symbol:         _ZN2at6native27unrolled_elementwise_kernelIZNS0_12_GLOBAL__N_119masked_scale_kernelIbffEEvRNS_6TensorERKS4_S7_T1_EUlfbE_St5arrayIPcLm3EELi4E23TrivialOffsetCalculatorILi2EjESD_ILi1EjENS0_6memory15LoadWithoutCastENSG_16StoreWithoutCastEEEviT_T0_T2_T3_T4_T5_.kd
    .uniform_work_group_size: 1
    .uses_dynamic_stack: false
    .vgpr_count:     14
    .vgpr_spill_count: 0
    .wavefront_size: 32
    .workgroup_processor_mode: 1
  - .args:
      - .offset:         0
        .size:           4
        .value_kind:     by_value
      - .offset:         8
        .size:           424
        .value_kind:     by_value
    .group_segment_fixed_size: 0
    .kernarg_segment_align: 8
    .kernarg_segment_size: 432
    .language:       OpenCL C
    .language_version:
      - 2
      - 0
    .max_flat_workgroup_size: 128
    .name:           _ZN2at6native32elementwise_kernel_manual_unrollILi128ELi4EZNS0_22gpu_kernel_impl_nocastIZNS0_12_GLOBAL__N_119masked_scale_kernelIbffEEvRNS_6TensorERKS5_S8_T1_EUlfbE_EEvRNS_18TensorIteratorBaseERKT_EUlibE_EEviS9_
    .private_segment_fixed_size: 0
    .sgpr_count:     48
    .sgpr_spill_count: 0
    .symbol:         _ZN2at6native32elementwise_kernel_manual_unrollILi128ELi4EZNS0_22gpu_kernel_impl_nocastIZNS0_12_GLOBAL__N_119masked_scale_kernelIbffEEvRNS_6TensorERKS5_S8_T1_EUlfbE_EEvRNS_18TensorIteratorBaseERKT_EUlibE_EEviS9_.kd
    .uniform_work_group_size: 1
    .uses_dynamic_stack: false
    .vgpr_count:     20
    .vgpr_spill_count: 0
    .wavefront_size: 32
    .workgroup_processor_mode: 1
  - .args:
      - .offset:         0
        .size:           4
        .value_kind:     by_value
      - .offset:         8
        .size:           48
        .value_kind:     by_value
    .group_segment_fixed_size: 0
    .kernarg_segment_align: 8
    .kernarg_segment_size: 56
    .language:       OpenCL C
    .language_version:
      - 2
      - 0
    .max_flat_workgroup_size: 128
    .name:           _ZN2at6native32elementwise_kernel_manual_unrollILi128ELi4EZNS0_15gpu_kernel_implIZNS0_12_GLOBAL__N_119masked_scale_kernelIbffEEvRNS_6TensorERKS5_S8_T1_EUlfbE_EEvRNS_18TensorIteratorBaseERKT_EUlibE_EEviS9_
    .private_segment_fixed_size: 0
    .sgpr_count:     37
    .sgpr_spill_count: 0
    .symbol:         _ZN2at6native32elementwise_kernel_manual_unrollILi128ELi4EZNS0_15gpu_kernel_implIZNS0_12_GLOBAL__N_119masked_scale_kernelIbffEEvRNS_6TensorERKS5_S8_T1_EUlfbE_EEvRNS_18TensorIteratorBaseERKT_EUlibE_EEviS9_.kd
    .uniform_work_group_size: 1
    .uses_dynamic_stack: false
    .vgpr_count:     14
    .vgpr_spill_count: 0
    .wavefront_size: 32
    .workgroup_processor_mode: 1
  - .args:
      - .offset:         0
        .size:           4
        .value_kind:     by_value
      - .offset:         8
        .size:           424
        .value_kind:     by_value
    .group_segment_fixed_size: 0
    .kernarg_segment_align: 8
    .kernarg_segment_size: 432
    .language:       OpenCL C
    .language_version:
      - 2
      - 0
    .max_flat_workgroup_size: 128
    .name:           _ZN2at6native32elementwise_kernel_manual_unrollILi128ELi4EZNS0_15gpu_kernel_implIZNS0_12_GLOBAL__N_119masked_scale_kernelIbffEEvRNS_6TensorERKS5_S8_T1_EUlfbE_EEvRNS_18TensorIteratorBaseERKT_EUlibE0_EEviS9_
    .private_segment_fixed_size: 0
    .sgpr_count:     64
    .sgpr_spill_count: 0
    .symbol:         _ZN2at6native32elementwise_kernel_manual_unrollILi128ELi4EZNS0_15gpu_kernel_implIZNS0_12_GLOBAL__N_119masked_scale_kernelIbffEEvRNS_6TensorERKS5_S8_T1_EUlfbE_EEvRNS_18TensorIteratorBaseERKT_EUlibE0_EEviS9_.kd
    .uniform_work_group_size: 1
    .uses_dynamic_stack: false
    .vgpr_count:     20
    .vgpr_spill_count: 0
    .wavefront_size: 32
    .workgroup_processor_mode: 1
  - .args:
      - .offset:         0
        .size:           4
        .value_kind:     by_value
      - .offset:         4
        .size:           4
        .value_kind:     by_value
      - .offset:         8
        .size:           24
        .value_kind:     by_value
    .group_segment_fixed_size: 0
    .kernarg_segment_align: 8
    .kernarg_segment_size: 32
    .language:       OpenCL C
    .language_version:
      - 2
      - 0
    .max_flat_workgroup_size: 256
    .name:           _ZN2at6native29vectorized_elementwise_kernelILi16EZNS0_12_GLOBAL__N_119masked_scale_kernelIbN3c104HalfEfEEvRNS_6TensorERKS6_S9_T1_EUlS5_bE_St5arrayIPcLm3EEEEviT0_SA_
    .private_segment_fixed_size: 0
    .sgpr_count:     18
    .sgpr_spill_count: 0
    .symbol:         _ZN2at6native29vectorized_elementwise_kernelILi16EZNS0_12_GLOBAL__N_119masked_scale_kernelIbN3c104HalfEfEEvRNS_6TensorERKS6_S9_T1_EUlS5_bE_St5arrayIPcLm3EEEEviT0_SA_.kd
    .uniform_work_group_size: 1
    .uses_dynamic_stack: false
    .vgpr_count:     22
    .vgpr_spill_count: 0
    .wavefront_size: 32
    .workgroup_processor_mode: 1
  - .args:
      - .offset:         0
        .size:           4
        .value_kind:     by_value
      - .offset:         4
        .size:           4
        .value_kind:     by_value
      - .offset:         8
        .size:           24
        .value_kind:     by_value
    .group_segment_fixed_size: 0
    .kernarg_segment_align: 8
    .kernarg_segment_size: 32
    .language:       OpenCL C
    .language_version:
      - 2
      - 0
    .max_flat_workgroup_size: 256
    .name:           _ZN2at6native29vectorized_elementwise_kernelILi8EZNS0_12_GLOBAL__N_119masked_scale_kernelIbN3c104HalfEfEEvRNS_6TensorERKS6_S9_T1_EUlS5_bE_St5arrayIPcLm3EEEEviT0_SA_
    .private_segment_fixed_size: 0
    .sgpr_count:     18
    .sgpr_spill_count: 0
    .symbol:         _ZN2at6native29vectorized_elementwise_kernelILi8EZNS0_12_GLOBAL__N_119masked_scale_kernelIbN3c104HalfEfEEvRNS_6TensorERKS6_S9_T1_EUlS5_bE_St5arrayIPcLm3EEEEviT0_SA_.kd
    .uniform_work_group_size: 1
    .uses_dynamic_stack: false
    .vgpr_count:     22
    .vgpr_spill_count: 0
    .wavefront_size: 32
    .workgroup_processor_mode: 1
  - .args:
      - .offset:         0
        .size:           4
        .value_kind:     by_value
      - .offset:         4
        .size:           4
        .value_kind:     by_value
      - .offset:         8
        .size:           24
        .value_kind:     by_value
    .group_segment_fixed_size: 0
    .kernarg_segment_align: 8
    .kernarg_segment_size: 32
    .language:       OpenCL C
    .language_version:
      - 2
      - 0
    .max_flat_workgroup_size: 256
    .name:           _ZN2at6native29vectorized_elementwise_kernelILi4EZNS0_12_GLOBAL__N_119masked_scale_kernelIbN3c104HalfEfEEvRNS_6TensorERKS6_S9_T1_EUlS5_bE_St5arrayIPcLm3EEEEviT0_SA_
    .private_segment_fixed_size: 0
    .sgpr_count:     18
    .sgpr_spill_count: 0
    .symbol:         _ZN2at6native29vectorized_elementwise_kernelILi4EZNS0_12_GLOBAL__N_119masked_scale_kernelIbN3c104HalfEfEEvRNS_6TensorERKS6_S9_T1_EUlS5_bE_St5arrayIPcLm3EEEEviT0_SA_.kd
    .uniform_work_group_size: 1
    .uses_dynamic_stack: false
    .vgpr_count:     22
    .vgpr_spill_count: 0
    .wavefront_size: 32
    .workgroup_processor_mode: 1
  - .args:
      - .offset:         0
        .size:           4
        .value_kind:     by_value
      - .offset:         4
        .size:           4
        .value_kind:     by_value
      - .offset:         8
        .size:           24
        .value_kind:     by_value
    .group_segment_fixed_size: 0
    .kernarg_segment_align: 8
    .kernarg_segment_size: 32
    .language:       OpenCL C
    .language_version:
      - 2
      - 0
    .max_flat_workgroup_size: 256
    .name:           _ZN2at6native29vectorized_elementwise_kernelILi2EZNS0_12_GLOBAL__N_119masked_scale_kernelIbN3c104HalfEfEEvRNS_6TensorERKS6_S9_T1_EUlS5_bE_St5arrayIPcLm3EEEEviT0_SA_
    .private_segment_fixed_size: 0
    .sgpr_count:     18
    .sgpr_spill_count: 0
    .symbol:         _ZN2at6native29vectorized_elementwise_kernelILi2EZNS0_12_GLOBAL__N_119masked_scale_kernelIbN3c104HalfEfEEvRNS_6TensorERKS6_S9_T1_EUlS5_bE_St5arrayIPcLm3EEEEviT0_SA_.kd
    .uniform_work_group_size: 1
    .uses_dynamic_stack: false
    .vgpr_count:     22
    .vgpr_spill_count: 0
    .wavefront_size: 32
    .workgroup_processor_mode: 1
  - .args:
      - .offset:         0
        .size:           4
        .value_kind:     by_value
      - .offset:         4
        .size:           4
        .value_kind:     by_value
      - .offset:         8
        .size:           24
        .value_kind:     by_value
      - .offset:         32
        .size:           1
        .value_kind:     by_value
      - .offset:         33
        .size:           1
        .value_kind:     by_value
      - .offset:         34
        .size:           1
        .value_kind:     by_value
      - .offset:         35
        .size:           1
        .value_kind:     by_value
    .group_segment_fixed_size: 0
    .kernarg_segment_align: 8
    .kernarg_segment_size: 36
    .language:       OpenCL C
    .language_version:
      - 2
      - 0
    .max_flat_workgroup_size: 256
    .name:           _ZN2at6native27unrolled_elementwise_kernelIZNS0_12_GLOBAL__N_119masked_scale_kernelIbN3c104HalfEfEEvRNS_6TensorERKS6_S9_T1_EUlS5_bE_St5arrayIPcLm3EELi4E23TrivialOffsetCalculatorILi2EjESF_ILi1EjENS0_6memory15LoadWithoutCastENSI_16StoreWithoutCastEEEviT_T0_T2_T3_T4_T5_
    .private_segment_fixed_size: 0
    .sgpr_count:     18
    .sgpr_spill_count: 0
    .symbol:         _ZN2at6native27unrolled_elementwise_kernelIZNS0_12_GLOBAL__N_119masked_scale_kernelIbN3c104HalfEfEEvRNS_6TensorERKS6_S9_T1_EUlS5_bE_St5arrayIPcLm3EELi4E23TrivialOffsetCalculatorILi2EjESF_ILi1EjENS0_6memory15LoadWithoutCastENSI_16StoreWithoutCastEEEviT_T0_T2_T3_T4_T5_.kd
    .uniform_work_group_size: 1
    .uses_dynamic_stack: false
    .vgpr_count:     14
    .vgpr_spill_count: 0
    .wavefront_size: 32
    .workgroup_processor_mode: 1
  - .args:
      - .offset:         0
        .size:           4
        .value_kind:     by_value
      - .offset:         8
        .size:           424
        .value_kind:     by_value
    .group_segment_fixed_size: 0
    .kernarg_segment_align: 8
    .kernarg_segment_size: 432
    .language:       OpenCL C
    .language_version:
      - 2
      - 0
    .max_flat_workgroup_size: 128
    .name:           _ZN2at6native32elementwise_kernel_manual_unrollILi128ELi8EZNS0_22gpu_kernel_impl_nocastIZNS0_12_GLOBAL__N_119masked_scale_kernelIbN3c104HalfEfEEvRNS_6TensorERKS7_SA_T1_EUlS6_bE_EEvRNS_18TensorIteratorBaseERKT_EUlibE_EEviSB_
    .private_segment_fixed_size: 0
    .sgpr_count:     48
    .sgpr_spill_count: 0
    .symbol:         _ZN2at6native32elementwise_kernel_manual_unrollILi128ELi8EZNS0_22gpu_kernel_impl_nocastIZNS0_12_GLOBAL__N_119masked_scale_kernelIbN3c104HalfEfEEvRNS_6TensorERKS7_SA_T1_EUlS6_bE_EEvRNS_18TensorIteratorBaseERKT_EUlibE_EEviSB_.kd
    .uniform_work_group_size: 1
    .uses_dynamic_stack: false
    .vgpr_count:     32
    .vgpr_spill_count: 0
    .wavefront_size: 32
    .workgroup_processor_mode: 1
  - .args:
      - .offset:         0
        .size:           4
        .value_kind:     by_value
      - .offset:         8
        .size:           48
        .value_kind:     by_value
    .group_segment_fixed_size: 0
    .kernarg_segment_align: 8
    .kernarg_segment_size: 56
    .language:       OpenCL C
    .language_version:
      - 2
      - 0
    .max_flat_workgroup_size: 128
    .name:           _ZN2at6native32elementwise_kernel_manual_unrollILi128ELi4EZNS0_15gpu_kernel_implIZNS0_12_GLOBAL__N_119masked_scale_kernelIbN3c104HalfEfEEvRNS_6TensorERKS7_SA_T1_EUlS6_bE_EEvRNS_18TensorIteratorBaseERKT_EUlibE_EEviSB_
    .private_segment_fixed_size: 0
    .sgpr_count:     37
    .sgpr_spill_count: 0
    .symbol:         _ZN2at6native32elementwise_kernel_manual_unrollILi128ELi4EZNS0_15gpu_kernel_implIZNS0_12_GLOBAL__N_119masked_scale_kernelIbN3c104HalfEfEEvRNS_6TensorERKS7_SA_T1_EUlS6_bE_EEvRNS_18TensorIteratorBaseERKT_EUlibE_EEviSB_.kd
    .uniform_work_group_size: 1
    .uses_dynamic_stack: false
    .vgpr_count:     14
    .vgpr_spill_count: 0
    .wavefront_size: 32
    .workgroup_processor_mode: 1
  - .args:
      - .offset:         0
        .size:           4
        .value_kind:     by_value
      - .offset:         8
        .size:           424
        .value_kind:     by_value
    .group_segment_fixed_size: 0
    .kernarg_segment_align: 8
    .kernarg_segment_size: 432
    .language:       OpenCL C
    .language_version:
      - 2
      - 0
    .max_flat_workgroup_size: 128
    .name:           _ZN2at6native32elementwise_kernel_manual_unrollILi128ELi4EZNS0_15gpu_kernel_implIZNS0_12_GLOBAL__N_119masked_scale_kernelIbN3c104HalfEfEEvRNS_6TensorERKS7_SA_T1_EUlS6_bE_EEvRNS_18TensorIteratorBaseERKT_EUlibE0_EEviSB_
    .private_segment_fixed_size: 0
    .sgpr_count:     64
    .sgpr_spill_count: 0
    .symbol:         _ZN2at6native32elementwise_kernel_manual_unrollILi128ELi4EZNS0_15gpu_kernel_implIZNS0_12_GLOBAL__N_119masked_scale_kernelIbN3c104HalfEfEEvRNS_6TensorERKS7_SA_T1_EUlS6_bE_EEvRNS_18TensorIteratorBaseERKT_EUlibE0_EEviSB_.kd
    .uniform_work_group_size: 1
    .uses_dynamic_stack: false
    .vgpr_count:     20
    .vgpr_spill_count: 0
    .wavefront_size: 32
    .workgroup_processor_mode: 1
  - .args:
      - .offset:         0
        .size:           4
        .value_kind:     by_value
      - .offset:         4
        .size:           4
        .value_kind:     by_value
      - .offset:         8
        .size:           24
        .value_kind:     by_value
    .group_segment_fixed_size: 0
    .kernarg_segment_align: 8
    .kernarg_segment_size: 32
    .language:       OpenCL C
    .language_version:
      - 2
      - 0
    .max_flat_workgroup_size: 256
    .name:           _ZN2at6native29vectorized_elementwise_kernelILi16EZNS0_12_GLOBAL__N_119masked_scale_kernelIbN3c108BFloat16EfEEvRNS_6TensorERKS6_S9_T1_EUlS5_bE_St5arrayIPcLm3EEEEviT0_SA_
    .private_segment_fixed_size: 0
    .sgpr_count:     21
    .sgpr_spill_count: 0
    .symbol:         _ZN2at6native29vectorized_elementwise_kernelILi16EZNS0_12_GLOBAL__N_119masked_scale_kernelIbN3c108BFloat16EfEEvRNS_6TensorERKS6_S9_T1_EUlS5_bE_St5arrayIPcLm3EEEEviT0_SA_.kd
    .uniform_work_group_size: 1
    .uses_dynamic_stack: false
    .vgpr_count:     18
    .vgpr_spill_count: 0
    .wavefront_size: 32
    .workgroup_processor_mode: 1
  - .args:
      - .offset:         0
        .size:           4
        .value_kind:     by_value
      - .offset:         4
        .size:           4
        .value_kind:     by_value
      - .offset:         8
        .size:           24
        .value_kind:     by_value
    .group_segment_fixed_size: 0
    .kernarg_segment_align: 8
    .kernarg_segment_size: 32
    .language:       OpenCL C
    .language_version:
      - 2
      - 0
    .max_flat_workgroup_size: 256
    .name:           _ZN2at6native29vectorized_elementwise_kernelILi8EZNS0_12_GLOBAL__N_119masked_scale_kernelIbN3c108BFloat16EfEEvRNS_6TensorERKS6_S9_T1_EUlS5_bE_St5arrayIPcLm3EEEEviT0_SA_
    .private_segment_fixed_size: 0
    .sgpr_count:     21
    .sgpr_spill_count: 0
    .symbol:         _ZN2at6native29vectorized_elementwise_kernelILi8EZNS0_12_GLOBAL__N_119masked_scale_kernelIbN3c108BFloat16EfEEvRNS_6TensorERKS6_S9_T1_EUlS5_bE_St5arrayIPcLm3EEEEviT0_SA_.kd
    .uniform_work_group_size: 1
    .uses_dynamic_stack: false
    .vgpr_count:     18
    .vgpr_spill_count: 0
    .wavefront_size: 32
    .workgroup_processor_mode: 1
  - .args:
      - .offset:         0
        .size:           4
        .value_kind:     by_value
      - .offset:         4
        .size:           4
        .value_kind:     by_value
      - .offset:         8
        .size:           24
        .value_kind:     by_value
    .group_segment_fixed_size: 0
    .kernarg_segment_align: 8
    .kernarg_segment_size: 32
    .language:       OpenCL C
    .language_version:
      - 2
      - 0
    .max_flat_workgroup_size: 256
    .name:           _ZN2at6native29vectorized_elementwise_kernelILi4EZNS0_12_GLOBAL__N_119masked_scale_kernelIbN3c108BFloat16EfEEvRNS_6TensorERKS6_S9_T1_EUlS5_bE_St5arrayIPcLm3EEEEviT0_SA_
    .private_segment_fixed_size: 0
    .sgpr_count:     21
    .sgpr_spill_count: 0
    .symbol:         _ZN2at6native29vectorized_elementwise_kernelILi4EZNS0_12_GLOBAL__N_119masked_scale_kernelIbN3c108BFloat16EfEEvRNS_6TensorERKS6_S9_T1_EUlS5_bE_St5arrayIPcLm3EEEEviT0_SA_.kd
    .uniform_work_group_size: 1
    .uses_dynamic_stack: false
    .vgpr_count:     18
    .vgpr_spill_count: 0
    .wavefront_size: 32
    .workgroup_processor_mode: 1
  - .args:
      - .offset:         0
        .size:           4
        .value_kind:     by_value
      - .offset:         4
        .size:           4
        .value_kind:     by_value
      - .offset:         8
        .size:           24
        .value_kind:     by_value
    .group_segment_fixed_size: 0
    .kernarg_segment_align: 8
    .kernarg_segment_size: 32
    .language:       OpenCL C
    .language_version:
      - 2
      - 0
    .max_flat_workgroup_size: 256
    .name:           _ZN2at6native29vectorized_elementwise_kernelILi2EZNS0_12_GLOBAL__N_119masked_scale_kernelIbN3c108BFloat16EfEEvRNS_6TensorERKS6_S9_T1_EUlS5_bE_St5arrayIPcLm3EEEEviT0_SA_
    .private_segment_fixed_size: 0
    .sgpr_count:     21
    .sgpr_spill_count: 0
    .symbol:         _ZN2at6native29vectorized_elementwise_kernelILi2EZNS0_12_GLOBAL__N_119masked_scale_kernelIbN3c108BFloat16EfEEvRNS_6TensorERKS6_S9_T1_EUlS5_bE_St5arrayIPcLm3EEEEviT0_SA_.kd
    .uniform_work_group_size: 1
    .uses_dynamic_stack: false
    .vgpr_count:     18
    .vgpr_spill_count: 0
    .wavefront_size: 32
    .workgroup_processor_mode: 1
  - .args:
      - .offset:         0
        .size:           4
        .value_kind:     by_value
      - .offset:         4
        .size:           4
        .value_kind:     by_value
      - .offset:         8
        .size:           24
        .value_kind:     by_value
      - .offset:         32
        .size:           1
        .value_kind:     by_value
      - .offset:         33
        .size:           1
        .value_kind:     by_value
      - .offset:         34
        .size:           1
        .value_kind:     by_value
      - .offset:         35
        .size:           1
        .value_kind:     by_value
    .group_segment_fixed_size: 0
    .kernarg_segment_align: 8
    .kernarg_segment_size: 36
    .language:       OpenCL C
    .language_version:
      - 2
      - 0
    .max_flat_workgroup_size: 256
    .name:           _ZN2at6native27unrolled_elementwise_kernelIZNS0_12_GLOBAL__N_119masked_scale_kernelIbN3c108BFloat16EfEEvRNS_6TensorERKS6_S9_T1_EUlS5_bE_St5arrayIPcLm3EELi4E23TrivialOffsetCalculatorILi2EjESF_ILi1EjENS0_6memory15LoadWithoutCastENSI_16StoreWithoutCastEEEviT_T0_T2_T3_T4_T5_
    .private_segment_fixed_size: 0
    .sgpr_count:     18
    .sgpr_spill_count: 0
    .symbol:         _ZN2at6native27unrolled_elementwise_kernelIZNS0_12_GLOBAL__N_119masked_scale_kernelIbN3c108BFloat16EfEEvRNS_6TensorERKS6_S9_T1_EUlS5_bE_St5arrayIPcLm3EELi4E23TrivialOffsetCalculatorILi2EjESF_ILi1EjENS0_6memory15LoadWithoutCastENSI_16StoreWithoutCastEEEviT_T0_T2_T3_T4_T5_.kd
    .uniform_work_group_size: 1
    .uses_dynamic_stack: false
    .vgpr_count:     14
    .vgpr_spill_count: 0
    .wavefront_size: 32
    .workgroup_processor_mode: 1
  - .args:
      - .offset:         0
        .size:           4
        .value_kind:     by_value
      - .offset:         8
        .size:           424
        .value_kind:     by_value
    .group_segment_fixed_size: 0
    .kernarg_segment_align: 8
    .kernarg_segment_size: 432
    .language:       OpenCL C
    .language_version:
      - 2
      - 0
    .max_flat_workgroup_size: 128
    .name:           _ZN2at6native32elementwise_kernel_manual_unrollILi128ELi8EZNS0_22gpu_kernel_impl_nocastIZNS0_12_GLOBAL__N_119masked_scale_kernelIbN3c108BFloat16EfEEvRNS_6TensorERKS7_SA_T1_EUlS6_bE_EEvRNS_18TensorIteratorBaseERKT_EUlibE_EEviSB_
    .private_segment_fixed_size: 0
    .sgpr_count:     48
    .sgpr_spill_count: 0
    .symbol:         _ZN2at6native32elementwise_kernel_manual_unrollILi128ELi8EZNS0_22gpu_kernel_impl_nocastIZNS0_12_GLOBAL__N_119masked_scale_kernelIbN3c108BFloat16EfEEvRNS_6TensorERKS7_SA_T1_EUlS6_bE_EEvRNS_18TensorIteratorBaseERKT_EUlibE_EEviSB_.kd
    .uniform_work_group_size: 1
    .uses_dynamic_stack: false
    .vgpr_count:     32
    .vgpr_spill_count: 0
    .wavefront_size: 32
    .workgroup_processor_mode: 1
  - .args:
      - .offset:         0
        .size:           4
        .value_kind:     by_value
      - .offset:         8
        .size:           48
        .value_kind:     by_value
    .group_segment_fixed_size: 0
    .kernarg_segment_align: 8
    .kernarg_segment_size: 56
    .language:       OpenCL C
    .language_version:
      - 2
      - 0
    .max_flat_workgroup_size: 128
    .name:           _ZN2at6native32elementwise_kernel_manual_unrollILi128ELi4EZNS0_15gpu_kernel_implIZNS0_12_GLOBAL__N_119masked_scale_kernelIbN3c108BFloat16EfEEvRNS_6TensorERKS7_SA_T1_EUlS6_bE_EEvRNS_18TensorIteratorBaseERKT_EUlibE_EEviSB_
    .private_segment_fixed_size: 0
    .sgpr_count:     37
    .sgpr_spill_count: 0
    .symbol:         _ZN2at6native32elementwise_kernel_manual_unrollILi128ELi4EZNS0_15gpu_kernel_implIZNS0_12_GLOBAL__N_119masked_scale_kernelIbN3c108BFloat16EfEEvRNS_6TensorERKS7_SA_T1_EUlS6_bE_EEvRNS_18TensorIteratorBaseERKT_EUlibE_EEviSB_.kd
    .uniform_work_group_size: 1
    .uses_dynamic_stack: false
    .vgpr_count:     14
    .vgpr_spill_count: 0
    .wavefront_size: 32
    .workgroup_processor_mode: 1
  - .args:
      - .offset:         0
        .size:           4
        .value_kind:     by_value
      - .offset:         8
        .size:           424
        .value_kind:     by_value
    .group_segment_fixed_size: 0
    .kernarg_segment_align: 8
    .kernarg_segment_size: 432
    .language:       OpenCL C
    .language_version:
      - 2
      - 0
    .max_flat_workgroup_size: 128
    .name:           _ZN2at6native32elementwise_kernel_manual_unrollILi128ELi4EZNS0_15gpu_kernel_implIZNS0_12_GLOBAL__N_119masked_scale_kernelIbN3c108BFloat16EfEEvRNS_6TensorERKS7_SA_T1_EUlS6_bE_EEvRNS_18TensorIteratorBaseERKT_EUlibE0_EEviSB_
    .private_segment_fixed_size: 0
    .sgpr_count:     64
    .sgpr_spill_count: 0
    .symbol:         _ZN2at6native32elementwise_kernel_manual_unrollILi128ELi4EZNS0_15gpu_kernel_implIZNS0_12_GLOBAL__N_119masked_scale_kernelIbN3c108BFloat16EfEEvRNS_6TensorERKS7_SA_T1_EUlS6_bE_EEvRNS_18TensorIteratorBaseERKT_EUlibE0_EEviSB_.kd
    .uniform_work_group_size: 1
    .uses_dynamic_stack: false
    .vgpr_count:     20
    .vgpr_spill_count: 0
    .wavefront_size: 32
    .workgroup_processor_mode: 1
  - .args:
      - .offset:         0
        .size:           4
        .value_kind:     by_value
      - .offset:         8
        .size:           8
        .value_kind:     by_value
      - .offset:         16
        .size:           24
        .value_kind:     by_value
    .group_segment_fixed_size: 0
    .kernarg_segment_align: 8
    .kernarg_segment_size: 40
    .language:       OpenCL C
    .language_version:
      - 2
      - 0
    .max_flat_workgroup_size: 256
    .name:           _ZN2at6native29vectorized_elementwise_kernelILi16EZNS0_12_GLOBAL__N_119masked_scale_kernelIhddEEvRNS_6TensorERKS4_S7_T1_EUldhE_St5arrayIPcLm3EEEEviT0_S8_
    .private_segment_fixed_size: 0
    .sgpr_count:     20
    .sgpr_spill_count: 0
    .symbol:         _ZN2at6native29vectorized_elementwise_kernelILi16EZNS0_12_GLOBAL__N_119masked_scale_kernelIhddEEvRNS_6TensorERKS4_S7_T1_EUldhE_St5arrayIPcLm3EEEEviT0_S8_.kd
    .uniform_work_group_size: 1
    .uses_dynamic_stack: false
    .vgpr_count:     28
    .vgpr_spill_count: 0
    .wavefront_size: 32
    .workgroup_processor_mode: 1
  - .args:
      - .offset:         0
        .size:           4
        .value_kind:     by_value
      - .offset:         8
        .size:           8
        .value_kind:     by_value
      - .offset:         16
        .size:           24
        .value_kind:     by_value
    .group_segment_fixed_size: 0
    .kernarg_segment_align: 8
    .kernarg_segment_size: 40
    .language:       OpenCL C
    .language_version:
      - 2
      - 0
    .max_flat_workgroup_size: 256
    .name:           _ZN2at6native29vectorized_elementwise_kernelILi8EZNS0_12_GLOBAL__N_119masked_scale_kernelIhddEEvRNS_6TensorERKS4_S7_T1_EUldhE_St5arrayIPcLm3EEEEviT0_S8_
    .private_segment_fixed_size: 0
    .sgpr_count:     20
    .sgpr_spill_count: 0
    .symbol:         _ZN2at6native29vectorized_elementwise_kernelILi8EZNS0_12_GLOBAL__N_119masked_scale_kernelIhddEEvRNS_6TensorERKS4_S7_T1_EUldhE_St5arrayIPcLm3EEEEviT0_S8_.kd
    .uniform_work_group_size: 1
    .uses_dynamic_stack: false
    .vgpr_count:     28
    .vgpr_spill_count: 0
    .wavefront_size: 32
    .workgroup_processor_mode: 1
  - .args:
      - .offset:         0
        .size:           4
        .value_kind:     by_value
      - .offset:         8
        .size:           8
        .value_kind:     by_value
      - .offset:         16
        .size:           24
        .value_kind:     by_value
    .group_segment_fixed_size: 0
    .kernarg_segment_align: 8
    .kernarg_segment_size: 40
    .language:       OpenCL C
    .language_version:
      - 2
      - 0
    .max_flat_workgroup_size: 256
    .name:           _ZN2at6native29vectorized_elementwise_kernelILi4EZNS0_12_GLOBAL__N_119masked_scale_kernelIhddEEvRNS_6TensorERKS4_S7_T1_EUldhE_St5arrayIPcLm3EEEEviT0_S8_
    .private_segment_fixed_size: 0
    .sgpr_count:     20
    .sgpr_spill_count: 0
    .symbol:         _ZN2at6native29vectorized_elementwise_kernelILi4EZNS0_12_GLOBAL__N_119masked_scale_kernelIhddEEvRNS_6TensorERKS4_S7_T1_EUldhE_St5arrayIPcLm3EEEEviT0_S8_.kd
    .uniform_work_group_size: 1
    .uses_dynamic_stack: false
    .vgpr_count:     28
    .vgpr_spill_count: 0
    .wavefront_size: 32
    .workgroup_processor_mode: 1
  - .args:
      - .offset:         0
        .size:           4
        .value_kind:     by_value
      - .offset:         8
        .size:           8
        .value_kind:     by_value
      - .offset:         16
        .size:           24
        .value_kind:     by_value
    .group_segment_fixed_size: 0
    .kernarg_segment_align: 8
    .kernarg_segment_size: 40
    .language:       OpenCL C
    .language_version:
      - 2
      - 0
    .max_flat_workgroup_size: 256
    .name:           _ZN2at6native29vectorized_elementwise_kernelILi2EZNS0_12_GLOBAL__N_119masked_scale_kernelIhddEEvRNS_6TensorERKS4_S7_T1_EUldhE_St5arrayIPcLm3EEEEviT0_S8_
    .private_segment_fixed_size: 0
    .sgpr_count:     20
    .sgpr_spill_count: 0
    .symbol:         _ZN2at6native29vectorized_elementwise_kernelILi2EZNS0_12_GLOBAL__N_119masked_scale_kernelIhddEEvRNS_6TensorERKS4_S7_T1_EUldhE_St5arrayIPcLm3EEEEviT0_S8_.kd
    .uniform_work_group_size: 1
    .uses_dynamic_stack: false
    .vgpr_count:     28
    .vgpr_spill_count: 0
    .wavefront_size: 32
    .workgroup_processor_mode: 1
  - .args:
      - .offset:         0
        .size:           4
        .value_kind:     by_value
      - .offset:         8
        .size:           8
        .value_kind:     by_value
      - .offset:         16
        .size:           24
        .value_kind:     by_value
      - .offset:         40
        .size:           1
        .value_kind:     by_value
      - .offset:         41
        .size:           1
        .value_kind:     by_value
      - .offset:         42
        .size:           1
        .value_kind:     by_value
      - .offset:         43
        .size:           1
        .value_kind:     by_value
    .group_segment_fixed_size: 0
    .kernarg_segment_align: 8
    .kernarg_segment_size: 44
    .language:       OpenCL C
    .language_version:
      - 2
      - 0
    .max_flat_workgroup_size: 256
    .name:           _ZN2at6native27unrolled_elementwise_kernelIZNS0_12_GLOBAL__N_119masked_scale_kernelIhddEEvRNS_6TensorERKS4_S7_T1_EUldhE_St5arrayIPcLm3EELi4E23TrivialOffsetCalculatorILi2EjESD_ILi1EjENS0_6memory15LoadWithoutCastENSG_16StoreWithoutCastEEEviT_T0_T2_T3_T4_T5_
    .private_segment_fixed_size: 0
    .sgpr_count:     18
    .sgpr_spill_count: 0
    .symbol:         _ZN2at6native27unrolled_elementwise_kernelIZNS0_12_GLOBAL__N_119masked_scale_kernelIhddEEvRNS_6TensorERKS4_S7_T1_EUldhE_St5arrayIPcLm3EELi4E23TrivialOffsetCalculatorILi2EjESD_ILi1EjENS0_6memory15LoadWithoutCastENSG_16StoreWithoutCastEEEviT_T0_T2_T3_T4_T5_.kd
    .uniform_work_group_size: 1
    .uses_dynamic_stack: false
    .vgpr_count:     28
    .vgpr_spill_count: 0
    .wavefront_size: 32
    .workgroup_processor_mode: 1
  - .args:
      - .offset:         0
        .size:           4
        .value_kind:     by_value
      - .offset:         8
        .size:           424
        .value_kind:     by_value
    .group_segment_fixed_size: 0
    .kernarg_segment_align: 8
    .kernarg_segment_size: 432
    .language:       OpenCL C
    .language_version:
      - 2
      - 0
    .max_flat_workgroup_size: 128
    .name:           _ZN2at6native32elementwise_kernel_manual_unrollILi128ELi4EZNS0_22gpu_kernel_impl_nocastIZNS0_12_GLOBAL__N_119masked_scale_kernelIhddEEvRNS_6TensorERKS5_S8_T1_EUldhE_EEvRNS_18TensorIteratorBaseERKT_EUlibE_EEviS9_
    .private_segment_fixed_size: 0
    .sgpr_count:     48
    .sgpr_spill_count: 0
    .symbol:         _ZN2at6native32elementwise_kernel_manual_unrollILi128ELi4EZNS0_22gpu_kernel_impl_nocastIZNS0_12_GLOBAL__N_119masked_scale_kernelIhddEEvRNS_6TensorERKS5_S8_T1_EUldhE_EEvRNS_18TensorIteratorBaseERKT_EUlibE_EEviS9_.kd
    .uniform_work_group_size: 1
    .uses_dynamic_stack: false
    .vgpr_count:     20
    .vgpr_spill_count: 0
    .wavefront_size: 32
    .workgroup_processor_mode: 1
  - .args:
      - .offset:         0
        .size:           4
        .value_kind:     by_value
      - .offset:         8
        .size:           56
        .value_kind:     by_value
    .group_segment_fixed_size: 0
    .kernarg_segment_align: 8
    .kernarg_segment_size: 64
    .language:       OpenCL C
    .language_version:
      - 2
      - 0
    .max_flat_workgroup_size: 128
    .name:           _ZN2at6native32elementwise_kernel_manual_unrollILi128ELi4EZNS0_15gpu_kernel_implIZNS0_12_GLOBAL__N_119masked_scale_kernelIhddEEvRNS_6TensorERKS5_S8_T1_EUldhE_EEvRNS_18TensorIteratorBaseERKT_EUlibE_EEviS9_
    .private_segment_fixed_size: 0
    .sgpr_count:     39
    .sgpr_spill_count: 0
    .symbol:         _ZN2at6native32elementwise_kernel_manual_unrollILi128ELi4EZNS0_15gpu_kernel_implIZNS0_12_GLOBAL__N_119masked_scale_kernelIhddEEvRNS_6TensorERKS5_S8_T1_EUldhE_EEvRNS_18TensorIteratorBaseERKT_EUlibE_EEviS9_.kd
    .uniform_work_group_size: 1
    .uses_dynamic_stack: false
    .vgpr_count:     20
    .vgpr_spill_count: 0
    .wavefront_size: 32
    .workgroup_processor_mode: 1
  - .args:
      - .offset:         0
        .size:           4
        .value_kind:     by_value
      - .offset:         8
        .size:           432
        .value_kind:     by_value
    .group_segment_fixed_size: 0
    .kernarg_segment_align: 8
    .kernarg_segment_size: 440
    .language:       OpenCL C
    .language_version:
      - 2
      - 0
    .max_flat_workgroup_size: 128
    .name:           _ZN2at6native32elementwise_kernel_manual_unrollILi128ELi4EZNS0_15gpu_kernel_implIZNS0_12_GLOBAL__N_119masked_scale_kernelIhddEEvRNS_6TensorERKS5_S8_T1_EUldhE_EEvRNS_18TensorIteratorBaseERKT_EUlibE0_EEviS9_
    .private_segment_fixed_size: 0
    .sgpr_count:     64
    .sgpr_spill_count: 0
    .symbol:         _ZN2at6native32elementwise_kernel_manual_unrollILi128ELi4EZNS0_15gpu_kernel_implIZNS0_12_GLOBAL__N_119masked_scale_kernelIhddEEvRNS_6TensorERKS5_S8_T1_EUldhE_EEvRNS_18TensorIteratorBaseERKT_EUlibE0_EEviS9_.kd
    .uniform_work_group_size: 1
    .uses_dynamic_stack: false
    .vgpr_count:     24
    .vgpr_spill_count: 0
    .wavefront_size: 32
    .workgroup_processor_mode: 1
  - .args:
      - .offset:         0
        .size:           4
        .value_kind:     by_value
      - .offset:         4
        .size:           4
        .value_kind:     by_value
      - .offset:         8
        .size:           24
        .value_kind:     by_value
    .group_segment_fixed_size: 0
    .kernarg_segment_align: 8
    .kernarg_segment_size: 32
    .language:       OpenCL C
    .language_version:
      - 2
      - 0
    .max_flat_workgroup_size: 256
    .name:           _ZN2at6native29vectorized_elementwise_kernelILi16EZNS0_12_GLOBAL__N_119masked_scale_kernelIhffEEvRNS_6TensorERKS4_S7_T1_EUlfhE_St5arrayIPcLm3EEEEviT0_S8_
    .private_segment_fixed_size: 0
    .sgpr_count:     20
    .sgpr_spill_count: 0
    .symbol:         _ZN2at6native29vectorized_elementwise_kernelILi16EZNS0_12_GLOBAL__N_119masked_scale_kernelIhffEEvRNS_6TensorERKS4_S7_T1_EUlfhE_St5arrayIPcLm3EEEEviT0_S8_.kd
    .uniform_work_group_size: 1
    .uses_dynamic_stack: false
    .vgpr_count:     14
    .vgpr_spill_count: 0
    .wavefront_size: 32
    .workgroup_processor_mode: 1
  - .args:
      - .offset:         0
        .size:           4
        .value_kind:     by_value
      - .offset:         4
        .size:           4
        .value_kind:     by_value
      - .offset:         8
        .size:           24
        .value_kind:     by_value
    .group_segment_fixed_size: 0
    .kernarg_segment_align: 8
    .kernarg_segment_size: 32
    .language:       OpenCL C
    .language_version:
      - 2
      - 0
    .max_flat_workgroup_size: 256
    .name:           _ZN2at6native29vectorized_elementwise_kernelILi8EZNS0_12_GLOBAL__N_119masked_scale_kernelIhffEEvRNS_6TensorERKS4_S7_T1_EUlfhE_St5arrayIPcLm3EEEEviT0_S8_
    .private_segment_fixed_size: 0
    .sgpr_count:     20
    .sgpr_spill_count: 0
    .symbol:         _ZN2at6native29vectorized_elementwise_kernelILi8EZNS0_12_GLOBAL__N_119masked_scale_kernelIhffEEvRNS_6TensorERKS4_S7_T1_EUlfhE_St5arrayIPcLm3EEEEviT0_S8_.kd
    .uniform_work_group_size: 1
    .uses_dynamic_stack: false
    .vgpr_count:     14
    .vgpr_spill_count: 0
    .wavefront_size: 32
    .workgroup_processor_mode: 1
  - .args:
      - .offset:         0
        .size:           4
        .value_kind:     by_value
      - .offset:         4
        .size:           4
        .value_kind:     by_value
      - .offset:         8
        .size:           24
        .value_kind:     by_value
    .group_segment_fixed_size: 0
    .kernarg_segment_align: 8
    .kernarg_segment_size: 32
    .language:       OpenCL C
    .language_version:
      - 2
      - 0
    .max_flat_workgroup_size: 256
    .name:           _ZN2at6native29vectorized_elementwise_kernelILi4EZNS0_12_GLOBAL__N_119masked_scale_kernelIhffEEvRNS_6TensorERKS4_S7_T1_EUlfhE_St5arrayIPcLm3EEEEviT0_S8_
    .private_segment_fixed_size: 0
    .sgpr_count:     20
    .sgpr_spill_count: 0
    .symbol:         _ZN2at6native29vectorized_elementwise_kernelILi4EZNS0_12_GLOBAL__N_119masked_scale_kernelIhffEEvRNS_6TensorERKS4_S7_T1_EUlfhE_St5arrayIPcLm3EEEEviT0_S8_.kd
    .uniform_work_group_size: 1
    .uses_dynamic_stack: false
    .vgpr_count:     14
    .vgpr_spill_count: 0
    .wavefront_size: 32
    .workgroup_processor_mode: 1
  - .args:
      - .offset:         0
        .size:           4
        .value_kind:     by_value
      - .offset:         4
        .size:           4
        .value_kind:     by_value
      - .offset:         8
        .size:           24
        .value_kind:     by_value
    .group_segment_fixed_size: 0
    .kernarg_segment_align: 8
    .kernarg_segment_size: 32
    .language:       OpenCL C
    .language_version:
      - 2
      - 0
    .max_flat_workgroup_size: 256
    .name:           _ZN2at6native29vectorized_elementwise_kernelILi2EZNS0_12_GLOBAL__N_119masked_scale_kernelIhffEEvRNS_6TensorERKS4_S7_T1_EUlfhE_St5arrayIPcLm3EEEEviT0_S8_
    .private_segment_fixed_size: 0
    .sgpr_count:     20
    .sgpr_spill_count: 0
    .symbol:         _ZN2at6native29vectorized_elementwise_kernelILi2EZNS0_12_GLOBAL__N_119masked_scale_kernelIhffEEvRNS_6TensorERKS4_S7_T1_EUlfhE_St5arrayIPcLm3EEEEviT0_S8_.kd
    .uniform_work_group_size: 1
    .uses_dynamic_stack: false
    .vgpr_count:     14
    .vgpr_spill_count: 0
    .wavefront_size: 32
    .workgroup_processor_mode: 1
  - .args:
      - .offset:         0
        .size:           4
        .value_kind:     by_value
      - .offset:         4
        .size:           4
        .value_kind:     by_value
      - .offset:         8
        .size:           24
        .value_kind:     by_value
      - .offset:         32
        .size:           1
        .value_kind:     by_value
      - .offset:         33
        .size:           1
        .value_kind:     by_value
      - .offset:         34
        .size:           1
        .value_kind:     by_value
      - .offset:         35
        .size:           1
        .value_kind:     by_value
    .group_segment_fixed_size: 0
    .kernarg_segment_align: 8
    .kernarg_segment_size: 36
    .language:       OpenCL C
    .language_version:
      - 2
      - 0
    .max_flat_workgroup_size: 256
    .name:           _ZN2at6native27unrolled_elementwise_kernelIZNS0_12_GLOBAL__N_119masked_scale_kernelIhffEEvRNS_6TensorERKS4_S7_T1_EUlfhE_St5arrayIPcLm3EELi4E23TrivialOffsetCalculatorILi2EjESD_ILi1EjENS0_6memory15LoadWithoutCastENSG_16StoreWithoutCastEEEviT_T0_T2_T3_T4_T5_
    .private_segment_fixed_size: 0
    .sgpr_count:     18
    .sgpr_spill_count: 0
    .symbol:         _ZN2at6native27unrolled_elementwise_kernelIZNS0_12_GLOBAL__N_119masked_scale_kernelIhffEEvRNS_6TensorERKS4_S7_T1_EUlfhE_St5arrayIPcLm3EELi4E23TrivialOffsetCalculatorILi2EjESD_ILi1EjENS0_6memory15LoadWithoutCastENSG_16StoreWithoutCastEEEviT_T0_T2_T3_T4_T5_.kd
    .uniform_work_group_size: 1
    .uses_dynamic_stack: false
    .vgpr_count:     14
    .vgpr_spill_count: 0
    .wavefront_size: 32
    .workgroup_processor_mode: 1
  - .args:
      - .offset:         0
        .size:           4
        .value_kind:     by_value
      - .offset:         8
        .size:           424
        .value_kind:     by_value
    .group_segment_fixed_size: 0
    .kernarg_segment_align: 8
    .kernarg_segment_size: 432
    .language:       OpenCL C
    .language_version:
      - 2
      - 0
    .max_flat_workgroup_size: 128
    .name:           _ZN2at6native32elementwise_kernel_manual_unrollILi128ELi4EZNS0_22gpu_kernel_impl_nocastIZNS0_12_GLOBAL__N_119masked_scale_kernelIhffEEvRNS_6TensorERKS5_S8_T1_EUlfhE_EEvRNS_18TensorIteratorBaseERKT_EUlibE_EEviS9_
    .private_segment_fixed_size: 0
    .sgpr_count:     48
    .sgpr_spill_count: 0
    .symbol:         _ZN2at6native32elementwise_kernel_manual_unrollILi128ELi4EZNS0_22gpu_kernel_impl_nocastIZNS0_12_GLOBAL__N_119masked_scale_kernelIhffEEvRNS_6TensorERKS5_S8_T1_EUlfhE_EEvRNS_18TensorIteratorBaseERKT_EUlibE_EEviS9_.kd
    .uniform_work_group_size: 1
    .uses_dynamic_stack: false
    .vgpr_count:     20
    .vgpr_spill_count: 0
    .wavefront_size: 32
    .workgroup_processor_mode: 1
  - .args:
      - .offset:         0
        .size:           4
        .value_kind:     by_value
      - .offset:         8
        .size:           48
        .value_kind:     by_value
    .group_segment_fixed_size: 0
    .kernarg_segment_align: 8
    .kernarg_segment_size: 56
    .language:       OpenCL C
    .language_version:
      - 2
      - 0
    .max_flat_workgroup_size: 128
    .name:           _ZN2at6native32elementwise_kernel_manual_unrollILi128ELi4EZNS0_15gpu_kernel_implIZNS0_12_GLOBAL__N_119masked_scale_kernelIhffEEvRNS_6TensorERKS5_S8_T1_EUlfhE_EEvRNS_18TensorIteratorBaseERKT_EUlibE_EEviS9_
    .private_segment_fixed_size: 0
    .sgpr_count:     37
    .sgpr_spill_count: 0
    .symbol:         _ZN2at6native32elementwise_kernel_manual_unrollILi128ELi4EZNS0_15gpu_kernel_implIZNS0_12_GLOBAL__N_119masked_scale_kernelIhffEEvRNS_6TensorERKS5_S8_T1_EUlfhE_EEvRNS_18TensorIteratorBaseERKT_EUlibE_EEviS9_.kd
    .uniform_work_group_size: 1
    .uses_dynamic_stack: false
    .vgpr_count:     17
    .vgpr_spill_count: 0
    .wavefront_size: 32
    .workgroup_processor_mode: 1
  - .args:
      - .offset:         0
        .size:           4
        .value_kind:     by_value
      - .offset:         8
        .size:           424
        .value_kind:     by_value
    .group_segment_fixed_size: 0
    .kernarg_segment_align: 8
    .kernarg_segment_size: 432
    .language:       OpenCL C
    .language_version:
      - 2
      - 0
    .max_flat_workgroup_size: 128
    .name:           _ZN2at6native32elementwise_kernel_manual_unrollILi128ELi4EZNS0_15gpu_kernel_implIZNS0_12_GLOBAL__N_119masked_scale_kernelIhffEEvRNS_6TensorERKS5_S8_T1_EUlfhE_EEvRNS_18TensorIteratorBaseERKT_EUlibE0_EEviS9_
    .private_segment_fixed_size: 0
    .sgpr_count:     64
    .sgpr_spill_count: 0
    .symbol:         _ZN2at6native32elementwise_kernel_manual_unrollILi128ELi4EZNS0_15gpu_kernel_implIZNS0_12_GLOBAL__N_119masked_scale_kernelIhffEEvRNS_6TensorERKS5_S8_T1_EUlfhE_EEvRNS_18TensorIteratorBaseERKT_EUlibE0_EEviS9_.kd
    .uniform_work_group_size: 1
    .uses_dynamic_stack: false
    .vgpr_count:     22
    .vgpr_spill_count: 0
    .wavefront_size: 32
    .workgroup_processor_mode: 1
  - .args:
      - .offset:         0
        .size:           4
        .value_kind:     by_value
      - .offset:         4
        .size:           4
        .value_kind:     by_value
      - .offset:         8
        .size:           24
        .value_kind:     by_value
    .group_segment_fixed_size: 0
    .kernarg_segment_align: 8
    .kernarg_segment_size: 32
    .language:       OpenCL C
    .language_version:
      - 2
      - 0
    .max_flat_workgroup_size: 256
    .name:           _ZN2at6native29vectorized_elementwise_kernelILi16EZNS0_12_GLOBAL__N_119masked_scale_kernelIhN3c104HalfEfEEvRNS_6TensorERKS6_S9_T1_EUlS5_hE_St5arrayIPcLm3EEEEviT0_SA_
    .private_segment_fixed_size: 0
    .sgpr_count:     18
    .sgpr_spill_count: 0
    .symbol:         _ZN2at6native29vectorized_elementwise_kernelILi16EZNS0_12_GLOBAL__N_119masked_scale_kernelIhN3c104HalfEfEEvRNS_6TensorERKS6_S9_T1_EUlS5_hE_St5arrayIPcLm3EEEEviT0_SA_.kd
    .uniform_work_group_size: 1
    .uses_dynamic_stack: false
    .vgpr_count:     22
    .vgpr_spill_count: 0
    .wavefront_size: 32
    .workgroup_processor_mode: 1
  - .args:
      - .offset:         0
        .size:           4
        .value_kind:     by_value
      - .offset:         4
        .size:           4
        .value_kind:     by_value
      - .offset:         8
        .size:           24
        .value_kind:     by_value
    .group_segment_fixed_size: 0
    .kernarg_segment_align: 8
    .kernarg_segment_size: 32
    .language:       OpenCL C
    .language_version:
      - 2
      - 0
    .max_flat_workgroup_size: 256
    .name:           _ZN2at6native29vectorized_elementwise_kernelILi8EZNS0_12_GLOBAL__N_119masked_scale_kernelIhN3c104HalfEfEEvRNS_6TensorERKS6_S9_T1_EUlS5_hE_St5arrayIPcLm3EEEEviT0_SA_
    .private_segment_fixed_size: 0
    .sgpr_count:     18
    .sgpr_spill_count: 0
    .symbol:         _ZN2at6native29vectorized_elementwise_kernelILi8EZNS0_12_GLOBAL__N_119masked_scale_kernelIhN3c104HalfEfEEvRNS_6TensorERKS6_S9_T1_EUlS5_hE_St5arrayIPcLm3EEEEviT0_SA_.kd
    .uniform_work_group_size: 1
    .uses_dynamic_stack: false
    .vgpr_count:     22
    .vgpr_spill_count: 0
    .wavefront_size: 32
    .workgroup_processor_mode: 1
  - .args:
      - .offset:         0
        .size:           4
        .value_kind:     by_value
      - .offset:         4
        .size:           4
        .value_kind:     by_value
      - .offset:         8
        .size:           24
        .value_kind:     by_value
    .group_segment_fixed_size: 0
    .kernarg_segment_align: 8
    .kernarg_segment_size: 32
    .language:       OpenCL C
    .language_version:
      - 2
      - 0
    .max_flat_workgroup_size: 256
    .name:           _ZN2at6native29vectorized_elementwise_kernelILi4EZNS0_12_GLOBAL__N_119masked_scale_kernelIhN3c104HalfEfEEvRNS_6TensorERKS6_S9_T1_EUlS5_hE_St5arrayIPcLm3EEEEviT0_SA_
    .private_segment_fixed_size: 0
    .sgpr_count:     18
    .sgpr_spill_count: 0
    .symbol:         _ZN2at6native29vectorized_elementwise_kernelILi4EZNS0_12_GLOBAL__N_119masked_scale_kernelIhN3c104HalfEfEEvRNS_6TensorERKS6_S9_T1_EUlS5_hE_St5arrayIPcLm3EEEEviT0_SA_.kd
    .uniform_work_group_size: 1
    .uses_dynamic_stack: false
    .vgpr_count:     22
    .vgpr_spill_count: 0
    .wavefront_size: 32
    .workgroup_processor_mode: 1
  - .args:
      - .offset:         0
        .size:           4
        .value_kind:     by_value
      - .offset:         4
        .size:           4
        .value_kind:     by_value
      - .offset:         8
        .size:           24
        .value_kind:     by_value
    .group_segment_fixed_size: 0
    .kernarg_segment_align: 8
    .kernarg_segment_size: 32
    .language:       OpenCL C
    .language_version:
      - 2
      - 0
    .max_flat_workgroup_size: 256
    .name:           _ZN2at6native29vectorized_elementwise_kernelILi2EZNS0_12_GLOBAL__N_119masked_scale_kernelIhN3c104HalfEfEEvRNS_6TensorERKS6_S9_T1_EUlS5_hE_St5arrayIPcLm3EEEEviT0_SA_
    .private_segment_fixed_size: 0
    .sgpr_count:     18
    .sgpr_spill_count: 0
    .symbol:         _ZN2at6native29vectorized_elementwise_kernelILi2EZNS0_12_GLOBAL__N_119masked_scale_kernelIhN3c104HalfEfEEvRNS_6TensorERKS6_S9_T1_EUlS5_hE_St5arrayIPcLm3EEEEviT0_SA_.kd
    .uniform_work_group_size: 1
    .uses_dynamic_stack: false
    .vgpr_count:     22
    .vgpr_spill_count: 0
    .wavefront_size: 32
    .workgroup_processor_mode: 1
  - .args:
      - .offset:         0
        .size:           4
        .value_kind:     by_value
      - .offset:         4
        .size:           4
        .value_kind:     by_value
      - .offset:         8
        .size:           24
        .value_kind:     by_value
      - .offset:         32
        .size:           1
        .value_kind:     by_value
      - .offset:         33
        .size:           1
        .value_kind:     by_value
      - .offset:         34
        .size:           1
        .value_kind:     by_value
      - .offset:         35
        .size:           1
        .value_kind:     by_value
    .group_segment_fixed_size: 0
    .kernarg_segment_align: 8
    .kernarg_segment_size: 36
    .language:       OpenCL C
    .language_version:
      - 2
      - 0
    .max_flat_workgroup_size: 256
    .name:           _ZN2at6native27unrolled_elementwise_kernelIZNS0_12_GLOBAL__N_119masked_scale_kernelIhN3c104HalfEfEEvRNS_6TensorERKS6_S9_T1_EUlS5_hE_St5arrayIPcLm3EELi4E23TrivialOffsetCalculatorILi2EjESF_ILi1EjENS0_6memory15LoadWithoutCastENSI_16StoreWithoutCastEEEviT_T0_T2_T3_T4_T5_
    .private_segment_fixed_size: 0
    .sgpr_count:     18
    .sgpr_spill_count: 0
    .symbol:         _ZN2at6native27unrolled_elementwise_kernelIZNS0_12_GLOBAL__N_119masked_scale_kernelIhN3c104HalfEfEEvRNS_6TensorERKS6_S9_T1_EUlS5_hE_St5arrayIPcLm3EELi4E23TrivialOffsetCalculatorILi2EjESF_ILi1EjENS0_6memory15LoadWithoutCastENSI_16StoreWithoutCastEEEviT_T0_T2_T3_T4_T5_.kd
    .uniform_work_group_size: 1
    .uses_dynamic_stack: false
    .vgpr_count:     14
    .vgpr_spill_count: 0
    .wavefront_size: 32
    .workgroup_processor_mode: 1
  - .args:
      - .offset:         0
        .size:           4
        .value_kind:     by_value
      - .offset:         8
        .size:           424
        .value_kind:     by_value
    .group_segment_fixed_size: 0
    .kernarg_segment_align: 8
    .kernarg_segment_size: 432
    .language:       OpenCL C
    .language_version:
      - 2
      - 0
    .max_flat_workgroup_size: 128
    .name:           _ZN2at6native32elementwise_kernel_manual_unrollILi128ELi8EZNS0_22gpu_kernel_impl_nocastIZNS0_12_GLOBAL__N_119masked_scale_kernelIhN3c104HalfEfEEvRNS_6TensorERKS7_SA_T1_EUlS6_hE_EEvRNS_18TensorIteratorBaseERKT_EUlibE_EEviSB_
    .private_segment_fixed_size: 0
    .sgpr_count:     48
    .sgpr_spill_count: 0
    .symbol:         _ZN2at6native32elementwise_kernel_manual_unrollILi128ELi8EZNS0_22gpu_kernel_impl_nocastIZNS0_12_GLOBAL__N_119masked_scale_kernelIhN3c104HalfEfEEvRNS_6TensorERKS7_SA_T1_EUlS6_hE_EEvRNS_18TensorIteratorBaseERKT_EUlibE_EEviSB_.kd
    .uniform_work_group_size: 1
    .uses_dynamic_stack: false
    .vgpr_count:     32
    .vgpr_spill_count: 0
    .wavefront_size: 32
    .workgroup_processor_mode: 1
  - .args:
      - .offset:         0
        .size:           4
        .value_kind:     by_value
      - .offset:         8
        .size:           48
        .value_kind:     by_value
    .group_segment_fixed_size: 0
    .kernarg_segment_align: 8
    .kernarg_segment_size: 56
    .language:       OpenCL C
    .language_version:
      - 2
      - 0
    .max_flat_workgroup_size: 128
    .name:           _ZN2at6native32elementwise_kernel_manual_unrollILi128ELi4EZNS0_15gpu_kernel_implIZNS0_12_GLOBAL__N_119masked_scale_kernelIhN3c104HalfEfEEvRNS_6TensorERKS7_SA_T1_EUlS6_hE_EEvRNS_18TensorIteratorBaseERKT_EUlibE_EEviSB_
    .private_segment_fixed_size: 0
    .sgpr_count:     37
    .sgpr_spill_count: 0
    .symbol:         _ZN2at6native32elementwise_kernel_manual_unrollILi128ELi4EZNS0_15gpu_kernel_implIZNS0_12_GLOBAL__N_119masked_scale_kernelIhN3c104HalfEfEEvRNS_6TensorERKS7_SA_T1_EUlS6_hE_EEvRNS_18TensorIteratorBaseERKT_EUlibE_EEviSB_.kd
    .uniform_work_group_size: 1
    .uses_dynamic_stack: false
    .vgpr_count:     17
    .vgpr_spill_count: 0
    .wavefront_size: 32
    .workgroup_processor_mode: 1
  - .args:
      - .offset:         0
        .size:           4
        .value_kind:     by_value
      - .offset:         8
        .size:           424
        .value_kind:     by_value
    .group_segment_fixed_size: 0
    .kernarg_segment_align: 8
    .kernarg_segment_size: 432
    .language:       OpenCL C
    .language_version:
      - 2
      - 0
    .max_flat_workgroup_size: 128
    .name:           _ZN2at6native32elementwise_kernel_manual_unrollILi128ELi4EZNS0_15gpu_kernel_implIZNS0_12_GLOBAL__N_119masked_scale_kernelIhN3c104HalfEfEEvRNS_6TensorERKS7_SA_T1_EUlS6_hE_EEvRNS_18TensorIteratorBaseERKT_EUlibE0_EEviSB_
    .private_segment_fixed_size: 0
    .sgpr_count:     64
    .sgpr_spill_count: 0
    .symbol:         _ZN2at6native32elementwise_kernel_manual_unrollILi128ELi4EZNS0_15gpu_kernel_implIZNS0_12_GLOBAL__N_119masked_scale_kernelIhN3c104HalfEfEEvRNS_6TensorERKS7_SA_T1_EUlS6_hE_EEvRNS_18TensorIteratorBaseERKT_EUlibE0_EEviSB_.kd
    .uniform_work_group_size: 1
    .uses_dynamic_stack: false
    .vgpr_count:     22
    .vgpr_spill_count: 0
    .wavefront_size: 32
    .workgroup_processor_mode: 1
  - .args:
      - .offset:         0
        .size:           4
        .value_kind:     by_value
      - .offset:         4
        .size:           4
        .value_kind:     by_value
      - .offset:         8
        .size:           24
        .value_kind:     by_value
    .group_segment_fixed_size: 0
    .kernarg_segment_align: 8
    .kernarg_segment_size: 32
    .language:       OpenCL C
    .language_version:
      - 2
      - 0
    .max_flat_workgroup_size: 256
    .name:           _ZN2at6native29vectorized_elementwise_kernelILi16EZNS0_12_GLOBAL__N_119masked_scale_kernelIhN3c108BFloat16EfEEvRNS_6TensorERKS6_S9_T1_EUlS5_hE_St5arrayIPcLm3EEEEviT0_SA_
    .private_segment_fixed_size: 0
    .sgpr_count:     18
    .sgpr_spill_count: 0
    .symbol:         _ZN2at6native29vectorized_elementwise_kernelILi16EZNS0_12_GLOBAL__N_119masked_scale_kernelIhN3c108BFloat16EfEEvRNS_6TensorERKS6_S9_T1_EUlS5_hE_St5arrayIPcLm3EEEEviT0_SA_.kd
    .uniform_work_group_size: 1
    .uses_dynamic_stack: false
    .vgpr_count:     23
    .vgpr_spill_count: 0
    .wavefront_size: 32
    .workgroup_processor_mode: 1
  - .args:
      - .offset:         0
        .size:           4
        .value_kind:     by_value
      - .offset:         4
        .size:           4
        .value_kind:     by_value
      - .offset:         8
        .size:           24
        .value_kind:     by_value
    .group_segment_fixed_size: 0
    .kernarg_segment_align: 8
    .kernarg_segment_size: 32
    .language:       OpenCL C
    .language_version:
      - 2
      - 0
    .max_flat_workgroup_size: 256
    .name:           _ZN2at6native29vectorized_elementwise_kernelILi8EZNS0_12_GLOBAL__N_119masked_scale_kernelIhN3c108BFloat16EfEEvRNS_6TensorERKS6_S9_T1_EUlS5_hE_St5arrayIPcLm3EEEEviT0_SA_
    .private_segment_fixed_size: 0
    .sgpr_count:     18
    .sgpr_spill_count: 0
    .symbol:         _ZN2at6native29vectorized_elementwise_kernelILi8EZNS0_12_GLOBAL__N_119masked_scale_kernelIhN3c108BFloat16EfEEvRNS_6TensorERKS6_S9_T1_EUlS5_hE_St5arrayIPcLm3EEEEviT0_SA_.kd
    .uniform_work_group_size: 1
    .uses_dynamic_stack: false
    .vgpr_count:     23
    .vgpr_spill_count: 0
    .wavefront_size: 32
    .workgroup_processor_mode: 1
  - .args:
      - .offset:         0
        .size:           4
        .value_kind:     by_value
      - .offset:         4
        .size:           4
        .value_kind:     by_value
      - .offset:         8
        .size:           24
        .value_kind:     by_value
    .group_segment_fixed_size: 0
    .kernarg_segment_align: 8
    .kernarg_segment_size: 32
    .language:       OpenCL C
    .language_version:
      - 2
      - 0
    .max_flat_workgroup_size: 256
    .name:           _ZN2at6native29vectorized_elementwise_kernelILi4EZNS0_12_GLOBAL__N_119masked_scale_kernelIhN3c108BFloat16EfEEvRNS_6TensorERKS6_S9_T1_EUlS5_hE_St5arrayIPcLm3EEEEviT0_SA_
    .private_segment_fixed_size: 0
    .sgpr_count:     18
    .sgpr_spill_count: 0
    .symbol:         _ZN2at6native29vectorized_elementwise_kernelILi4EZNS0_12_GLOBAL__N_119masked_scale_kernelIhN3c108BFloat16EfEEvRNS_6TensorERKS6_S9_T1_EUlS5_hE_St5arrayIPcLm3EEEEviT0_SA_.kd
    .uniform_work_group_size: 1
    .uses_dynamic_stack: false
    .vgpr_count:     23
    .vgpr_spill_count: 0
    .wavefront_size: 32
    .workgroup_processor_mode: 1
  - .args:
      - .offset:         0
        .size:           4
        .value_kind:     by_value
      - .offset:         4
        .size:           4
        .value_kind:     by_value
      - .offset:         8
        .size:           24
        .value_kind:     by_value
    .group_segment_fixed_size: 0
    .kernarg_segment_align: 8
    .kernarg_segment_size: 32
    .language:       OpenCL C
    .language_version:
      - 2
      - 0
    .max_flat_workgroup_size: 256
    .name:           _ZN2at6native29vectorized_elementwise_kernelILi2EZNS0_12_GLOBAL__N_119masked_scale_kernelIhN3c108BFloat16EfEEvRNS_6TensorERKS6_S9_T1_EUlS5_hE_St5arrayIPcLm3EEEEviT0_SA_
    .private_segment_fixed_size: 0
    .sgpr_count:     18
    .sgpr_spill_count: 0
    .symbol:         _ZN2at6native29vectorized_elementwise_kernelILi2EZNS0_12_GLOBAL__N_119masked_scale_kernelIhN3c108BFloat16EfEEvRNS_6TensorERKS6_S9_T1_EUlS5_hE_St5arrayIPcLm3EEEEviT0_SA_.kd
    .uniform_work_group_size: 1
    .uses_dynamic_stack: false
    .vgpr_count:     23
    .vgpr_spill_count: 0
    .wavefront_size: 32
    .workgroup_processor_mode: 1
  - .args:
      - .offset:         0
        .size:           4
        .value_kind:     by_value
      - .offset:         4
        .size:           4
        .value_kind:     by_value
      - .offset:         8
        .size:           24
        .value_kind:     by_value
      - .offset:         32
        .size:           1
        .value_kind:     by_value
      - .offset:         33
        .size:           1
        .value_kind:     by_value
      - .offset:         34
        .size:           1
        .value_kind:     by_value
      - .offset:         35
        .size:           1
        .value_kind:     by_value
    .group_segment_fixed_size: 0
    .kernarg_segment_align: 8
    .kernarg_segment_size: 36
    .language:       OpenCL C
    .language_version:
      - 2
      - 0
    .max_flat_workgroup_size: 256
    .name:           _ZN2at6native27unrolled_elementwise_kernelIZNS0_12_GLOBAL__N_119masked_scale_kernelIhN3c108BFloat16EfEEvRNS_6TensorERKS6_S9_T1_EUlS5_hE_St5arrayIPcLm3EELi4E23TrivialOffsetCalculatorILi2EjESF_ILi1EjENS0_6memory15LoadWithoutCastENSI_16StoreWithoutCastEEEviT_T0_T2_T3_T4_T5_
    .private_segment_fixed_size: 0
    .sgpr_count:     18
    .sgpr_spill_count: 0
    .symbol:         _ZN2at6native27unrolled_elementwise_kernelIZNS0_12_GLOBAL__N_119masked_scale_kernelIhN3c108BFloat16EfEEvRNS_6TensorERKS6_S9_T1_EUlS5_hE_St5arrayIPcLm3EELi4E23TrivialOffsetCalculatorILi2EjESF_ILi1EjENS0_6memory15LoadWithoutCastENSI_16StoreWithoutCastEEEviT_T0_T2_T3_T4_T5_.kd
    .uniform_work_group_size: 1
    .uses_dynamic_stack: false
    .vgpr_count:     14
    .vgpr_spill_count: 0
    .wavefront_size: 32
    .workgroup_processor_mode: 1
  - .args:
      - .offset:         0
        .size:           4
        .value_kind:     by_value
      - .offset:         8
        .size:           424
        .value_kind:     by_value
    .group_segment_fixed_size: 0
    .kernarg_segment_align: 8
    .kernarg_segment_size: 432
    .language:       OpenCL C
    .language_version:
      - 2
      - 0
    .max_flat_workgroup_size: 128
    .name:           _ZN2at6native32elementwise_kernel_manual_unrollILi128ELi8EZNS0_22gpu_kernel_impl_nocastIZNS0_12_GLOBAL__N_119masked_scale_kernelIhN3c108BFloat16EfEEvRNS_6TensorERKS7_SA_T1_EUlS6_hE_EEvRNS_18TensorIteratorBaseERKT_EUlibE_EEviSB_
    .private_segment_fixed_size: 0
    .sgpr_count:     48
    .sgpr_spill_count: 0
    .symbol:         _ZN2at6native32elementwise_kernel_manual_unrollILi128ELi8EZNS0_22gpu_kernel_impl_nocastIZNS0_12_GLOBAL__N_119masked_scale_kernelIhN3c108BFloat16EfEEvRNS_6TensorERKS7_SA_T1_EUlS6_hE_EEvRNS_18TensorIteratorBaseERKT_EUlibE_EEviSB_.kd
    .uniform_work_group_size: 1
    .uses_dynamic_stack: false
    .vgpr_count:     32
    .vgpr_spill_count: 0
    .wavefront_size: 32
    .workgroup_processor_mode: 1
  - .args:
      - .offset:         0
        .size:           4
        .value_kind:     by_value
      - .offset:         8
        .size:           48
        .value_kind:     by_value
    .group_segment_fixed_size: 0
    .kernarg_segment_align: 8
    .kernarg_segment_size: 56
    .language:       OpenCL C
    .language_version:
      - 2
      - 0
    .max_flat_workgroup_size: 128
    .name:           _ZN2at6native32elementwise_kernel_manual_unrollILi128ELi4EZNS0_15gpu_kernel_implIZNS0_12_GLOBAL__N_119masked_scale_kernelIhN3c108BFloat16EfEEvRNS_6TensorERKS7_SA_T1_EUlS6_hE_EEvRNS_18TensorIteratorBaseERKT_EUlibE_EEviSB_
    .private_segment_fixed_size: 0
    .sgpr_count:     37
    .sgpr_spill_count: 0
    .symbol:         _ZN2at6native32elementwise_kernel_manual_unrollILi128ELi4EZNS0_15gpu_kernel_implIZNS0_12_GLOBAL__N_119masked_scale_kernelIhN3c108BFloat16EfEEvRNS_6TensorERKS7_SA_T1_EUlS6_hE_EEvRNS_18TensorIteratorBaseERKT_EUlibE_EEviSB_.kd
    .uniform_work_group_size: 1
    .uses_dynamic_stack: false
    .vgpr_count:     17
    .vgpr_spill_count: 0
    .wavefront_size: 32
    .workgroup_processor_mode: 1
  - .args:
      - .offset:         0
        .size:           4
        .value_kind:     by_value
      - .offset:         8
        .size:           424
        .value_kind:     by_value
    .group_segment_fixed_size: 0
    .kernarg_segment_align: 8
    .kernarg_segment_size: 432
    .language:       OpenCL C
    .language_version:
      - 2
      - 0
    .max_flat_workgroup_size: 128
    .name:           _ZN2at6native32elementwise_kernel_manual_unrollILi128ELi4EZNS0_15gpu_kernel_implIZNS0_12_GLOBAL__N_119masked_scale_kernelIhN3c108BFloat16EfEEvRNS_6TensorERKS7_SA_T1_EUlS6_hE_EEvRNS_18TensorIteratorBaseERKT_EUlibE0_EEviSB_
    .private_segment_fixed_size: 0
    .sgpr_count:     64
    .sgpr_spill_count: 0
    .symbol:         _ZN2at6native32elementwise_kernel_manual_unrollILi128ELi4EZNS0_15gpu_kernel_implIZNS0_12_GLOBAL__N_119masked_scale_kernelIhN3c108BFloat16EfEEvRNS_6TensorERKS7_SA_T1_EUlS6_hE_EEvRNS_18TensorIteratorBaseERKT_EUlibE0_EEviSB_.kd
    .uniform_work_group_size: 1
    .uses_dynamic_stack: false
    .vgpr_count:     22
    .vgpr_spill_count: 0
    .wavefront_size: 32
    .workgroup_processor_mode: 1
amdhsa.target:   amdgcn-amd-amdhsa--gfx1100
amdhsa.version:
  - 1
  - 2
...

	.end_amdgpu_metadata
